;; amdgpu-corpus repo=ggml-org/llama.cpp kind=compiled arch=gfx950 opt=O3
	.amdgcn_target "amdgcn-amd-amdhsa--gfx950"
	.amdhsa_code_object_version 6
	.section	.text._ZL15flash_attn_tileILi256ELi256ELi4ELi8ELb0EEvPKcS1_S1_S1_S1_PKiPfP15HIP_vector_typeIfLj2EEffffjfiS5_IjLj3EEiiiiiiiiiiiliiliiiiil,"axG",@progbits,_ZL15flash_attn_tileILi256ELi256ELi4ELi8ELb0EEvPKcS1_S1_S1_S1_PKiPfP15HIP_vector_typeIfLj2EEffffjfiS5_IjLj3EEiiiiiiiiiiiliiliiiiil,comdat
	.globl	_ZL15flash_attn_tileILi256ELi256ELi4ELi8ELb0EEvPKcS1_S1_S1_S1_PKiPfP15HIP_vector_typeIfLj2EEffffjfiS5_IjLj3EEiiiiiiiiiiiliiliiiiil ; -- Begin function _ZL15flash_attn_tileILi256ELi256ELi4ELi8ELb0EEvPKcS1_S1_S1_S1_PKiPfP15HIP_vector_typeIfLj2EEffffjfiS5_IjLj3EEiiiiiiiiiiiliiliiiiil
	.p2align	8
	.type	_ZL15flash_attn_tileILi256ELi256ELi4ELi8ELb0EEvPKcS1_S1_S1_S1_PKiPfP15HIP_vector_typeIfLj2EEffffjfiS5_IjLj3EEiiiiiiiiiiiliiliiiiil,@function
_ZL15flash_attn_tileILi256ELi256ELi4ELi8ELb0EEvPKcS1_S1_S1_S1_PKiPfP15HIP_vector_typeIfLj2EEffffjfiS5_IjLj3EEiiiiiiiiiiiliiliiiiil: ; @_ZL15flash_attn_tileILi256ELi256ELi4ELi8ELb0EEvPKcS1_S1_S1_S1_PKiPfP15HIP_vector_typeIfLj2EEffffjfiS5_IjLj3EEiiiiiiiiiiiliiliiiiil
; %bb.0:
	s_load_dwordx4 s[28:31], s[0:1], 0x5c
	s_load_dwordx2 s[34:35], s[0:1], 0x80
	s_load_dwordx16 s[12:27], s[0:1], 0x0
	s_mov_b64 s[36:37], 0
	s_waitcnt lgkmcnt(0)
	s_ashr_i32 s5, s31, 31
	s_lshr_b32 s5, s5, 29
	s_add_i32 s5, s31, s5
	s_ashr_i32 s5, s5, 3
	v_cvt_f32_u32_e32 v1, s5
	s_sub_i32 s6, 0, s5
	v_rcp_iflag_f32_e32 v1, v1
	s_nop 0
	v_mul_f32_e32 v1, 0x4f7ffffe, v1
	v_cvt_u32_f32_e32 v1, v1
	s_nop 0
	v_readfirstlane_b32 s7, v1
	s_mul_i32 s6, s6, s7
	s_mul_hi_u32 s6, s7, s6
	s_add_i32 s7, s7, s6
	s_mul_hi_u32 s6, s4, s7
	s_mul_i32 s7, s6, s5
	s_sub_i32 s7, s4, s7
	s_add_i32 s8, s6, 1
	s_sub_i32 s9, s7, s5
	s_cmp_ge_u32 s7, s5
	s_cselect_b32 s6, s8, s6
	s_cselect_b32 s7, s9, s7
	s_add_i32 s8, s6, 1
	s_cmp_ge_u32 s7, s5
	s_cselect_b32 s33, s8, s6
	s_abs_i32 s5, s35
	v_cvt_f32_u32_e32 v1, s5
	s_lshl_b32 s4, s4, 3
	s_mul_i32 s8, s33, s31
	s_xor_b32 s6, s31, s35
	v_rcp_iflag_f32_e32 v1, v1
	s_sub_i32 s9, 0, s5
	s_sub_i32 s35, s4, s8
	s_abs_i32 s7, s31
	v_mul_f32_e32 v1, 0x4f7ffffe, v1
	v_cvt_u32_f32_e32 v1, v1
	s_ashr_i32 s6, s6, 31
	v_readfirstlane_b32 s4, v1
	s_mul_i32 s9, s9, s4
	s_mul_hi_u32 s8, s4, s9
	s_add_i32 s4, s4, s8
	s_mul_hi_u32 s4, s7, s4
	s_mul_i32 s8, s4, s5
	s_sub_i32 s7, s7, s8
	s_add_i32 s9, s4, 1
	s_sub_i32 s8, s7, s5
	s_cmp_ge_u32 s7, s5
	s_cselect_b32 s4, s9, s4
	s_cselect_b32 s7, s8, s7
	s_add_i32 s8, s4, 1
	s_cmp_ge_u32 s7, s5
	s_cselect_b32 s4, s8, s4
	s_xor_b32 s4, s4, s6
	s_sub_i32 s9, s4, s6
	s_abs_i32 s8, s9
	v_cvt_f32_u32_e32 v1, s8
	s_load_dwordx2 s[4:5], s[0:1], 0xb8
	s_cmp_eq_u64 s[18:19], 0
	v_rcp_iflag_f32_e32 v1, v1
	s_nop 0
	v_mul_f32_e32 v1, 0x4f7ffffe, v1
	v_cvt_u32_f32_e32 v1, v1
	s_nop 0
	v_readfirstlane_b32 s10, v1
	s_cbranch_scc1 .LBB0_2
; %bb.1:
	s_waitcnt lgkmcnt(0)
	s_abs_i32 s4, s4
	v_cvt_f32_u32_e32 v1, s4
	s_sub_i32 s37, 0, s4
	s_abs_i32 s36, s33
	s_ashr_i32 s11, s33, 31
	v_rcp_iflag_f32_e32 v1, v1
	s_load_dwordx2 s[6:7], s[0:1], 0xc8
	v_mul_f32_e32 v1, 0x4f7ffffe, v1
	v_cvt_u32_f32_e32 v1, v1
	s_nop 0
	v_readfirstlane_b32 s38, v1
	s_mul_i32 s37, s37, s38
	s_mul_hi_u32 s37, s38, s37
	s_add_i32 s38, s38, s37
	s_mul_hi_u32 s37, s36, s38
	s_mul_i32 s37, s37, s4
	s_sub_i32 s36, s36, s37
	s_sub_i32 s37, s36, s4
	s_cmp_ge_u32 s36, s4
	s_cselect_b32 s36, s37, s36
	s_sub_i32 s37, s36, s4
	s_cmp_ge_u32 s36, s4
	s_cselect_b32 s4, s37, s36
	s_xor_b32 s4, s4, s11
	s_sub_i32 s4, s4, s11
	s_ashr_i32 s11, s4, 31
	s_waitcnt lgkmcnt(0)
	s_mul_hi_u32 s36, s6, s4
	s_mul_i32 s11, s6, s11
	s_mul_i32 s7, s7, s4
	s_add_i32 s11, s36, s11
	s_add_i32 s11, s11, s7
	s_mul_i32 s4, s6, s4
	s_add_u32 s36, s18, s4
	s_addc_u32 s37, s19, s11
.LBB0_2:
	s_load_dwordx4 s[40:43], s[0:1], 0x70
	v_lshrrev_b32_e32 v2, 10, v0
	v_bfe_u32 v2, v2, 1, 9
	v_lshl_add_u32 v21, s2, 2, v2
	v_mul_hi_u32 v2, s28, v21
	s_waitcnt lgkmcnt(0)
	s_mul_i32 s4, s33, s42
	s_ashr_i32 s7, s4, 31
	s_mul_i32 s6, s35, s41
	s_add_u32 s4, s12, s4
	s_addc_u32 s7, s13, s7
	s_ashr_i32 s11, s6, 31
	v_add_u32_e32 v2, v21, v2
	s_add_u32 s12, s4, s6
	v_lshrrev_b32_e32 v2, s29, v2
	s_addc_u32 s13, s7, s11
	s_ashr_i32 s19, s41, 31
	s_mov_b32 s18, s41
	v_mul_lo_u32 v2, v2, s30
	s_ashr_i32 s41, s40, 31
	v_sub_u32_e32 v2, v21, v2
	s_lshr_b64 s[28:29], s[40:41], 2
	v_mad_u64_u32 v[4:5], s[28:29], s28, v2, 0
	v_mov_b32_e32 v6, v5
	s_lshr_b32 s4, s41, 2
	v_bfe_u32 v1, v0, 10, 10
	v_mad_u64_u32 v[6:7], s[28:29], s4, v2, v[6:7]
	v_lshlrev_b32_e32 v38, 2, v1
	v_mov_b32_e32 v5, v6
	v_and_b32_e32 v20, 0x3ff, v0
	s_lshr_b64 s[6:7], s[18:19], 2
	v_mov_b32_e32 v7, 0
	v_lshl_add_u64 v[4:5], v[4:5], 2, s[12:13]
	v_lshlrev_b32_e32 v6, 4, v20
	v_and_b32_e32 v46, 4, v38
	s_lshr_b32 s4, s19, 2
	v_lshl_add_u64 v[30:31], v[4:5], 0, v[6:7]
	v_mul_lo_u32 v0, s4, v46
	v_mad_u64_u32 v[4:5], s[12:13], s6, v46, 0
	v_or_b32_e32 v5, v5, v0
	v_lshl_add_u64 v[12:13], v[4:5], 2, v[30:31]
	v_bitop3_b32 v3, v38, 5, 1 bitop3:0xc8
	global_load_dwordx4 v[4:7], v[12:13], off
	global_load_dwordx4 v[8:11], v[12:13], off offset:512
	v_mad_u64_u32 v[12:13], s[12:13], s6, v3, 0
	v_mov_b32_e32 v0, v13
	v_mad_u64_u32 v[14:15], s[12:13], s4, v3, v[0:1]
	v_mov_b32_e32 v13, v14
	v_lshl_add_u64 v[22:23], v[12:13], 2, v[30:31]
	global_load_dwordx4 v[12:15], v[22:23], off
	global_load_dwordx4 v[16:19], v[22:23], off offset:512
	v_bitop3_b32 v3, v38, 6, 2 bitop3:0xc8
	v_mad_u64_u32 v[22:23], s[12:13], s6, v3, 0
	v_mov_b32_e32 v0, v23
	v_mad_u64_u32 v[24:25], s[12:13], s4, v3, v[0:1]
	v_mov_b32_e32 v23, v24
	v_lshl_add_u64 v[32:33], v[22:23], 2, v[30:31]
	global_load_dwordx4 v[22:25], v[32:33], off
	global_load_dwordx4 v[26:29], v[32:33], off offset:512
	v_bitop3_b32 v3, v38, 7, 3 bitop3:0xc8
	v_mad_u64_u32 v[32:33], s[6:7], s6, v3, 0
	v_mov_b32_e32 v0, v33
	v_mad_u64_u32 v[34:35], s[6:7], s4, v3, v[0:1]
	v_mov_b32_e32 v33, v34
	v_lshl_add_u64 v[34:35], v[32:33], 2, v[30:31]
	global_load_dwordx4 v[30:33], v[34:35], off
	v_lshlrev_b32_e32 v3, 3, v20
	v_or_b32_e32 v36, 1, v38
	v_lshl_add_u32 v39, v36, 9, v3
	global_load_dwordx4 v[34:37], v[34:35], off offset:512
	s_load_dword s11, s[0:1], 0x40
	v_lshlrev_b32_e32 v48, 11, v1
	v_add_u32_e32 v0, v3, v48
	s_cmp_eq_u64 s[22:23], 0
	s_waitcnt vmcnt(7) lgkmcnt(0)
	v_fma_mixlo_f16 v4, s11, v4, 0
	v_fma_mixlo_f16 v5, s11, v5, 0
	;; [unrolled: 1-line block ×4, first 2 shown]
	s_waitcnt vmcnt(6)
	v_fma_mixlo_f16 v8, s11, v8, 0
	v_fma_mixlo_f16 v9, s11, v9, 0
	;; [unrolled: 1-line block ×4, first 2 shown]
	v_lshlrev_b32_e32 v5, 16, v5
	v_and_b32_e32 v4, 0xffff, v4
	v_lshlrev_b32_e32 v7, 16, v7
	v_and_b32_e32 v6, 0xffff, v6
	;; [unrolled: 2-line block ×4, first 2 shown]
	v_or_b32_e32 v4, v5, v4
	v_or3_b32 v5, v7, v6, 0
	v_or_b32_e32 v6, v9, v8
	v_or3_b32 v7, v11, v10, 0
	v_or3_b32 v4, 0, 0, v4
	;; [unrolled: 1-line block ×3, first 2 shown]
	ds_write2_b64 v0, v[4:5], v[6:7] offset1:32
	s_waitcnt vmcnt(5)
	v_fma_mixlo_f16 v0, s11, v12, 0
	v_fma_mixlo_f16 v4, s11, v13, 0
	v_lshlrev_b32_e32 v4, 16, v4
	v_and_b32_e32 v0, 0xffff, v0
	v_or_b32_e32 v0, v4, v0
	v_fma_mixlo_f16 v4, s11, v14, 0
	v_fma_mixlo_f16 v5, s11, v15, 0
	v_lshlrev_b32_e32 v5, 16, v5
	v_and_b32_e32 v4, 0xffff, v4
	v_or3_b32 v5, v5, v4, 0
	v_or3_b32 v4, 0, 0, v0
	s_waitcnt vmcnt(4)
	v_fma_mixlo_f16 v0, s11, v16, 0
	v_fma_mixlo_f16 v6, s11, v17, 0
	v_lshlrev_b32_e32 v6, 16, v6
	v_and_b32_e32 v0, 0xffff, v0
	v_or_b32_e32 v0, v6, v0
	v_fma_mixlo_f16 v6, s11, v18, 0
	v_fma_mixlo_f16 v7, s11, v19, 0
	v_lshlrev_b32_e32 v7, 16, v7
	v_and_b32_e32 v6, 0xffff, v6
	v_or3_b32 v7, v7, v6, 0
	v_or3_b32 v6, 0, 0, v0
	ds_write2_b64 v39, v[4:5], v[6:7] offset1:32
	s_waitcnt vmcnt(3)
	v_fma_mixlo_f16 v4, s11, v22, 0
	v_fma_mixlo_f16 v5, s11, v23, 0
	v_lshlrev_b32_e32 v5, 16, v5
	v_and_b32_e32 v4, 0xffff, v4
	v_or_b32_e32 v4, v5, v4
	v_fma_mixlo_f16 v5, s11, v24, 0
	v_fma_mixlo_f16 v6, s11, v25, 0
	v_lshlrev_b32_e32 v6, 16, v6
	v_and_b32_e32 v5, 0xffff, v5
	v_or3_b32 v5, v6, v5, 0
	s_waitcnt vmcnt(2)
	v_fma_mixlo_f16 v6, s11, v26, 0
	v_fma_mixlo_f16 v7, s11, v27, 0
	v_lshlrev_b32_e32 v7, 16, v7
	v_and_b32_e32 v6, 0xffff, v6
	v_or_b32_e32 v6, v7, v6
	v_fma_mixlo_f16 v7, s11, v28, 0
	v_fma_mixlo_f16 v8, s11, v29, 0
	v_or_b32_e32 v0, 2, v38
	v_lshlrev_b32_e32 v8, 16, v8
	v_and_b32_e32 v7, 0xffff, v7
	v_lshl_add_u32 v0, v0, 9, v3
	v_or3_b32 v4, 0, 0, v4
	v_or3_b32 v7, v8, v7, 0
	;; [unrolled: 1-line block ×3, first 2 shown]
	ds_write2_b64 v0, v[4:5], v[6:7] offset1:32
	s_waitcnt vmcnt(1)
	v_fma_mixlo_f16 v4, s11, v30, 0
	v_fma_mixlo_f16 v5, s11, v31, 0
	v_lshlrev_b32_e32 v5, 16, v5
	v_and_b32_e32 v4, 0xffff, v4
	v_or_b32_e32 v4, v5, v4
	v_fma_mixlo_f16 v5, s11, v32, 0
	v_fma_mixlo_f16 v6, s11, v33, 0
	v_lshlrev_b32_e32 v6, 16, v6
	v_and_b32_e32 v5, 0xffff, v5
	v_or3_b32 v5, v6, v5, 0
	s_waitcnt vmcnt(0)
	v_fma_mixlo_f16 v6, s11, v34, 0
	v_fma_mixlo_f16 v7, s11, v35, 0
	v_lshlrev_b32_e32 v7, 16, v7
	v_and_b32_e32 v6, 0xffff, v6
	v_or_b32_e32 v6, v7, v6
	v_fma_mixlo_f16 v7, s11, v36, 0
	v_fma_mixlo_f16 v8, s11, v37, 0
	v_or_b32_e32 v0, 3, v38
	v_lshlrev_b32_e32 v8, 16, v8
	v_and_b32_e32 v7, 0xffff, v7
	v_lshl_add_u32 v0, v0, 9, v3
	v_or3_b32 v4, 0, 0, v4
	v_or3_b32 v7, v8, v7, 0
	v_or3_b32 v6, 0, 0, v6
	ds_write2_b64 v0, v[4:5], v[6:7] offset1:32
	s_waitcnt lgkmcnt(0)
	s_barrier
	s_cbranch_scc1 .LBB0_4
; %bb.3:
	s_load_dword s4, s[0:1], 0xd0
	s_mov_b32 s7, 0
	s_waitcnt lgkmcnt(0)
	s_mul_i32 s4, s4, s33
	s_add_i32 s6, s4, s2
	s_lshl_b64 s[6:7], s[6:7], 2
	s_add_u32 s6, s22, s6
	s_addc_u32 s7, s23, s7
	s_load_dword s34, s[6:7], 0x0
.LBB0_4:
	s_lshl_b32 s2, s3, 5
	v_lshlrev_b32_e32 v47, 2, v20
	s_waitcnt lgkmcnt(0)
	s_cmp_lt_i32 s2, s34
	v_mbcnt_lo_u32_b32 v4, -1, 0
	s_cbranch_scc1 .LBB0_7
; %bb.5:
	v_mbcnt_hi_u32_b32 v33, -1, v4
	v_and_b32_e32 v0, 0x60, v33
	v_add_u32_e32 v49, 32, v0
	v_xor_b32_e32 v52, 16, v33
	v_xor_b32_e32 v53, 8, v33
	v_xor_b32_e32 v54, 4, v33
	v_xor_b32_e32 v51, 2, v33
	v_xor_b32_e32 v50, 1, v33
	s_cbranch_execz .LBB0_8
; %bb.6:
	v_mov_b32_e32 v23, 0
	v_mov_b32_e32 v79, 0
	;; [unrolled: 1-line block ×24, first 2 shown]
	s_branch .LBB0_10
.LBB0_7:
                                        ; implicit-def: $vgpr33
                                        ; implicit-def: $vgpr49
                                        ; implicit-def: $vgpr52
                                        ; implicit-def: $vgpr53
                                        ; implicit-def: $vgpr54
                                        ; implicit-def: $vgpr51
                                        ; implicit-def: $vgpr50
.LBB0_8:
	s_load_dwordx2 s[6:7], s[0:1], 0x8c
	s_load_dwordx4 s[40:43], s[0:1], 0x98
	s_sub_i32 s4, 0, s8
	s_mul_i32 s4, s4, s10
	s_mul_hi_u32 s4, s10, s4
	s_waitcnt lgkmcnt(0)
	s_ashr_i32 s29, s6, 2
	s_ashr_i32 s6, s33, 31
	s_mul_hi_u32 s18, s40, s33
	s_mul_i32 s19, s40, s6
	s_add_i32 s18, s18, s19
	s_mul_i32 s19, s41, s33
	s_abs_i32 s12, s35
	s_add_i32 s10, s10, s4
	s_ashr_i32 s13, s35, 31
	s_ashr_i32 s9, s9, 31
	;; [unrolled: 1-line block ×4, first 2 shown]
	s_add_i32 s18, s18, s19
	s_mul_i32 s19, s40, s33
	s_mul_hi_u32 s4, s12, s10
	s_add_u32 s14, s14, s19
	s_addc_u32 s15, s15, s18
	s_xor_b32 s9, s13, s9
	s_mul_i32 s13, s4, s8
	s_sub_i32 s12, s12, s13
	s_add_i32 s13, s4, 1
	s_sub_i32 s18, s12, s8
	s_cmp_ge_u32 s12, s8
	s_cselect_b32 s4, s13, s4
	s_cselect_b32 s12, s18, s12
	s_add_i32 s13, s4, 1
	s_cmp_ge_u32 s12, s8
	s_load_dwordx2 s[10:11], s[0:1], 0xa8
	s_cselect_b32 s4, s13, s4
	s_xor_b32 s4, s4, s9
	s_sub_i32 s4, s4, s9
	s_mul_i32 s7, s4, s7
	s_ashr_i32 s8, s7, 31
	s_add_u32 s38, s14, s7
	s_waitcnt lgkmcnt(0)
	s_mul_hi_u32 s7, s10, s33
	s_mul_i32 s6, s10, s6
	s_addc_u32 s39, s15, s8
	s_add_i32 s6, s7, s6
	s_mul_i32 s7, s11, s33
	s_add_i32 s6, s6, s7
	s_mul_i32 s7, s10, s33
	s_add_u32 s7, s16, s7
	s_mul_i32 s4, s4, s43
	s_addc_u32 s6, s17, s6
	s_ashr_i32 s8, s4, 31
	v_lshrrev_b32_e32 v0, 4, v20
	v_and_b32_e32 v6, 60, v47
	s_add_u32 s40, s7, s4
	v_lshl_add_u32 v0, v1, 1, v0
	v_lshlrev_b32_e32 v5, 2, v6
	s_movk_i32 s4, 0x110
	v_mad_u32_u24 v5, v0, s4, v5
	v_mul_lo_u32 v28, s29, v0
	v_mov_b32_e32 v0, 0x4000
	v_mad_u32_u24 v57, v20, s4, v0
	v_mad_u64_u32 v[32:33], s[4:5], v2, s5, v[20:21]
	v_mul_lo_u32 v8, s28, v1
	s_addc_u32 s41, s6, s8
	v_mov_b32_e32 v0, 0x6200
	v_lshlrev_b32_e32 v34, 2, v47
	v_lshl_add_u32 v10, s28, 3, v8
	v_mbcnt_hi_u32_b32 v33, -1, v4
	v_mov_b32_e32 v27, 0
	v_lshl_add_u32 v30, s29, 4, v28
	v_lshl_add_u32 v58, v1, 8, v0
	;; [unrolled: 1-line block ×3, first 2 shown]
	v_ashrrev_i32_e32 v9, 31, v8
	v_ashrrev_i32_e32 v11, 31, v10
	s_add_u32 s18, s0, 0xd0
	v_and_b32_e32 v1, 0x60, v33
	v_add_u32_e32 v55, 0x4000, v5
	v_ashrrev_i32_e32 v29, 31, v28
	v_add_u32_e32 v56, 0x5100, v5
	v_ashrrev_i32_e32 v31, 31, v30
	v_add_u32_e32 v59, 0x4000, v0
	v_add_u32_e32 v60, 0x5000, v0
	s_addc_u32 s19, s1, 0
	v_mov_b32_e32 v0, 0xfeffffff
	v_lshlrev_b32_e32 v26, 2, v6
	v_add_u32_e32 v49, 32, v1
	v_xor_b32_e32 v52, 16, v33
	v_xor_b32_e32 v53, 8, v33
	;; [unrolled: 1-line block ×5, first 2 shown]
	s_mov_b32 s42, 0x3fb8aa3b
	s_mov_b32 s43, 0xc2ce8ed0
	;; [unrolled: 1-line block ×3, first 2 shown]
	v_mov_b32_e32 v61, 0x7f800000
	s_mov_b32 s45, 0x10001
	v_add_u32_e32 v62, v58, v3
	v_lshlrev_b64 v[36:37], 2, v[8:9]
	v_mov_b32_e32 v35, v27
	v_lshlrev_b64 v[38:39], 2, v[10:11]
	v_add_u32_e32 v63, 0x4000, v3
	v_add_u32_e32 v64, 0x4800, v3
	;; [unrolled: 1-line block ×4, first 2 shown]
	v_mov_b32_e32 v67, v27
	v_mov_b32_e32 v68, v27
	v_mov_b32_e32 v69, v27
	v_mov_b32_e32 v70, v27
	v_mov_b32_e32 v72, v27
	v_mov_b32_e32 v73, v27
	v_mov_b32_e32 v74, v27
	v_mov_b32_e32 v71, v27
	v_mov_b32_e32 v76, v27
	v_mov_b32_e32 v77, v27
	v_mov_b32_e32 v78, v27
	v_mov_b32_e32 v75, v27
	v_mov_b32_e32 v80, v27
	v_mov_b32_e32 v81, v27
	v_mov_b32_e32 v82, v27
	v_mov_b32_e32 v79, v27
	v_mov_b32_e32 v1, 0xfeffffff
	v_mov_b32_e32 v2, 0xfeffffff
	v_mov_b32_e32 v3, 0xfeffffff
	v_mov_b32_e32 v24, v27
	v_mov_b32_e32 v25, v27
	v_mov_b32_e32 v22, v27
	v_mov_b32_e32 v23, v27
.LBB0_9:                                ; =>This Inner Loop Header: Depth=1
	v_cmp_lt_i32_e64 s[4:5], v52, v49
	v_mov_b32_e32 v87, v0
	s_mul_hi_i32 s7, s2, s29
	v_cndmask_b32_e64 v0, v33, v52, s[4:5]
	v_cmp_lt_i32_e64 s[4:5], v53, v49
	s_mul_i32 s6, s2, s29
	v_mov_b32_e32 v83, 0
	v_cndmask_b32_e64 v91, v33, v53, s[4:5]
	v_cmp_lt_i32_e64 s[4:5], v54, v49
	v_mov_b32_e32 v84, 0
	v_mov_b32_e32 v85, 0
	v_cndmask_b32_e64 v92, v33, v54, s[4:5]
	s_lshl_b64 s[4:5], s[6:7], 2
	s_add_u32 s4, s38, s4
	s_addc_u32 s5, s39, s5
	v_lshl_add_u64 v[4:5], v[28:29], 2, s[4:5]
	v_lshl_add_u64 v[6:7], v[30:31], 2, s[4:5]
	;; [unrolled: 1-line block ×4, first 2 shown]
	global_load_dwordx4 v[4:7], v[42:43], off
	global_load_dwordx4 v[8:11], v[44:45], off
	v_mov_b32_e32 v86, 0
	v_mov_b32_e32 v88, v1
	;; [unrolled: 1-line block ×4, first 2 shown]
	v_add_u32_e32 v40, s2, v32
	v_ashrrev_i32_e32 v41, 31, v40
	v_cmp_lt_i32_e32 vcc, v51, v49
	s_mul_hi_i32 s5, s2, s28
	s_mul_i32 s4, s2, s28
	s_lshl_b64 s[4:5], s[4:5], 2
	s_add_u32 s4, s40, s4
	s_addc_u32 s5, s41, s5
	v_lshlrev_b32_e32 v93, 2, v92
	s_or_b32 s6, s2, 16
	s_waitcnt vmcnt(1)
	ds_write_b128 v55, v[4:7]
	s_waitcnt vmcnt(0)
	ds_write_b128 v56, v[8:11]
	s_waitcnt lgkmcnt(0)
	s_barrier
	ds_read_b128 v[4:7], v57
	ds_read_b128 v[8:11], v48
	ds_read_b128 v[12:15], v48 offset:512
	ds_read_b128 v[16:19], v48 offset:1024
	ds_read_b128 v[94:97], v48 offset:1536
	s_waitcnt lgkmcnt(3)
	;;#ASMSTART
	v_dot2_f32_f16 v83, v4, v8, v83
	;;#ASMEND
	s_nop 0
	;;#ASMSTART
	v_dot2_f32_f16 v83, v5, v9, v83
	;;#ASMEND
	s_nop 0
	;;#ASMSTART
	v_dot2_f32_f16 v83, v6, v10, v83
	;;#ASMEND
	s_nop 0
	;;#ASMSTART
	v_dot2_f32_f16 v83, v7, v11, v83
	;;#ASMEND
	s_waitcnt lgkmcnt(2)
	;;#ASMSTART
	v_dot2_f32_f16 v84, v4, v12, v84
	;;#ASMEND
	s_nop 0
	;;#ASMSTART
	v_dot2_f32_f16 v84, v5, v13, v84
	;;#ASMEND
	s_nop 0
	;;#ASMSTART
	v_dot2_f32_f16 v84, v6, v14, v84
	;;#ASMEND
	s_nop 0
	;;#ASMSTART
	v_dot2_f32_f16 v84, v7, v15, v84
	;;#ASMEND
	s_waitcnt lgkmcnt(1)
	;;#ASMSTART
	v_dot2_f32_f16 v85, v4, v16, v85
	;;#ASMEND
	s_nop 0
	;;#ASMSTART
	v_dot2_f32_f16 v85, v5, v17, v85
	;;#ASMEND
	s_nop 0
	;;#ASMSTART
	v_dot2_f32_f16 v85, v6, v18, v85
	;;#ASMEND
	s_nop 0
	;;#ASMSTART
	v_dot2_f32_f16 v85, v7, v19, v85
	;;#ASMEND
	s_waitcnt lgkmcnt(0)
	;;#ASMSTART
	v_dot2_f32_f16 v86, v4, v94, v86
	;;#ASMEND
	s_nop 0
	;;#ASMSTART
	v_dot2_f32_f16 v86, v5, v95, v86
	;;#ASMEND
	s_nop 0
	;;#ASMSTART
	v_dot2_f32_f16 v86, v6, v96, v86
	;;#ASMEND
	s_nop 0
	;;#ASMSTART
	v_dot2_f32_f16 v86, v7, v97, v86
	;;#ASMEND
	ds_read_b128 v[4:7], v57 offset:16
	ds_read_b128 v[8:11], v48 offset:16
	;; [unrolled: 1-line block ×5, first 2 shown]
	s_waitcnt lgkmcnt(3)
	;;#ASMSTART
	v_dot2_f32_f16 v83, v4, v8, v83
	;;#ASMEND
	s_nop 0
	;;#ASMSTART
	v_dot2_f32_f16 v83, v5, v9, v83
	;;#ASMEND
	s_nop 0
	;;#ASMSTART
	v_dot2_f32_f16 v83, v6, v10, v83
	;;#ASMEND
	s_nop 0
	;;#ASMSTART
	v_dot2_f32_f16 v83, v7, v11, v83
	;;#ASMEND
	s_waitcnt lgkmcnt(2)
	;;#ASMSTART
	v_dot2_f32_f16 v84, v4, v12, v84
	;;#ASMEND
	s_nop 0
	;;#ASMSTART
	v_dot2_f32_f16 v84, v5, v13, v84
	;;#ASMEND
	s_nop 0
	;;#ASMSTART
	v_dot2_f32_f16 v84, v6, v14, v84
	;;#ASMEND
	s_nop 0
	;;#ASMSTART
	v_dot2_f32_f16 v84, v7, v15, v84
	;;#ASMEND
	;; [unrolled: 16-line block ×4, first 2 shown]
	ds_read_b128 v[4:7], v57 offset:32
	ds_read_b128 v[8:11], v48 offset:32
	;; [unrolled: 1-line block ×5, first 2 shown]
	s_waitcnt lgkmcnt(3)
	;;#ASMSTART
	v_dot2_f32_f16 v83, v4, v8, v83
	;;#ASMEND
	s_nop 0
	;;#ASMSTART
	v_dot2_f32_f16 v83, v5, v9, v83
	;;#ASMEND
	s_nop 0
	;;#ASMSTART
	v_dot2_f32_f16 v83, v6, v10, v83
	;;#ASMEND
	s_nop 0
	;;#ASMSTART
	v_dot2_f32_f16 v83, v7, v11, v83
	;;#ASMEND
	s_waitcnt lgkmcnt(2)
	;;#ASMSTART
	v_dot2_f32_f16 v84, v4, v12, v84
	;;#ASMEND
	s_nop 0
	;;#ASMSTART
	v_dot2_f32_f16 v84, v5, v13, v84
	;;#ASMEND
	s_nop 0
	;;#ASMSTART
	v_dot2_f32_f16 v84, v6, v14, v84
	;;#ASMEND
	s_nop 0
	;;#ASMSTART
	v_dot2_f32_f16 v84, v7, v15, v84
	;;#ASMEND
	;; [unrolled: 16-line block ×4, first 2 shown]
	ds_read_b128 v[4:7], v57 offset:48
	ds_read_b128 v[8:11], v48 offset:48
	;; [unrolled: 1-line block ×5, first 2 shown]
	s_waitcnt lgkmcnt(3)
	;;#ASMSTART
	v_dot2_f32_f16 v83, v4, v8, v83
	;;#ASMEND
	s_nop 0
	;;#ASMSTART
	v_dot2_f32_f16 v83, v5, v9, v83
	;;#ASMEND
	s_nop 0
	;;#ASMSTART
	v_dot2_f32_f16 v83, v6, v10, v83
	;;#ASMEND
	s_nop 0
	;;#ASMSTART
	v_dot2_f32_f16 v83, v7, v11, v83
	;;#ASMEND
	s_waitcnt lgkmcnt(2)
	;;#ASMSTART
	v_dot2_f32_f16 v84, v4, v12, v84
	;;#ASMEND
	s_nop 0
	;;#ASMSTART
	v_dot2_f32_f16 v84, v5, v13, v84
	;;#ASMEND
	s_nop 0
	;;#ASMSTART
	v_dot2_f32_f16 v84, v6, v14, v84
	;;#ASMEND
	s_nop 0
	;;#ASMSTART
	v_dot2_f32_f16 v84, v7, v15, v84
	;;#ASMEND
	;; [unrolled: 16-line block ×4, first 2 shown]
	ds_read_b128 v[4:7], v57 offset:64
	ds_read_b128 v[8:11], v48 offset:64
	;; [unrolled: 1-line block ×5, first 2 shown]
	s_waitcnt lgkmcnt(3)
	;;#ASMSTART
	v_dot2_f32_f16 v83, v4, v8, v83
	;;#ASMEND
	s_nop 0
	;;#ASMSTART
	v_dot2_f32_f16 v83, v5, v9, v83
	;;#ASMEND
	s_nop 0
	;;#ASMSTART
	v_dot2_f32_f16 v83, v6, v10, v83
	;;#ASMEND
	s_nop 0
	;;#ASMSTART
	v_dot2_f32_f16 v83, v7, v11, v83
	;;#ASMEND
	s_waitcnt lgkmcnt(2)
	;;#ASMSTART
	v_dot2_f32_f16 v84, v4, v12, v84
	;;#ASMEND
	s_nop 0
	;;#ASMSTART
	v_dot2_f32_f16 v84, v5, v13, v84
	;;#ASMEND
	s_nop 0
	;;#ASMSTART
	v_dot2_f32_f16 v84, v6, v14, v84
	;;#ASMEND
	s_nop 0
	;;#ASMSTART
	v_dot2_f32_f16 v84, v7, v15, v84
	;;#ASMEND
	;; [unrolled: 16-line block ×4, first 2 shown]
	ds_read_b128 v[4:7], v57 offset:80
	ds_read_b128 v[8:11], v48 offset:80
	;; [unrolled: 1-line block ×5, first 2 shown]
	s_waitcnt lgkmcnt(3)
	;;#ASMSTART
	v_dot2_f32_f16 v83, v4, v8, v83
	;;#ASMEND
	s_nop 0
	;;#ASMSTART
	v_dot2_f32_f16 v83, v5, v9, v83
	;;#ASMEND
	s_nop 0
	;;#ASMSTART
	v_dot2_f32_f16 v83, v6, v10, v83
	;;#ASMEND
	s_nop 0
	;;#ASMSTART
	v_dot2_f32_f16 v83, v7, v11, v83
	;;#ASMEND
	s_waitcnt lgkmcnt(2)
	;;#ASMSTART
	v_dot2_f32_f16 v84, v4, v12, v84
	;;#ASMEND
	s_nop 0
	;;#ASMSTART
	v_dot2_f32_f16 v84, v5, v13, v84
	;;#ASMEND
	s_nop 0
	;;#ASMSTART
	v_dot2_f32_f16 v84, v6, v14, v84
	;;#ASMEND
	s_nop 0
	;;#ASMSTART
	v_dot2_f32_f16 v84, v7, v15, v84
	;;#ASMEND
	;; [unrolled: 16-line block ×4, first 2 shown]
	ds_read_b128 v[4:7], v57 offset:96
	ds_read_b128 v[8:11], v48 offset:96
	;; [unrolled: 1-line block ×5, first 2 shown]
	s_waitcnt lgkmcnt(3)
	;;#ASMSTART
	v_dot2_f32_f16 v83, v4, v8, v83
	;;#ASMEND
	s_nop 0
	;;#ASMSTART
	v_dot2_f32_f16 v83, v5, v9, v83
	;;#ASMEND
	s_nop 0
	;;#ASMSTART
	v_dot2_f32_f16 v83, v6, v10, v83
	;;#ASMEND
	s_nop 0
	;;#ASMSTART
	v_dot2_f32_f16 v83, v7, v11, v83
	;;#ASMEND
	s_waitcnt lgkmcnt(2)
	;;#ASMSTART
	v_dot2_f32_f16 v84, v4, v12, v84
	;;#ASMEND
	s_nop 0
	;;#ASMSTART
	v_dot2_f32_f16 v84, v5, v13, v84
	;;#ASMEND
	s_nop 0
	;;#ASMSTART
	v_dot2_f32_f16 v84, v6, v14, v84
	;;#ASMEND
	s_nop 0
	;;#ASMSTART
	v_dot2_f32_f16 v84, v7, v15, v84
	;;#ASMEND
	;; [unrolled: 16-line block ×4, first 2 shown]
	ds_read_b128 v[4:7], v57 offset:112
	ds_read_b128 v[8:11], v48 offset:112
	;; [unrolled: 1-line block ×5, first 2 shown]
	s_waitcnt lgkmcnt(3)
	;;#ASMSTART
	v_dot2_f32_f16 v83, v4, v8, v83
	;;#ASMEND
	s_nop 0
	;;#ASMSTART
	v_dot2_f32_f16 v83, v5, v9, v83
	;;#ASMEND
	s_nop 0
	;;#ASMSTART
	v_dot2_f32_f16 v83, v6, v10, v83
	;;#ASMEND
	s_nop 0
	;;#ASMSTART
	v_dot2_f32_f16 v83, v7, v11, v83
	;;#ASMEND
	s_waitcnt lgkmcnt(2)
	;;#ASMSTART
	v_dot2_f32_f16 v84, v4, v12, v84
	;;#ASMEND
	s_nop 0
	;;#ASMSTART
	v_dot2_f32_f16 v84, v5, v13, v84
	;;#ASMEND
	s_nop 0
	;;#ASMSTART
	v_dot2_f32_f16 v84, v6, v14, v84
	;;#ASMEND
	s_nop 0
	;;#ASMSTART
	v_dot2_f32_f16 v84, v7, v15, v84
	;;#ASMEND
	;; [unrolled: 16-line block ×4, first 2 shown]
	ds_read_b128 v[4:7], v57 offset:128
	ds_read_b128 v[8:11], v48 offset:128
	;; [unrolled: 1-line block ×5, first 2 shown]
	s_waitcnt lgkmcnt(3)
	;;#ASMSTART
	v_dot2_f32_f16 v83, v4, v8, v83
	;;#ASMEND
	s_nop 0
	;;#ASMSTART
	v_dot2_f32_f16 v83, v5, v9, v83
	;;#ASMEND
	s_nop 0
	;;#ASMSTART
	v_dot2_f32_f16 v83, v6, v10, v83
	;;#ASMEND
	s_nop 0
	;;#ASMSTART
	v_dot2_f32_f16 v83, v7, v11, v83
	;;#ASMEND
	s_waitcnt lgkmcnt(2)
	;;#ASMSTART
	v_dot2_f32_f16 v84, v4, v12, v84
	;;#ASMEND
	s_nop 0
	;;#ASMSTART
	v_dot2_f32_f16 v84, v5, v13, v84
	;;#ASMEND
	s_nop 0
	;;#ASMSTART
	v_dot2_f32_f16 v84, v6, v14, v84
	;;#ASMEND
	s_nop 0
	;;#ASMSTART
	v_dot2_f32_f16 v84, v7, v15, v84
	;;#ASMEND
	;; [unrolled: 16-line block ×4, first 2 shown]
	ds_read_b128 v[4:7], v57 offset:144
	ds_read_b128 v[8:11], v48 offset:144
	;; [unrolled: 1-line block ×5, first 2 shown]
	s_waitcnt lgkmcnt(3)
	;;#ASMSTART
	v_dot2_f32_f16 v83, v4, v8, v83
	;;#ASMEND
	s_nop 0
	;;#ASMSTART
	v_dot2_f32_f16 v83, v5, v9, v83
	;;#ASMEND
	s_nop 0
	;;#ASMSTART
	v_dot2_f32_f16 v83, v6, v10, v83
	;;#ASMEND
	s_nop 0
	;;#ASMSTART
	v_dot2_f32_f16 v83, v7, v11, v83
	;;#ASMEND
	s_waitcnt lgkmcnt(2)
	;;#ASMSTART
	v_dot2_f32_f16 v84, v4, v12, v84
	;;#ASMEND
	s_nop 0
	;;#ASMSTART
	v_dot2_f32_f16 v84, v5, v13, v84
	;;#ASMEND
	s_nop 0
	;;#ASMSTART
	v_dot2_f32_f16 v84, v6, v14, v84
	;;#ASMEND
	s_nop 0
	;;#ASMSTART
	v_dot2_f32_f16 v84, v7, v15, v84
	;;#ASMEND
	;; [unrolled: 16-line block ×4, first 2 shown]
	ds_read_b128 v[4:7], v57 offset:160
	ds_read_b128 v[8:11], v48 offset:160
	;; [unrolled: 1-line block ×5, first 2 shown]
	s_waitcnt lgkmcnt(3)
	;;#ASMSTART
	v_dot2_f32_f16 v83, v4, v8, v83
	;;#ASMEND
	s_nop 0
	;;#ASMSTART
	v_dot2_f32_f16 v83, v5, v9, v83
	;;#ASMEND
	s_nop 0
	;;#ASMSTART
	v_dot2_f32_f16 v83, v6, v10, v83
	;;#ASMEND
	s_nop 0
	;;#ASMSTART
	v_dot2_f32_f16 v83, v7, v11, v83
	;;#ASMEND
	s_waitcnt lgkmcnt(2)
	;;#ASMSTART
	v_dot2_f32_f16 v84, v4, v12, v84
	;;#ASMEND
	s_nop 0
	;;#ASMSTART
	v_dot2_f32_f16 v84, v5, v13, v84
	;;#ASMEND
	s_nop 0
	;;#ASMSTART
	v_dot2_f32_f16 v84, v6, v14, v84
	;;#ASMEND
	s_nop 0
	;;#ASMSTART
	v_dot2_f32_f16 v84, v7, v15, v84
	;;#ASMEND
	;; [unrolled: 16-line block ×4, first 2 shown]
	ds_read_b128 v[4:7], v57 offset:176
	ds_read_b128 v[8:11], v48 offset:176
	;; [unrolled: 1-line block ×5, first 2 shown]
	s_waitcnt lgkmcnt(3)
	;;#ASMSTART
	v_dot2_f32_f16 v83, v4, v8, v83
	;;#ASMEND
	s_nop 0
	;;#ASMSTART
	v_dot2_f32_f16 v83, v5, v9, v83
	;;#ASMEND
	s_nop 0
	;;#ASMSTART
	v_dot2_f32_f16 v83, v6, v10, v83
	;;#ASMEND
	s_nop 0
	;;#ASMSTART
	v_dot2_f32_f16 v83, v7, v11, v83
	;;#ASMEND
	s_waitcnt lgkmcnt(2)
	;;#ASMSTART
	v_dot2_f32_f16 v84, v4, v12, v84
	;;#ASMEND
	s_nop 0
	;;#ASMSTART
	v_dot2_f32_f16 v84, v5, v13, v84
	;;#ASMEND
	s_nop 0
	;;#ASMSTART
	v_dot2_f32_f16 v84, v6, v14, v84
	;;#ASMEND
	s_nop 0
	;;#ASMSTART
	v_dot2_f32_f16 v84, v7, v15, v84
	;;#ASMEND
	;; [unrolled: 16-line block ×4, first 2 shown]
	ds_read_b128 v[4:7], v57 offset:192
	ds_read_b128 v[8:11], v48 offset:192
	;; [unrolled: 1-line block ×5, first 2 shown]
	s_waitcnt lgkmcnt(3)
	;;#ASMSTART
	v_dot2_f32_f16 v83, v4, v8, v83
	;;#ASMEND
	s_nop 0
	;;#ASMSTART
	v_dot2_f32_f16 v83, v5, v9, v83
	;;#ASMEND
	s_nop 0
	;;#ASMSTART
	v_dot2_f32_f16 v83, v6, v10, v83
	;;#ASMEND
	s_nop 0
	;;#ASMSTART
	v_dot2_f32_f16 v83, v7, v11, v83
	;;#ASMEND
	s_waitcnt lgkmcnt(2)
	;;#ASMSTART
	v_dot2_f32_f16 v84, v4, v12, v84
	;;#ASMEND
	s_nop 0
	;;#ASMSTART
	v_dot2_f32_f16 v84, v5, v13, v84
	;;#ASMEND
	s_nop 0
	;;#ASMSTART
	v_dot2_f32_f16 v84, v6, v14, v84
	;;#ASMEND
	s_nop 0
	;;#ASMSTART
	v_dot2_f32_f16 v84, v7, v15, v84
	;;#ASMEND
	;; [unrolled: 16-line block ×4, first 2 shown]
	ds_read_b128 v[4:7], v57 offset:208
	ds_read_b128 v[8:11], v48 offset:208
	ds_read_b128 v[12:15], v48 offset:720
	ds_read_b128 v[16:19], v48 offset:1232
	ds_read_b128 v[94:97], v48 offset:1744
	s_waitcnt lgkmcnt(3)
	;;#ASMSTART
	v_dot2_f32_f16 v83, v4, v8, v83
	;;#ASMEND
	s_nop 0
	;;#ASMSTART
	v_dot2_f32_f16 v83, v5, v9, v83
	;;#ASMEND
	s_nop 0
	;;#ASMSTART
	v_dot2_f32_f16 v83, v6, v10, v83
	;;#ASMEND
	s_nop 0
	;;#ASMSTART
	v_dot2_f32_f16 v83, v7, v11, v83
	;;#ASMEND
	s_waitcnt lgkmcnt(2)
	;;#ASMSTART
	v_dot2_f32_f16 v84, v4, v12, v84
	;;#ASMEND
	s_nop 0
	;;#ASMSTART
	v_dot2_f32_f16 v84, v5, v13, v84
	;;#ASMEND
	s_nop 0
	;;#ASMSTART
	v_dot2_f32_f16 v84, v6, v14, v84
	;;#ASMEND
	s_nop 0
	;;#ASMSTART
	v_dot2_f32_f16 v84, v7, v15, v84
	;;#ASMEND
	;; [unrolled: 16-line block ×4, first 2 shown]
	ds_read_b128 v[4:7], v57 offset:224
	ds_read_b128 v[8:11], v48 offset:224
	;; [unrolled: 1-line block ×5, first 2 shown]
	s_waitcnt lgkmcnt(3)
	;;#ASMSTART
	v_dot2_f32_f16 v83, v4, v8, v83
	;;#ASMEND
	s_nop 0
	;;#ASMSTART
	v_dot2_f32_f16 v83, v5, v9, v83
	;;#ASMEND
	s_nop 0
	;;#ASMSTART
	v_dot2_f32_f16 v83, v6, v10, v83
	;;#ASMEND
	s_nop 0
	;;#ASMSTART
	v_dot2_f32_f16 v83, v7, v11, v83
	;;#ASMEND
	s_waitcnt lgkmcnt(2)
	;;#ASMSTART
	v_dot2_f32_f16 v84, v4, v12, v84
	;;#ASMEND
	s_nop 0
	;;#ASMSTART
	v_dot2_f32_f16 v84, v5, v13, v84
	;;#ASMEND
	s_nop 0
	;;#ASMSTART
	v_dot2_f32_f16 v84, v6, v14, v84
	;;#ASMEND
	s_nop 0
	;;#ASMSTART
	v_dot2_f32_f16 v84, v7, v15, v84
	;;#ASMEND
	s_waitcnt lgkmcnt(1)
	;;#ASMSTART
	v_dot2_f32_f16 v85, v4, v16, v85
	;;#ASMEND
	s_nop 0
	;;#ASMSTART
	v_dot2_f32_f16 v85, v5, v17, v85
	;;#ASMEND
	s_nop 0
	;;#ASMSTART
	v_dot2_f32_f16 v85, v6, v18, v85
	;;#ASMEND
	s_nop 0
	;;#ASMSTART
	v_dot2_f32_f16 v85, v7, v19, v85
	;;#ASMEND
	s_waitcnt lgkmcnt(0)
	;;#ASMSTART
	v_dot2_f32_f16 v86, v4, v94, v86
	;;#ASMEND
	s_nop 0
	;;#ASMSTART
	v_dot2_f32_f16 v86, v5, v95, v86
	;;#ASMEND
	s_nop 0
	;;#ASMSTART
	v_dot2_f32_f16 v86, v6, v96, v86
	;;#ASMEND
	s_nop 0
	;;#ASMSTART
	v_dot2_f32_f16 v86, v7, v97, v86
	;;#ASMEND
	ds_read_b128 v[4:7], v57 offset:240
	ds_read_b128 v[94:97], v48 offset:240
	;; [unrolled: 1-line block ×5, first 2 shown]
	s_waitcnt lgkmcnt(3)
	;;#ASMSTART
	v_dot2_f32_f16 v83, v4, v94, v83
	;;#ASMEND
	s_nop 0
	;;#ASMSTART
	v_dot2_f32_f16 v83, v5, v95, v83
	;;#ASMEND
	v_lshlrev_b32_e32 v95, 2, v0
	;;#ASMSTART
	v_dot2_f32_f16 v83, v6, v96, v83
	;;#ASMEND
	v_lshlrev_b32_e32 v94, 2, v91
	;;#ASMSTART
	v_dot2_f32_f16 v83, v7, v97, v83
	;;#ASMEND
	s_waitcnt lgkmcnt(2)
	;;#ASMSTART
	v_dot2_f32_f16 v84, v4, v16, v84
	;;#ASMEND
	v_cndmask_b32_e32 v97, v33, v51, vcc
	;;#ASMSTART
	v_dot2_f32_f16 v84, v5, v17, v84
	;;#ASMEND
	v_cmp_lt_i32_e32 vcc, v50, v49
	;;#ASMSTART
	v_dot2_f32_f16 v84, v6, v18, v84
	;;#ASMEND
	v_max_f32_e32 v96, v87, v87
	;;#ASMSTART
	v_dot2_f32_f16 v84, v7, v19, v84
	;;#ASMEND
	s_waitcnt lgkmcnt(1)
	;;#ASMSTART
	v_dot2_f32_f16 v85, v4, v12, v85
	;;#ASMEND
	v_lshlrev_b32_e32 v92, 2, v97
	;;#ASMSTART
	v_dot2_f32_f16 v85, v5, v13, v85
	;;#ASMEND
	v_cndmask_b32_e32 v98, v33, v50, vcc
	;;#ASMSTART
	v_dot2_f32_f16 v85, v6, v14, v85
	;;#ASMEND
	v_lshlrev_b32_e32 v91, 2, v98
	;;#ASMSTART
	v_dot2_f32_f16 v85, v7, v15, v85
	;;#ASMEND
	s_waitcnt lgkmcnt(0)
	;;#ASMSTART
	v_dot2_f32_f16 v86, v4, v8, v86
	;;#ASMEND
	v_max_f32_e32 v98, v89, v89
	;;#ASMSTART
	v_dot2_f32_f16 v86, v5, v9, v86
	;;#ASMEND
	v_max_f32_e32 v97, v88, v88
	;;#ASMSTART
	v_dot2_f32_f16 v86, v6, v10, v86
	;;#ASMEND
	s_nop 0
	;;#ASMSTART
	v_dot2_f32_f16 v86, v7, v11, v86
	;;#ASMEND
	s_barrier
	global_load_dwordx4 v[0:3], v[42:43], off offset:256
	global_load_dwordx4 v[4:7], v[44:45], off offset:256
	s_waitcnt vmcnt(1)
	ds_write_b128 v55, v[0:3]
	s_waitcnt vmcnt(0)
	ds_write_b128 v56, v[4:7]
	s_waitcnt lgkmcnt(0)
	s_barrier
	ds_read_b128 v[0:3], v57
	ds_read_b128 v[4:7], v48 offset:256
	ds_read_b128 v[8:11], v48 offset:768
	;; [unrolled: 1-line block ×4, first 2 shown]
	s_waitcnt lgkmcnt(3)
	;;#ASMSTART
	v_dot2_f32_f16 v83, v0, v4, v83
	;;#ASMEND
	s_nop 0
	;;#ASMSTART
	v_dot2_f32_f16 v83, v1, v5, v83
	;;#ASMEND
	s_nop 0
	;;#ASMSTART
	v_dot2_f32_f16 v83, v2, v6, v83
	;;#ASMEND
	s_nop 0
	;;#ASMSTART
	v_dot2_f32_f16 v83, v3, v7, v83
	;;#ASMEND
	s_waitcnt lgkmcnt(2)
	;;#ASMSTART
	v_dot2_f32_f16 v84, v0, v8, v84
	;;#ASMEND
	s_nop 0
	;;#ASMSTART
	v_dot2_f32_f16 v84, v1, v9, v84
	;;#ASMEND
	s_nop 0
	;;#ASMSTART
	v_dot2_f32_f16 v84, v2, v10, v84
	;;#ASMEND
	s_nop 0
	;;#ASMSTART
	v_dot2_f32_f16 v84, v3, v11, v84
	;;#ASMEND
	;; [unrolled: 16-line block ×4, first 2 shown]
	ds_read_b128 v[0:3], v57 offset:16
	ds_read_b128 v[4:7], v48 offset:272
	;; [unrolled: 1-line block ×5, first 2 shown]
	s_waitcnt lgkmcnt(3)
	;;#ASMSTART
	v_dot2_f32_f16 v83, v0, v4, v83
	;;#ASMEND
	s_nop 0
	;;#ASMSTART
	v_dot2_f32_f16 v83, v1, v5, v83
	;;#ASMEND
	s_nop 0
	;;#ASMSTART
	v_dot2_f32_f16 v83, v2, v6, v83
	;;#ASMEND
	s_nop 0
	;;#ASMSTART
	v_dot2_f32_f16 v83, v3, v7, v83
	;;#ASMEND
	s_waitcnt lgkmcnt(2)
	;;#ASMSTART
	v_dot2_f32_f16 v84, v0, v8, v84
	;;#ASMEND
	s_nop 0
	;;#ASMSTART
	v_dot2_f32_f16 v84, v1, v9, v84
	;;#ASMEND
	s_nop 0
	;;#ASMSTART
	v_dot2_f32_f16 v84, v2, v10, v84
	;;#ASMEND
	s_nop 0
	;;#ASMSTART
	v_dot2_f32_f16 v84, v3, v11, v84
	;;#ASMEND
	;; [unrolled: 16-line block ×4, first 2 shown]
	ds_read_b128 v[0:3], v57 offset:32
	ds_read_b128 v[4:7], v48 offset:288
	ds_read_b128 v[8:11], v48 offset:800
	ds_read_b128 v[12:15], v48 offset:1312
	ds_read_b128 v[16:19], v48 offset:1824
	s_waitcnt lgkmcnt(3)
	;;#ASMSTART
	v_dot2_f32_f16 v83, v0, v4, v83
	;;#ASMEND
	s_nop 0
	;;#ASMSTART
	v_dot2_f32_f16 v83, v1, v5, v83
	;;#ASMEND
	s_nop 0
	;;#ASMSTART
	v_dot2_f32_f16 v83, v2, v6, v83
	;;#ASMEND
	s_nop 0
	;;#ASMSTART
	v_dot2_f32_f16 v83, v3, v7, v83
	;;#ASMEND
	s_waitcnt lgkmcnt(2)
	;;#ASMSTART
	v_dot2_f32_f16 v84, v0, v8, v84
	;;#ASMEND
	s_nop 0
	;;#ASMSTART
	v_dot2_f32_f16 v84, v1, v9, v84
	;;#ASMEND
	s_nop 0
	;;#ASMSTART
	v_dot2_f32_f16 v84, v2, v10, v84
	;;#ASMEND
	s_nop 0
	;;#ASMSTART
	v_dot2_f32_f16 v84, v3, v11, v84
	;;#ASMEND
	;; [unrolled: 16-line block ×4, first 2 shown]
	ds_read_b128 v[0:3], v57 offset:48
	ds_read_b128 v[4:7], v48 offset:304
	;; [unrolled: 1-line block ×5, first 2 shown]
	s_waitcnt lgkmcnt(3)
	;;#ASMSTART
	v_dot2_f32_f16 v83, v0, v4, v83
	;;#ASMEND
	s_nop 0
	;;#ASMSTART
	v_dot2_f32_f16 v83, v1, v5, v83
	;;#ASMEND
	s_nop 0
	;;#ASMSTART
	v_dot2_f32_f16 v83, v2, v6, v83
	;;#ASMEND
	s_nop 0
	;;#ASMSTART
	v_dot2_f32_f16 v83, v3, v7, v83
	;;#ASMEND
	s_waitcnt lgkmcnt(2)
	;;#ASMSTART
	v_dot2_f32_f16 v84, v0, v8, v84
	;;#ASMEND
	s_nop 0
	;;#ASMSTART
	v_dot2_f32_f16 v84, v1, v9, v84
	;;#ASMEND
	s_nop 0
	;;#ASMSTART
	v_dot2_f32_f16 v84, v2, v10, v84
	;;#ASMEND
	s_nop 0
	;;#ASMSTART
	v_dot2_f32_f16 v84, v3, v11, v84
	;;#ASMEND
	;; [unrolled: 16-line block ×4, first 2 shown]
	ds_read_b128 v[0:3], v57 offset:64
	ds_read_b128 v[4:7], v48 offset:320
	ds_read_b128 v[8:11], v48 offset:832
	ds_read_b128 v[12:15], v48 offset:1344
	ds_read_b128 v[16:19], v48 offset:1856
	s_waitcnt lgkmcnt(3)
	;;#ASMSTART
	v_dot2_f32_f16 v83, v0, v4, v83
	;;#ASMEND
	s_nop 0
	;;#ASMSTART
	v_dot2_f32_f16 v83, v1, v5, v83
	;;#ASMEND
	s_nop 0
	;;#ASMSTART
	v_dot2_f32_f16 v83, v2, v6, v83
	;;#ASMEND
	s_nop 0
	;;#ASMSTART
	v_dot2_f32_f16 v83, v3, v7, v83
	;;#ASMEND
	s_waitcnt lgkmcnt(2)
	;;#ASMSTART
	v_dot2_f32_f16 v84, v0, v8, v84
	;;#ASMEND
	s_nop 0
	;;#ASMSTART
	v_dot2_f32_f16 v84, v1, v9, v84
	;;#ASMEND
	s_nop 0
	;;#ASMSTART
	v_dot2_f32_f16 v84, v2, v10, v84
	;;#ASMEND
	s_nop 0
	;;#ASMSTART
	v_dot2_f32_f16 v84, v3, v11, v84
	;;#ASMEND
	;; [unrolled: 16-line block ×4, first 2 shown]
	ds_read_b128 v[0:3], v57 offset:80
	ds_read_b128 v[4:7], v48 offset:336
	ds_read_b128 v[8:11], v48 offset:848
	ds_read_b128 v[12:15], v48 offset:1360
	ds_read_b128 v[16:19], v48 offset:1872
	s_waitcnt lgkmcnt(3)
	;;#ASMSTART
	v_dot2_f32_f16 v83, v0, v4, v83
	;;#ASMEND
	s_nop 0
	;;#ASMSTART
	v_dot2_f32_f16 v83, v1, v5, v83
	;;#ASMEND
	s_nop 0
	;;#ASMSTART
	v_dot2_f32_f16 v83, v2, v6, v83
	;;#ASMEND
	s_nop 0
	;;#ASMSTART
	v_dot2_f32_f16 v83, v3, v7, v83
	;;#ASMEND
	s_waitcnt lgkmcnt(2)
	;;#ASMSTART
	v_dot2_f32_f16 v84, v0, v8, v84
	;;#ASMEND
	s_nop 0
	;;#ASMSTART
	v_dot2_f32_f16 v84, v1, v9, v84
	;;#ASMEND
	s_nop 0
	;;#ASMSTART
	v_dot2_f32_f16 v84, v2, v10, v84
	;;#ASMEND
	s_nop 0
	;;#ASMSTART
	v_dot2_f32_f16 v84, v3, v11, v84
	;;#ASMEND
	;; [unrolled: 16-line block ×4, first 2 shown]
	ds_read_b128 v[0:3], v57 offset:96
	ds_read_b128 v[4:7], v48 offset:352
	;; [unrolled: 1-line block ×5, first 2 shown]
	s_waitcnt lgkmcnt(3)
	;;#ASMSTART
	v_dot2_f32_f16 v83, v0, v4, v83
	;;#ASMEND
	s_nop 0
	;;#ASMSTART
	v_dot2_f32_f16 v83, v1, v5, v83
	;;#ASMEND
	s_nop 0
	;;#ASMSTART
	v_dot2_f32_f16 v83, v2, v6, v83
	;;#ASMEND
	s_nop 0
	;;#ASMSTART
	v_dot2_f32_f16 v83, v3, v7, v83
	;;#ASMEND
	s_waitcnt lgkmcnt(2)
	;;#ASMSTART
	v_dot2_f32_f16 v84, v0, v8, v84
	;;#ASMEND
	s_nop 0
	;;#ASMSTART
	v_dot2_f32_f16 v84, v1, v9, v84
	;;#ASMEND
	s_nop 0
	;;#ASMSTART
	v_dot2_f32_f16 v84, v2, v10, v84
	;;#ASMEND
	s_nop 0
	;;#ASMSTART
	v_dot2_f32_f16 v84, v3, v11, v84
	;;#ASMEND
	;; [unrolled: 16-line block ×4, first 2 shown]
	ds_read_b128 v[0:3], v57 offset:112
	ds_read_b128 v[4:7], v48 offset:368
	;; [unrolled: 1-line block ×5, first 2 shown]
	s_waitcnt lgkmcnt(3)
	;;#ASMSTART
	v_dot2_f32_f16 v83, v0, v4, v83
	;;#ASMEND
	s_nop 0
	;;#ASMSTART
	v_dot2_f32_f16 v83, v1, v5, v83
	;;#ASMEND
	s_nop 0
	;;#ASMSTART
	v_dot2_f32_f16 v83, v2, v6, v83
	;;#ASMEND
	s_nop 0
	;;#ASMSTART
	v_dot2_f32_f16 v83, v3, v7, v83
	;;#ASMEND
	s_waitcnt lgkmcnt(2)
	;;#ASMSTART
	v_dot2_f32_f16 v84, v0, v8, v84
	;;#ASMEND
	s_nop 0
	;;#ASMSTART
	v_dot2_f32_f16 v84, v1, v9, v84
	;;#ASMEND
	s_nop 0
	;;#ASMSTART
	v_dot2_f32_f16 v84, v2, v10, v84
	;;#ASMEND
	s_nop 0
	;;#ASMSTART
	v_dot2_f32_f16 v84, v3, v11, v84
	;;#ASMEND
	;; [unrolled: 16-line block ×4, first 2 shown]
	ds_read_b128 v[0:3], v57 offset:128
	ds_read_b128 v[4:7], v48 offset:384
	;; [unrolled: 1-line block ×5, first 2 shown]
	s_waitcnt lgkmcnt(3)
	;;#ASMSTART
	v_dot2_f32_f16 v83, v0, v4, v83
	;;#ASMEND
	s_nop 0
	;;#ASMSTART
	v_dot2_f32_f16 v83, v1, v5, v83
	;;#ASMEND
	s_nop 0
	;;#ASMSTART
	v_dot2_f32_f16 v83, v2, v6, v83
	;;#ASMEND
	s_nop 0
	;;#ASMSTART
	v_dot2_f32_f16 v83, v3, v7, v83
	;;#ASMEND
	s_waitcnt lgkmcnt(2)
	;;#ASMSTART
	v_dot2_f32_f16 v84, v0, v8, v84
	;;#ASMEND
	s_nop 0
	;;#ASMSTART
	v_dot2_f32_f16 v84, v1, v9, v84
	;;#ASMEND
	s_nop 0
	;;#ASMSTART
	v_dot2_f32_f16 v84, v2, v10, v84
	;;#ASMEND
	s_nop 0
	;;#ASMSTART
	v_dot2_f32_f16 v84, v3, v11, v84
	;;#ASMEND
	;; [unrolled: 16-line block ×4, first 2 shown]
	ds_read_b128 v[0:3], v57 offset:144
	ds_read_b128 v[4:7], v48 offset:400
	;; [unrolled: 1-line block ×5, first 2 shown]
	s_waitcnt lgkmcnt(3)
	;;#ASMSTART
	v_dot2_f32_f16 v83, v0, v4, v83
	;;#ASMEND
	s_nop 0
	;;#ASMSTART
	v_dot2_f32_f16 v83, v1, v5, v83
	;;#ASMEND
	s_nop 0
	;;#ASMSTART
	v_dot2_f32_f16 v83, v2, v6, v83
	;;#ASMEND
	s_nop 0
	;;#ASMSTART
	v_dot2_f32_f16 v83, v3, v7, v83
	;;#ASMEND
	s_waitcnt lgkmcnt(2)
	;;#ASMSTART
	v_dot2_f32_f16 v84, v0, v8, v84
	;;#ASMEND
	s_nop 0
	;;#ASMSTART
	v_dot2_f32_f16 v84, v1, v9, v84
	;;#ASMEND
	s_nop 0
	;;#ASMSTART
	v_dot2_f32_f16 v84, v2, v10, v84
	;;#ASMEND
	s_nop 0
	;;#ASMSTART
	v_dot2_f32_f16 v84, v3, v11, v84
	;;#ASMEND
	;; [unrolled: 16-line block ×4, first 2 shown]
	ds_read_b128 v[0:3], v57 offset:160
	ds_read_b128 v[4:7], v48 offset:416
	;; [unrolled: 1-line block ×5, first 2 shown]
	s_waitcnt lgkmcnt(3)
	;;#ASMSTART
	v_dot2_f32_f16 v83, v0, v4, v83
	;;#ASMEND
	s_nop 0
	;;#ASMSTART
	v_dot2_f32_f16 v83, v1, v5, v83
	;;#ASMEND
	s_nop 0
	;;#ASMSTART
	v_dot2_f32_f16 v83, v2, v6, v83
	;;#ASMEND
	s_nop 0
	;;#ASMSTART
	v_dot2_f32_f16 v83, v3, v7, v83
	;;#ASMEND
	s_waitcnt lgkmcnt(2)
	;;#ASMSTART
	v_dot2_f32_f16 v84, v0, v8, v84
	;;#ASMEND
	s_nop 0
	;;#ASMSTART
	v_dot2_f32_f16 v84, v1, v9, v84
	;;#ASMEND
	s_nop 0
	;;#ASMSTART
	v_dot2_f32_f16 v84, v2, v10, v84
	;;#ASMEND
	s_nop 0
	;;#ASMSTART
	v_dot2_f32_f16 v84, v3, v11, v84
	;;#ASMEND
	;; [unrolled: 16-line block ×4, first 2 shown]
	ds_read_b128 v[0:3], v57 offset:176
	ds_read_b128 v[4:7], v48 offset:432
	;; [unrolled: 1-line block ×5, first 2 shown]
	s_waitcnt lgkmcnt(3)
	;;#ASMSTART
	v_dot2_f32_f16 v83, v0, v4, v83
	;;#ASMEND
	s_nop 0
	;;#ASMSTART
	v_dot2_f32_f16 v83, v1, v5, v83
	;;#ASMEND
	s_nop 0
	;;#ASMSTART
	v_dot2_f32_f16 v83, v2, v6, v83
	;;#ASMEND
	s_nop 0
	;;#ASMSTART
	v_dot2_f32_f16 v83, v3, v7, v83
	;;#ASMEND
	s_waitcnt lgkmcnt(2)
	;;#ASMSTART
	v_dot2_f32_f16 v84, v0, v8, v84
	;;#ASMEND
	s_nop 0
	;;#ASMSTART
	v_dot2_f32_f16 v84, v1, v9, v84
	;;#ASMEND
	s_nop 0
	;;#ASMSTART
	v_dot2_f32_f16 v84, v2, v10, v84
	;;#ASMEND
	s_nop 0
	;;#ASMSTART
	v_dot2_f32_f16 v84, v3, v11, v84
	;;#ASMEND
	s_waitcnt lgkmcnt(1)
	;;#ASMSTART
	v_dot2_f32_f16 v85, v0, v12, v85
	;;#ASMEND
	s_nop 0
	;;#ASMSTART
	v_dot2_f32_f16 v85, v1, v13, v85
	;;#ASMEND
	s_nop 0
	;;#ASMSTART
	v_dot2_f32_f16 v85, v2, v14, v85
	;;#ASMEND
	s_nop 0
	;;#ASMSTART
	v_dot2_f32_f16 v85, v3, v15, v85
	;;#ASMEND
	s_waitcnt lgkmcnt(0)
	;;#ASMSTART
	v_dot2_f32_f16 v86, v0, v16, v86
	;;#ASMEND
	s_nop 0
	;;#ASMSTART
	v_dot2_f32_f16 v86, v1, v17, v86
	;;#ASMEND
	s_nop 0
	;;#ASMSTART
	v_dot2_f32_f16 v86, v2, v18, v86
	;;#ASMEND
	s_nop 0
	;;#ASMSTART
	v_dot2_f32_f16 v86, v3, v19, v86
	;;#ASMEND
	ds_read_b128 v[0:3], v57 offset:192
	ds_read_b128 v[4:7], v48 offset:448
	;; [unrolled: 1-line block ×5, first 2 shown]
	s_waitcnt lgkmcnt(3)
	;;#ASMSTART
	v_dot2_f32_f16 v83, v0, v4, v83
	;;#ASMEND
	s_nop 0
	;;#ASMSTART
	v_dot2_f32_f16 v83, v1, v5, v83
	;;#ASMEND
	s_nop 0
	;;#ASMSTART
	v_dot2_f32_f16 v83, v2, v6, v83
	;;#ASMEND
	s_nop 0
	;;#ASMSTART
	v_dot2_f32_f16 v83, v3, v7, v83
	;;#ASMEND
	s_waitcnt lgkmcnt(2)
	;;#ASMSTART
	v_dot2_f32_f16 v84, v0, v8, v84
	;;#ASMEND
	s_nop 0
	;;#ASMSTART
	v_dot2_f32_f16 v84, v1, v9, v84
	;;#ASMEND
	s_nop 0
	;;#ASMSTART
	v_dot2_f32_f16 v84, v2, v10, v84
	;;#ASMEND
	s_nop 0
	;;#ASMSTART
	v_dot2_f32_f16 v84, v3, v11, v84
	;;#ASMEND
	;; [unrolled: 16-line block ×4, first 2 shown]
	ds_read_b128 v[0:3], v57 offset:208
	ds_read_b128 v[4:7], v48 offset:464
	;; [unrolled: 1-line block ×5, first 2 shown]
	s_waitcnt lgkmcnt(3)
	;;#ASMSTART
	v_dot2_f32_f16 v83, v0, v4, v83
	;;#ASMEND
	s_nop 0
	;;#ASMSTART
	v_dot2_f32_f16 v83, v1, v5, v83
	;;#ASMEND
	s_nop 0
	;;#ASMSTART
	v_dot2_f32_f16 v83, v2, v6, v83
	;;#ASMEND
	s_nop 0
	;;#ASMSTART
	v_dot2_f32_f16 v83, v3, v7, v83
	;;#ASMEND
	s_waitcnt lgkmcnt(2)
	;;#ASMSTART
	v_dot2_f32_f16 v84, v0, v8, v84
	;;#ASMEND
	s_nop 0
	;;#ASMSTART
	v_dot2_f32_f16 v84, v1, v9, v84
	;;#ASMEND
	s_nop 0
	;;#ASMSTART
	v_dot2_f32_f16 v84, v2, v10, v84
	;;#ASMEND
	s_nop 0
	;;#ASMSTART
	v_dot2_f32_f16 v84, v3, v11, v84
	;;#ASMEND
	;; [unrolled: 16-line block ×4, first 2 shown]
	ds_read_b128 v[0:3], v57 offset:224
	ds_read_b128 v[4:7], v48 offset:480
	;; [unrolled: 1-line block ×5, first 2 shown]
	s_waitcnt lgkmcnt(3)
	;;#ASMSTART
	v_dot2_f32_f16 v83, v0, v4, v83
	;;#ASMEND
	s_nop 0
	;;#ASMSTART
	v_dot2_f32_f16 v83, v1, v5, v83
	;;#ASMEND
	s_nop 0
	;;#ASMSTART
	v_dot2_f32_f16 v83, v2, v6, v83
	;;#ASMEND
	s_nop 0
	;;#ASMSTART
	v_dot2_f32_f16 v83, v3, v7, v83
	;;#ASMEND
	s_waitcnt lgkmcnt(2)
	;;#ASMSTART
	v_dot2_f32_f16 v84, v0, v8, v84
	;;#ASMEND
	s_nop 0
	;;#ASMSTART
	v_dot2_f32_f16 v84, v1, v9, v84
	;;#ASMEND
	s_nop 0
	;;#ASMSTART
	v_dot2_f32_f16 v84, v2, v10, v84
	;;#ASMEND
	s_nop 0
	;;#ASMSTART
	v_dot2_f32_f16 v84, v3, v11, v84
	;;#ASMEND
	;; [unrolled: 16-line block ×4, first 2 shown]
	ds_read_b128 v[0:3], v57 offset:240
	ds_read_b128 v[16:19], v48 offset:496
	ds_read_b128 v[12:15], v48 offset:1008
	ds_read_b128 v[8:11], v48 offset:1520
	ds_read_b128 v[4:7], v48 offset:2032
	s_waitcnt lgkmcnt(3)
	;;#ASMSTART
	v_dot2_f32_f16 v83, v0, v16, v83
	;;#ASMEND
	s_nop 0
	;;#ASMSTART
	v_dot2_f32_f16 v83, v1, v17, v83
	;;#ASMEND
	v_lshl_add_u64 v[16:17], v[40:41], 1, s[36:37]
	;;#ASMSTART
	v_dot2_f32_f16 v83, v2, v18, v83
	;;#ASMEND
	v_max_f32_e32 v18, v90, v90
	;;#ASMSTART
	v_dot2_f32_f16 v83, v3, v19, v83
	;;#ASMEND
	s_waitcnt lgkmcnt(2)
	;;#ASMSTART
	v_dot2_f32_f16 v84, v0, v12, v84
	;;#ASMEND
	v_lshl_add_u64 v[40:41], s[4:5], 0, v[36:37]
	;;#ASMSTART
	v_dot2_f32_f16 v84, v1, v13, v84
	;;#ASMEND
	v_lshl_add_u64 v[12:13], s[4:5], 0, v[38:39]
	;;#ASMSTART
	v_dot2_f32_f16 v84, v2, v14, v84
	;;#ASMEND
	s_mul_hi_i32 s5, s6, s28
	;;#ASMSTART
	v_dot2_f32_f16 v84, v3, v15, v84
	;;#ASMEND
	s_waitcnt lgkmcnt(1)
	;;#ASMSTART
	v_dot2_f32_f16 v85, v0, v8, v85
	;;#ASMEND
	v_lshl_add_u64 v[14:15], v[40:41], 0, v[34:35]
	;;#ASMSTART
	v_dot2_f32_f16 v85, v1, v9, v85
	;;#ASMEND
	v_lshl_add_u64 v[40:41], v[12:13], 0, v[34:35]
	;;#ASMSTART
	v_dot2_f32_f16 v85, v2, v10, v85
	;;#ASMEND
	s_mul_i32 s4, s6, s28
	;;#ASMSTART
	v_dot2_f32_f16 v85, v3, v11, v85
	;;#ASMEND
	s_waitcnt lgkmcnt(0)
	;;#ASMSTART
	v_dot2_f32_f16 v86, v0, v4, v86
	;;#ASMEND
	s_lshl_b64 s[4:5], s[4:5], 2
	;;#ASMSTART
	v_dot2_f32_f16 v86, v1, v5, v86
	;;#ASMEND
	s_add_u32 s22, s40, s4
	;;#ASMSTART
	v_dot2_f32_f16 v86, v2, v6, v86
	;;#ASMEND
	s_addc_u32 s23, s41, s5
	;;#ASMSTART
	v_dot2_f32_f16 v86, v3, v7, v86
	;;#ASMEND
	global_load_ushort v0, v[16:17], off
	s_barrier
	global_load_dwordx4 v[4:7], v[14:15], off
	v_lshl_add_u64 v[12:13], s[22:23], 0, v[36:37]
	s_waitcnt vmcnt(1)
	v_cvt_f32_f16_e32 v0, v0
	v_add_f32_e32 v10, v85, v0
	v_add_f32_e32 v11, v86, v0
	;; [unrolled: 1-line block ×5, first 2 shown]
	v_max_f32_e32 v2, v98, v2
	v_add_f32_e32 v9, v84, v0
	v_add_f32_e32 v0, 0x40051340, v8
	v_max_f32_e32 v3, v18, v3
	ds_bpermute_b32 v16, v95, v2
	v_add_f32_e32 v1, 0x40051340, v9
	v_max_f32_e32 v0, v96, v0
	ds_bpermute_b32 v17, v95, v3
	v_max_f32_e32 v1, v97, v1
	ds_bpermute_b32 v14, v95, v0
	ds_bpermute_b32 v15, v95, v1
	s_waitcnt lgkmcnt(3)
	v_max_f32_e32 v16, v16, v16
	s_waitcnt lgkmcnt(2)
	v_max_f32_e32 v17, v17, v17
	v_max_f32_e32 v2, v2, v16
	s_waitcnt lgkmcnt(1)
	v_max_f32_e32 v14, v14, v14
	v_max_f32_e32 v3, v3, v17
	ds_bpermute_b32 v16, v94, v2
	s_waitcnt lgkmcnt(1)
	v_max_f32_e32 v15, v15, v15
	v_max_f32_e32 v0, v0, v14
	ds_bpermute_b32 v17, v94, v3
	v_max_f32_e32 v1, v1, v15
	ds_bpermute_b32 v14, v94, v0
	ds_bpermute_b32 v15, v94, v1
	s_waitcnt lgkmcnt(3)
	v_max_f32_e32 v16, v16, v16
	s_waitcnt lgkmcnt(2)
	v_max_f32_e32 v17, v17, v17
	v_max_f32_e32 v2, v2, v16
	s_waitcnt lgkmcnt(1)
	v_max_f32_e32 v14, v14, v14
	v_max_f32_e32 v3, v3, v17
	ds_bpermute_b32 v16, v93, v2
	s_waitcnt lgkmcnt(1)
	v_max_f32_e32 v15, v15, v15
	;; [unrolled: 16-line block ×4, first 2 shown]
	v_max_f32_e32 v0, v0, v14
	ds_bpermute_b32 v17, v91, v3
	v_max_f32_e32 v1, v1, v15
	ds_bpermute_b32 v14, v91, v0
	ds_bpermute_b32 v15, v91, v1
	s_waitcnt lgkmcnt(3)
	v_max_f32_e32 v16, v16, v16
	s_waitcnt lgkmcnt(2)
	v_max_f32_e32 v17, v17, v17
	v_max_f32_e32 v2, v2, v16
	s_waitcnt lgkmcnt(1)
	v_max_f32_e32 v14, v14, v14
	v_max_f32_e32 v3, v3, v17
	v_sub_f32_e32 v16, v10, v2
	s_waitcnt lgkmcnt(0)
	v_max_f32_e32 v15, v15, v15
	v_max_f32_e32 v0, v0, v14
	v_sub_f32_e32 v17, v11, v3
	v_mul_f32_e32 v10, 0x3fb8aa3b, v16
	v_max_f32_e32 v1, v1, v15
	v_sub_f32_e32 v18, v87, v0
	v_mul_f32_e32 v11, 0x3fb8aa3b, v17
	v_fma_f32 v87, v16, s42, -v10
	v_rndne_f32_e32 v91, v10
	v_sub_f32_e32 v14, v8, v0
	v_sub_f32_e32 v15, v9, v1
	;; [unrolled: 1-line block ×3, first 2 shown]
	v_mul_f32_e32 v44, 0x3fb8aa3b, v18
	v_fma_f32 v88, v17, s42, -v11
	v_rndne_f32_e32 v92, v11
	v_fmac_f32_e32 v87, 0x32a5705f, v16
	v_sub_f32_e32 v10, v10, v91
	v_mul_f32_e32 v8, 0x3fb8aa3b, v14
	v_mul_f32_e32 v9, 0x3fb8aa3b, v15
	;; [unrolled: 1-line block ×3, first 2 shown]
	v_fma_f32 v93, v18, s42, -v44
	v_add_f32_e32 v87, v10, v87
	v_rndne_f32_e32 v95, v44
	v_fmac_f32_e32 v88, 0x32a5705f, v17
	v_sub_f32_e32 v10, v11, v92
	v_sub_f32_e32 v42, v89, v2
	;; [unrolled: 1-line block ×3, first 2 shown]
	v_fma_f32 v85, v14, s42, -v8
	v_fma_f32 v86, v15, s42, -v9
	v_rndne_f32_e32 v89, v8
	v_rndne_f32_e32 v90, v9
	v_fma_f32 v94, v19, s42, -v45
	v_add_f32_e32 v88, v10, v88
	v_rndne_f32_e32 v96, v45
	v_fmac_f32_e32 v93, 0x32a5705f, v18
	v_sub_f32_e32 v10, v44, v95
	v_mul_f32_e32 v83, 0x3fb8aa3b, v42
	v_mul_f32_e32 v84, 0x3fb8aa3b, v43
	v_fmac_f32_e32 v85, 0x32a5705f, v14
	v_sub_f32_e32 v8, v8, v89
	v_fmac_f32_e32 v86, 0x32a5705f, v15
	v_sub_f32_e32 v9, v9, v90
	v_add_f32_e32 v44, v10, v93
	v_fmac_f32_e32 v94, 0x32a5705f, v19
	v_sub_f32_e32 v10, v45, v96
	v_add_f32_e32 v85, v8, v85
	v_fma_f32 v8, v42, s42, -v83
	v_add_f32_e32 v86, v9, v86
	v_fma_f32 v9, v43, s42, -v84
	v_rndne_f32_e32 v93, v83
	v_add_f32_e32 v45, v10, v94
	v_rndne_f32_e32 v94, v84
	v_fmac_f32_e32 v8, 0x32a5705f, v42
	v_fmac_f32_e32 v9, 0x32a5705f, v43
	v_sub_f32_e32 v10, v83, v93
	v_sub_f32_e32 v11, v84, v94
	v_add_f32_e32 v83, v10, v8
	v_add_f32_e32 v84, v11, v9
	global_load_dwordx4 v[8:11], v[40:41], off
	v_cvt_i32_f32_e32 v40, v89
	v_cvt_i32_f32_e32 v41, v90
	;; [unrolled: 1-line block ×6, first 2 shown]
	v_exp_f32_e32 v85, v85
	v_exp_f32_e32 v86, v86
	;; [unrolled: 1-line block ×5, first 2 shown]
	v_cvt_i32_f32_e32 v90, v92
	v_cvt_i32_f32_e32 v92, v96
	v_exp_f32_e32 v45, v45
	v_exp_f32_e32 v87, v87
	;; [unrolled: 1-line block ×3, first 2 shown]
	v_ldexp_f32 v40, v85, v40
	v_cmp_ngt_f32_e32 vcc, s43, v14
	v_ldexp_f32 v41, v86, v41
	v_ldexp_f32 v44, v44, v91
	v_cmp_ngt_f32_e64 s[10:11], s43, v18
	v_ldexp_f32 v83, v83, v93
	v_cmp_ngt_f32_e64 s[12:13], s43, v42
	;; [unrolled: 2-line block ×3, first 2 shown]
	v_cmp_ngt_f32_e64 s[16:17], s43, v15
	v_ldexp_f32 v45, v45, v92
	v_cmp_ngt_f32_e64 s[8:9], s43, v19
	v_cndmask_b32_e64 v41, 0, v41, s[16:17]
	v_cmp_nlt_f32_e64 s[16:17], s44, v15
	v_cndmask_b32_e32 v15, 0, v40, vcc
	v_cmp_nlt_f32_e32 vcc, s44, v19
	v_cndmask_b32_e64 v19, 0, v44, s[10:11]
	v_cndmask_b32_e64 v44, 0, v83, s[12:13]
	v_cmp_nlt_f32_e64 s[10:11], s44, v42
	v_cndmask_b32_e64 v42, 0, v84, s[14:15]
	v_cmp_nlt_f32_e64 s[12:13], s44, v43
	v_cmp_nlt_f32_e64 s[14:15], s44, v14
	v_cndmask_b32_e64 v40, 0, v45, s[8:9]
	v_cmp_nlt_f32_e64 s[8:9], s44, v18
	v_cndmask_b32_e64 v14, v61, v15, s[14:15]
	v_cndmask_b32_e64 v15, v61, v41, s[16:17]
	;; [unrolled: 1-line block ×3, first 2 shown]
	v_ldexp_f32 v85, v87, v89
	v_cmp_ngt_f32_e64 s[4:5], s43, v16
	v_ldexp_f32 v87, v88, v90
	v_cmp_ngt_f32_e64 s[6:7], s43, v17
	v_cndmask_b32_e64 v18, v61, v19, s[8:9]
	v_cndmask_b32_e32 v19, v61, v40, vcc
	v_cndmask_b32_e64 v40, v61, v44, s[10:11]
	v_cvt_f16_f32_e32 v45, v41
	v_cndmask_b32_e64 v85, 0, v85, s[4:5]
	v_cmp_nlt_f32_e64 s[4:5], s44, v16
	v_cndmask_b32_e64 v86, 0, v87, s[6:7]
	v_cmp_nlt_f32_e64 s[6:7], s44, v17
	v_pk_fma_f32 v[24:25], v[24:25], v[18:19], v[14:15]
	v_cvt_f16_f32_e32 v18, v18
	v_cvt_f16_f32_e32 v19, v19
	;; [unrolled: 1-line block ×3, first 2 shown]
	v_cndmask_b32_e64 v16, v61, v85, s[4:5]
	v_cndmask_b32_e64 v17, v61, v86, s[6:7]
	v_cvt_pk_f16_f32 v43, v16, v17
	v_cvt_pk_f16_f32 v42, v14, v15
	v_pk_fma_f32 v[22:23], v[22:23], v[40:41], v[16:17]
	ds_write_b64 v62, v[42:43]
	s_waitcnt vmcnt(1)
	ds_write_b128 v59, v[4:7]
	s_waitcnt vmcnt(0)
	ds_write_b128 v60, v[8:11]
	s_waitcnt lgkmcnt(0)
	s_barrier
	ds_read_b128 v[4:7], v58
	ds_read2_b64 v[8:11], v63 offset1:32
	ds_read2_b64 v[14:17], v63 offset0:64 offset1:96
	ds_read_b128 v[40:43], v58 offset:16
	ds_read2_b64 v[84:87], v63 offset0:128 offset1:160
	v_mul_u32_u24_e32 v45, 0x10001, v45
	s_waitcnt lgkmcnt(4)
	v_mul_u32_u24_sdwa v83, v5, s45 dst_sel:DWORD dst_unused:UNUSED_PAD src0_sel:WORD_1 src1_sel:DWORD
	v_mul_u32_u24_sdwa v88, v4, s45 dst_sel:DWORD dst_unused:UNUSED_PAD src0_sel:WORD_0 src1_sel:DWORD
	v_mul_u32_u24_sdwa v89, v4, s45 dst_sel:DWORD dst_unused:UNUSED_PAD src0_sel:WORD_1 src1_sel:DWORD
	v_mul_u32_u24_sdwa v90, v5, s45 dst_sel:DWORD dst_unused:UNUSED_PAD src0_sel:WORD_0 src1_sel:DWORD
	v_mul_u32_u24_sdwa v91, v6, s45 dst_sel:DWORD dst_unused:UNUSED_PAD src0_sel:WORD_0 src1_sel:DWORD
	v_mul_u32_u24_sdwa v92, v6, s45 dst_sel:DWORD dst_unused:UNUSED_PAD src0_sel:WORD_1 src1_sel:DWORD
	v_mul_u32_u24_sdwa v93, v7, s45 dst_sel:DWORD dst_unused:UNUSED_PAD src0_sel:WORD_0 src1_sel:DWORD
	v_mul_u32_u24_sdwa v94, v7, s45 dst_sel:DWORD dst_unused:UNUSED_PAD src0_sel:WORD_1 src1_sel:DWORD
	ds_read2_b64 v[4:7], v63 offset0:192 offset1:224
	v_mul_u32_u24_e32 v18, 0x10001, v18
	v_mul_u32_u24_e32 v19, 0x10001, v19
	;; [unrolled: 1-line block ×3, first 2 shown]
	v_pk_mul_f16 v70, v70, v45
	v_pk_mul_f16 v69, v69, v45
	;; [unrolled: 1-line block ×13, first 2 shown]
	s_waitcnt lgkmcnt(4)
	v_pk_fma_f16 v82, v8, v83, v70
	v_pk_fma_f16 v95, v9, v83, v69
	;; [unrolled: 1-line block ×3, first 2 shown]
	v_pk_mul_f16 v68, v8, v88
	v_pk_mul_f16 v69, v8, v89
	;; [unrolled: 1-line block ×3, first 2 shown]
	v_pk_fma_f16 v45, v11, v83, v45
	v_pk_fma_f16 v67, v9, v88, v67
	;; [unrolled: 1-line block ×13, first 2 shown]
	ds_read_b128 v[8:11], v58 offset:32
	s_waitcnt lgkmcnt(4)
	v_pk_fma_f16 v75, v14, v94, v82
	v_pk_fma_f16 v82, v15, v94, v95
	;; [unrolled: 1-line block ×16, first 2 shown]
	s_waitcnt lgkmcnt(3)
	v_mul_u32_u24_sdwa v91, v40, s45 dst_sel:DWORD dst_unused:UNUSED_PAD src0_sel:WORD_0 src1_sel:DWORD
	v_mul_u32_u24_sdwa v40, v40, s45 dst_sel:DWORD dst_unused:UNUSED_PAD src0_sel:WORD_1 src1_sel:DWORD
	v_mul_u32_u24_sdwa v92, v41, s45 dst_sel:DWORD dst_unused:UNUSED_PAD src0_sel:WORD_1 src1_sel:DWORD
	v_mul_u32_u24_sdwa v41, v41, s45 dst_sel:DWORD dst_unused:UNUSED_PAD src0_sel:WORD_0 src1_sel:DWORD
	ds_read2_b64 v[76:79], v64 offset1:32
	s_waitcnt lgkmcnt(3)
	v_pk_fma_f16 v93, v84, v92, v75
	v_pk_fma_f16 v82, v85, v92, v82
	;; [unrolled: 1-line block ×16, first 2 shown]
	v_mul_u32_u24_sdwa v84, v42, s45 dst_sel:DWORD dst_unused:UNUSED_PAD src0_sel:WORD_0 src1_sel:DWORD
	v_mul_u32_u24_sdwa v91, v42, s45 dst_sel:DWORD dst_unused:UNUSED_PAD src0_sel:WORD_1 src1_sel:DWORD
	v_mul_u32_u24_sdwa v92, v43, s45 dst_sel:DWORD dst_unused:UNUSED_PAD src0_sel:WORD_0 src1_sel:DWORD
	v_mul_u32_u24_sdwa v94, v43, s45 dst_sel:DWORD dst_unused:UNUSED_PAD src0_sel:WORD_1 src1_sel:DWORD
	ds_read2_b64 v[68:71], v64 offset0:64 offset1:96
	s_waitcnt lgkmcnt(3)
	v_pk_fma_f16 v93, v4, v94, v93
	v_pk_fma_f16 v82, v5, v94, v82
	;; [unrolled: 1-line block ×16, first 2 shown]
	ds_read_b128 v[4:7], v58 offset:64
	ds_read_b128 v[14:17], v58 offset:48
	s_waitcnt lgkmcnt(4)
	v_mul_u32_u24_sdwa v94, v8, s45 dst_sel:DWORD dst_unused:UNUSED_PAD src0_sel:WORD_0 src1_sel:DWORD
	v_mul_u32_u24_sdwa v8, v8, s45 dst_sel:DWORD dst_unused:UNUSED_PAD src0_sel:WORD_1 src1_sel:DWORD
	v_mul_u32_u24_sdwa v90, v9, s45 dst_sel:DWORD dst_unused:UNUSED_PAD src0_sel:WORD_1 src1_sel:DWORD
	v_mul_u32_u24_sdwa v9, v9, s45 dst_sel:DWORD dst_unused:UNUSED_PAD src0_sel:WORD_0 src1_sel:DWORD
	ds_read2_b64 v[72:75], v64 offset0:128 offset1:160
	v_mul_u32_u24_sdwa v91, v10, s45 dst_sel:DWORD dst_unused:UNUSED_PAD src0_sel:WORD_0 src1_sel:DWORD
	v_mul_u32_u24_sdwa v92, v10, s45 dst_sel:DWORD dst_unused:UNUSED_PAD src0_sel:WORD_1 src1_sel:DWORD
	v_mul_u32_u24_sdwa v95, v11, s45 dst_sel:DWORD dst_unused:UNUSED_PAD src0_sel:WORD_0 src1_sel:DWORD
	v_mul_u32_u24_sdwa v96, v11, s45 dst_sel:DWORD dst_unused:UNUSED_PAD src0_sel:WORD_1 src1_sel:DWORD
	s_waitcnt lgkmcnt(4)
	v_pk_fma_f16 v93, v76, v90, v93
	v_pk_fma_f16 v82, v77, v90, v82
	;; [unrolled: 1-line block ×16, first 2 shown]
	ds_read2_b64 v[40:43], v64 offset0:192 offset1:224
	ds_read_b128 v[8:11], v58 offset:80
	s_waitcnt lgkmcnt(5)
	v_pk_fma_f16 v86, v68, v96, v93
	v_pk_fma_f16 v82, v69, v96, v82
	;; [unrolled: 1-line block ×4, first 2 shown]
	s_waitcnt lgkmcnt(4)
	v_mul_u32_u24_sdwa v89, v4, s45 dst_sel:DWORD dst_unused:UNUSED_PAD src0_sel:WORD_0 src1_sel:DWORD
	v_pk_fma_f16 v67, v69, v91, v67
	v_pk_fma_f16 v81, v70, v91, v81
	;; [unrolled: 1-line block ×4, first 2 shown]
	v_mul_u32_u24_sdwa v91, v4, s45 dst_sel:DWORD dst_unused:UNUSED_PAD src0_sel:WORD_1 src1_sel:DWORD
	v_pk_fma_f16 v83, v69, v92, v83
	v_pk_fma_f16 v84, v70, v92, v84
	;; [unrolled: 1-line block ×4, first 2 shown]
	v_mul_u32_u24_sdwa v92, v5, s45 dst_sel:DWORD dst_unused:UNUSED_PAD src0_sel:WORD_1 src1_sel:DWORD
	v_pk_fma_f16 v69, v69, v95, v77
	v_pk_fma_f16 v70, v70, v95, v78
	;; [unrolled: 1-line block ×4, first 2 shown]
	v_mul_u32_u24_sdwa v68, v5, s45 dst_sel:DWORD dst_unused:UNUSED_PAD src0_sel:WORD_0 src1_sel:DWORD
	v_mul_u32_u24_sdwa v77, v6, s45 dst_sel:DWORD dst_unused:UNUSED_PAD src0_sel:WORD_0 src1_sel:DWORD
	v_mul_u32_u24_sdwa v78, v6, s45 dst_sel:DWORD dst_unused:UNUSED_PAD src0_sel:WORD_1 src1_sel:DWORD
	v_mul_u32_u24_sdwa v79, v7, s45 dst_sel:DWORD dst_unused:UNUSED_PAD src0_sel:WORD_0 src1_sel:DWORD
	v_mul_u32_u24_sdwa v93, v7, s45 dst_sel:DWORD dst_unused:UNUSED_PAD src0_sel:WORD_1 src1_sel:DWORD
	ds_read_b128 v[4:7], v58 offset:96
	s_waitcnt lgkmcnt(4)
	v_mul_u32_u24_sdwa v90, v14, s45 dst_sel:DWORD dst_unused:UNUSED_PAD src0_sel:WORD_0 src1_sel:DWORD
	v_mul_u32_u24_sdwa v14, v14, s45 dst_sel:DWORD dst_unused:UNUSED_PAD src0_sel:WORD_1 src1_sel:DWORD
	v_mul_u32_u24_sdwa v94, v15, s45 dst_sel:DWORD dst_unused:UNUSED_PAD src0_sel:WORD_1 src1_sel:DWORD
	v_mul_u32_u24_sdwa v15, v15, s45 dst_sel:DWORD dst_unused:UNUSED_PAD src0_sel:WORD_0 src1_sel:DWORD
	v_mul_u32_u24_sdwa v76, v16, s45 dst_sel:DWORD dst_unused:UNUSED_PAD src0_sel:WORD_0 src1_sel:DWORD
	v_mul_u32_u24_sdwa v16, v16, s45 dst_sel:DWORD dst_unused:UNUSED_PAD src0_sel:WORD_1 src1_sel:DWORD
	v_mul_u32_u24_sdwa v85, v17, s45 dst_sel:DWORD dst_unused:UNUSED_PAD src0_sel:WORD_0 src1_sel:DWORD
	v_mul_u32_u24_sdwa v17, v17, s45 dst_sel:DWORD dst_unused:UNUSED_PAD src0_sel:WORD_1 src1_sel:DWORD
	s_waitcnt lgkmcnt(3)
	v_pk_fma_f16 v86, v72, v94, v86
	v_pk_fma_f16 v82, v73, v94, v82
	;; [unrolled: 1-line block ×16, first 2 shown]
	s_waitcnt lgkmcnt(1)
	v_mul_u32_u24_sdwa v94, v8, s45 dst_sel:DWORD dst_unused:UNUSED_PAD src0_sel:WORD_0 src1_sel:DWORD
	v_mul_u32_u24_sdwa v90, v8, s45 dst_sel:DWORD dst_unused:UNUSED_PAD src0_sel:WORD_1 src1_sel:DWORD
	v_mul_u32_u24_sdwa v19, v9, s45 dst_sel:DWORD dst_unused:UNUSED_PAD src0_sel:WORD_1 src1_sel:DWORD
	v_mul_u32_u24_sdwa v74, v9, s45 dst_sel:DWORD dst_unused:UNUSED_PAD src0_sel:WORD_0 src1_sel:DWORD
	v_mul_u32_u24_sdwa v75, v10, s45 dst_sel:DWORD dst_unused:UNUSED_PAD src0_sel:WORD_0 src1_sel:DWORD
	v_mul_u32_u24_sdwa v95, v10, s45 dst_sel:DWORD dst_unused:UNUSED_PAD src0_sel:WORD_1 src1_sel:DWORD
	v_mul_u32_u24_sdwa v96, v11, s45 dst_sel:DWORD dst_unused:UNUSED_PAD src0_sel:WORD_0 src1_sel:DWORD
	v_mul_u32_u24_sdwa v97, v11, s45 dst_sel:DWORD dst_unused:UNUSED_PAD src0_sel:WORD_1 src1_sel:DWORD
	ds_read_b128 v[8:11], v58 offset:112
	v_pk_fma_f16 v44, v40, v17, v86
	v_pk_fma_f16 v72, v41, v17, v82
	;; [unrolled: 1-line block ×4, first 2 shown]
	s_waitcnt lgkmcnt(1)
	v_mul_u32_u24_sdwa v82, v4, s45 dst_sel:DWORD dst_unused:UNUSED_PAD src0_sel:WORD_0 src1_sel:DWORD
	v_pk_fma_f16 v45, v41, v76, v67
	v_pk_fma_f16 v67, v42, v76, v81
	;; [unrolled: 1-line block ×4, first 2 shown]
	v_mul_u32_u24_sdwa v76, v4, s45 dst_sel:DWORD dst_unused:UNUSED_PAD src0_sel:WORD_1 src1_sel:DWORD
	v_pk_fma_f16 v81, v41, v16, v83
	v_pk_fma_f16 v83, v42, v16, v84
	;; [unrolled: 1-line block ×4, first 2 shown]
	v_mul_u32_u24_sdwa v86, v5, s45 dst_sel:DWORD dst_unused:UNUSED_PAD src0_sel:WORD_1 src1_sel:DWORD
	v_pk_fma_f16 v41, v41, v85, v69
	v_pk_fma_f16 v42, v42, v85, v70
	;; [unrolled: 1-line block ×4, first 2 shown]
	v_mul_u32_u24_sdwa v85, v5, s45 dst_sel:DWORD dst_unused:UNUSED_PAD src0_sel:WORD_0 src1_sel:DWORD
	v_mul_u32_u24_sdwa v87, v6, s45 dst_sel:DWORD dst_unused:UNUSED_PAD src0_sel:WORD_0 src1_sel:DWORD
	v_mul_u32_u24_sdwa v88, v6, s45 dst_sel:DWORD dst_unused:UNUSED_PAD src0_sel:WORD_1 src1_sel:DWORD
	v_mul_u32_u24_sdwa v98, v7, s45 dst_sel:DWORD dst_unused:UNUSED_PAD src0_sel:WORD_0 src1_sel:DWORD
	v_mul_u32_u24_sdwa v99, v7, s45 dst_sel:DWORD dst_unused:UNUSED_PAD src0_sel:WORD_1 src1_sel:DWORD
	ds_read2_b64 v[4:7], v65 offset1:32
	v_lshl_add_u64 v[14:15], s[22:23], 0, v[38:39]
	s_waitcnt lgkmcnt(0)
	v_pk_fma_f16 v69, v4, v92, v44
	v_pk_fma_f16 v70, v5, v92, v72
	;; [unrolled: 1-line block ×16, first 2 shown]
	ds_read2_b64 v[4:7], v65 offset0:64 offset1:96
	v_lshl_add_u64 v[44:45], v[12:13], 0, v[34:35]
	v_lshl_add_u64 v[72:73], v[14:15], 0, v[34:35]
	ds_read2_b64 v[12:15], v65 offset0:128 offset1:160
	s_waitcnt lgkmcnt(1)
	v_pk_fma_f16 v68, v4, v93, v69
	v_pk_fma_f16 v69, v5, v93, v70
	;; [unrolled: 1-line block ×16, first 2 shown]
	ds_read2_b64 v[4:7], v65 offset0:192 offset1:224
	s_waitcnt lgkmcnt(1)
	v_pk_fma_f16 v68, v12, v19, v68
	v_pk_fma_f16 v69, v13, v19, v69
	;; [unrolled: 1-line block ×5, first 2 shown]
	ds_read2_b64 v[16:19], v66 offset1:32
	v_pk_fma_f16 v71, v13, v94, v71
	v_pk_fma_f16 v67, v14, v94, v67
	;; [unrolled: 1-line block ×11, first 2 shown]
	ds_read2_b64 v[12:15], v66 offset0:64 offset1:96
	s_waitcnt lgkmcnt(2)
	v_pk_fma_f16 v90, v4, v97, v68
	v_pk_fma_f16 v93, v5, v97, v69
	;; [unrolled: 1-line block ×8, first 2 shown]
	ds_read2_b64 v[40:43], v66 offset0:128 offset1:160
	v_pk_fma_f16 v77, v5, v95, v77
	v_pk_fma_f16 v81, v6, v95, v81
	;; [unrolled: 1-line block ×8, first 2 shown]
	ds_read2_b64 v[4:7], v66 offset0:192 offset1:224
	s_waitcnt lgkmcnt(0)
	s_barrier
	global_load_dwordx4 v[68:71], v[44:45], off
	v_pk_fma_f16 v44, v16, v86, v90
	v_pk_fma_f16 v45, v17, v86, v93
	;; [unrolled: 1-line block ×4, first 2 shown]
	v_mul_u32_u24_sdwa v86, v8, s45 dst_sel:DWORD dst_unused:UNUSED_PAD src0_sel:WORD_0 src1_sel:DWORD
	v_pk_fma_f16 v92, v17, v82, v97
	v_pk_fma_f16 v67, v18, v82, v67
	;; [unrolled: 1-line block ×4, first 2 shown]
	v_mul_u32_u24_sdwa v82, v9, s45 dst_sel:DWORD dst_unused:UNUSED_PAD src0_sel:WORD_1 src1_sel:DWORD
	v_pk_fma_f16 v77, v17, v76, v77
	v_pk_fma_f16 v81, v18, v76, v81
	v_pk_fma_f16 v83, v19, v76, v83
	v_pk_fma_f16 v76, v16, v76, v78
	v_mul_u32_u24_sdwa v78, v8, s45 dst_sel:DWORD dst_unused:UNUSED_PAD src0_sel:WORD_1 src1_sel:DWORD
	v_pk_fma_f16 v17, v17, v85, v84
	v_pk_fma_f16 v18, v18, v85, v89
	;; [unrolled: 1-line block ×4, first 2 shown]
	v_mul_u32_u24_sdwa v74, v9, s45 dst_sel:DWORD dst_unused:UNUSED_PAD src0_sel:WORD_0 src1_sel:DWORD
	v_mul_u32_u24_sdwa v84, v10, s45 dst_sel:DWORD dst_unused:UNUSED_PAD src0_sel:WORD_0 src1_sel:DWORD
	v_mul_u32_u24_sdwa v85, v10, s45 dst_sel:DWORD dst_unused:UNUSED_PAD src0_sel:WORD_1 src1_sel:DWORD
	v_mul_u32_u24_sdwa v89, v11, s45 dst_sel:DWORD dst_unused:UNUSED_PAD src0_sel:WORD_0 src1_sel:DWORD
	v_mul_u32_u24_sdwa v91, v11, s45 dst_sel:DWORD dst_unused:UNUSED_PAD src0_sel:WORD_1 src1_sel:DWORD
	global_load_dwordx4 v[8:11], v[72:73], off
	v_pk_fma_f16 v44, v12, v99, v44
	v_pk_fma_f16 v45, v13, v99, v45
	;; [unrolled: 1-line block ×48, first 2 shown]
	s_waitcnt vmcnt(1)
	ds_write_b128 v59, v[68:71]
	s_waitcnt vmcnt(0)
	ds_write_b128 v60, v[8:11]
	s_waitcnt lgkmcnt(0)
	s_barrier
	ds_read_b128 v[4:7], v58 offset:128
	ds_read_b128 v[8:11], v58 offset:144
	;; [unrolled: 1-line block ×4, first 2 shown]
	s_waitcnt lgkmcnt(3)
	v_mul_u32_u24_sdwa v68, v4, s45 dst_sel:DWORD dst_unused:UNUSED_PAD src0_sel:WORD_0 src1_sel:DWORD
	v_mul_u32_u24_sdwa v69, v4, s45 dst_sel:DWORD dst_unused:UNUSED_PAD src0_sel:WORD_1 src1_sel:DWORD
	v_mul_u32_u24_sdwa v70, v5, s45 dst_sel:DWORD dst_unused:UNUSED_PAD src0_sel:WORD_0 src1_sel:DWORD
	v_mul_u32_u24_sdwa v71, v5, s45 dst_sel:DWORD dst_unused:UNUSED_PAD src0_sel:WORD_1 src1_sel:DWORD
	;; [unrolled: 2-line block ×4, first 2 shown]
	ds_read2_b64 v[4:7], v63 offset1:32
	s_waitcnt lgkmcnt(3)
	v_mul_u32_u24_sdwa v85, v8, s45 dst_sel:DWORD dst_unused:UNUSED_PAD src0_sel:WORD_0 src1_sel:DWORD
	v_mul_u32_u24_sdwa v86, v8, s45 dst_sel:DWORD dst_unused:UNUSED_PAD src0_sel:WORD_1 src1_sel:DWORD
	v_mul_u32_u24_sdwa v87, v9, s45 dst_sel:DWORD dst_unused:UNUSED_PAD src0_sel:WORD_0 src1_sel:DWORD
	v_mul_u32_u24_sdwa v88, v9, s45 dst_sel:DWORD dst_unused:UNUSED_PAD src0_sel:WORD_1 src1_sel:DWORD
	;; [unrolled: 2-line block ×4, first 2 shown]
	s_waitcnt lgkmcnt(2)
	v_mul_u32_u24_sdwa v93, v12, s45 dst_sel:DWORD dst_unused:UNUSED_PAD src0_sel:WORD_0 src1_sel:DWORD
	v_mul_u32_u24_sdwa v94, v12, s45 dst_sel:DWORD dst_unused:UNUSED_PAD src0_sel:WORD_1 src1_sel:DWORD
	v_mul_u32_u24_sdwa v95, v13, s45 dst_sel:DWORD dst_unused:UNUSED_PAD src0_sel:WORD_0 src1_sel:DWORD
	v_mul_u32_u24_sdwa v96, v13, s45 dst_sel:DWORD dst_unused:UNUSED_PAD src0_sel:WORD_1 src1_sel:DWORD
	;; [unrolled: 2-line block ×4, first 2 shown]
	s_waitcnt lgkmcnt(0)
	v_pk_fma_f16 v8, v4, v68, v78
	v_pk_fma_f16 v9, v5, v68, v44
	;; [unrolled: 1-line block ×16, first 2 shown]
	ds_read2_b64 v[4:7], v63 offset0:64 offset1:96
	v_mul_u32_u24_sdwa v101, v16, s45 dst_sel:DWORD dst_unused:UNUSED_PAD src0_sel:WORD_0 src1_sel:DWORD
	v_mul_u32_u24_sdwa v16, v16, s45 dst_sel:DWORD dst_unused:UNUSED_PAD src0_sel:WORD_1 src1_sel:DWORD
	v_mul_u32_u24_sdwa v102, v17, s45 dst_sel:DWORD dst_unused:UNUSED_PAD src0_sel:WORD_0 src1_sel:DWORD
	v_mul_u32_u24_sdwa v17, v17, s45 dst_sel:DWORD dst_unused:UNUSED_PAD src0_sel:WORD_1 src1_sel:DWORD
	s_waitcnt lgkmcnt(0)
	v_pk_fma_f16 v69, v4, v81, v8
	v_pk_fma_f16 v70, v5, v81, v9
	;; [unrolled: 1-line block ×8, first 2 shown]
	ds_read2_b64 v[8:11], v63 offset0:128 offset1:160
	v_pk_fma_f16 v44, v4, v83, v44
	v_pk_fma_f16 v40, v4, v84, v40
	;; [unrolled: 1-line block ×8, first 2 shown]
	ds_read_b128 v[4:7], v58 offset:192
	s_waitcnt lgkmcnt(1)
	v_pk_fma_f16 v69, v8, v85, v69
	v_pk_fma_f16 v70, v9, v85, v70
	;; [unrolled: 1-line block ×8, first 2 shown]
	ds_read_b128 v[12:15], v58 offset:208
	v_pk_fma_f16 v44, v8, v87, v44
	v_pk_fma_f16 v45, v9, v87, v45
	;; [unrolled: 1-line block ×4, first 2 shown]
	s_waitcnt lgkmcnt(1)
	v_mul_u32_u24_sdwa v77, v4, s45 dst_sel:DWORD dst_unused:UNUSED_PAD src0_sel:WORD_0 src1_sel:DWORD
	v_pk_fma_f16 v8, v8, v88, v40
	v_pk_fma_f16 v9, v9, v88, v41
	;; [unrolled: 1-line block ×4, first 2 shown]
	v_mul_u32_u24_sdwa v40, v4, s45 dst_sel:DWORD dst_unused:UNUSED_PAD src0_sel:WORD_1 src1_sel:DWORD
	v_mul_u32_u24_sdwa v41, v5, s45 dst_sel:DWORD dst_unused:UNUSED_PAD src0_sel:WORD_0 src1_sel:DWORD
	v_mul_u32_u24_sdwa v42, v5, s45 dst_sel:DWORD dst_unused:UNUSED_PAD src0_sel:WORD_1 src1_sel:DWORD
	v_mul_u32_u24_sdwa v43, v6, s45 dst_sel:DWORD dst_unused:UNUSED_PAD src0_sel:WORD_0 src1_sel:DWORD
	;; [unrolled: 2-line block ×3, first 2 shown]
	v_mul_u32_u24_sdwa v80, v7, s45 dst_sel:DWORD dst_unused:UNUSED_PAD src0_sel:WORD_1 src1_sel:DWORD
	ds_read2_b64 v[4:7], v63 offset0:192 offset1:224
	s_waitcnt lgkmcnt(1)
	v_mul_u32_u24_sdwa v81, v12, s45 dst_sel:DWORD dst_unused:UNUSED_PAD src0_sel:WORD_0 src1_sel:DWORD
	v_mul_u32_u24_sdwa v82, v12, s45 dst_sel:DWORD dst_unused:UNUSED_PAD src0_sel:WORD_1 src1_sel:DWORD
	v_mul_u32_u24_sdwa v83, v13, s45 dst_sel:DWORD dst_unused:UNUSED_PAD src0_sel:WORD_0 src1_sel:DWORD
	v_mul_u32_u24_sdwa v84, v13, s45 dst_sel:DWORD dst_unused:UNUSED_PAD src0_sel:WORD_1 src1_sel:DWORD
	s_waitcnt lgkmcnt(0)
	v_pk_fma_f16 v69, v4, v89, v69
	v_pk_fma_f16 v70, v5, v89, v70
	;; [unrolled: 1-line block ×16, first 2 shown]
	ds_read2_b64 v[4:7], v64 offset1:32
	v_mul_u32_u24_sdwa v85, v14, s45 dst_sel:DWORD dst_unused:UNUSED_PAD src0_sel:WORD_0 src1_sel:DWORD
	v_mul_u32_u24_sdwa v86, v14, s45 dst_sel:DWORD dst_unused:UNUSED_PAD src0_sel:WORD_1 src1_sel:DWORD
	v_mul_u32_u24_sdwa v87, v15, s45 dst_sel:DWORD dst_unused:UNUSED_PAD src0_sel:WORD_0 src1_sel:DWORD
	v_mul_u32_u24_sdwa v88, v15, s45 dst_sel:DWORD dst_unused:UNUSED_PAD src0_sel:WORD_1 src1_sel:DWORD
	s_waitcnt lgkmcnt(0)
	v_pk_fma_f16 v12, v4, v93, v69
	v_pk_fma_f16 v13, v5, v93, v70
	;; [unrolled: 1-line block ×16, first 2 shown]
	ds_read2_b64 v[4:7], v64 offset0:64 offset1:96
	ds_read2_b64 v[8:11], v64 offset0:128 offset1:160
	v_mul_u32_u24_sdwa v103, v18, s45 dst_sel:DWORD dst_unused:UNUSED_PAD src0_sel:WORD_0 src1_sel:DWORD
	v_mul_u32_u24_sdwa v18, v18, s45 dst_sel:DWORD dst_unused:UNUSED_PAD src0_sel:WORD_1 src1_sel:DWORD
	v_mul_u32_u24_sdwa v104, v19, s45 dst_sel:DWORD dst_unused:UNUSED_PAD src0_sel:WORD_0 src1_sel:DWORD
	s_waitcnt lgkmcnt(1)
	v_pk_fma_f16 v12, v4, v97, v12
	v_pk_fma_f16 v13, v5, v97, v13
	;; [unrolled: 1-line block ×16, first 2 shown]
	ds_read_b128 v[4:7], v58 offset:224
	s_waitcnt lgkmcnt(1)
	v_pk_fma_f16 v89, v8, v101, v12
	v_pk_fma_f16 v90, v9, v101, v13
	;; [unrolled: 1-line block ×8, first 2 shown]
	ds_read_b128 v[12:15], v58 offset:240
	v_pk_fma_f16 v44, v8, v102, v44
	v_pk_fma_f16 v45, v9, v102, v45
	;; [unrolled: 1-line block ×4, first 2 shown]
	s_waitcnt lgkmcnt(1)
	v_mul_u32_u24_sdwa v72, v4, s45 dst_sel:DWORD dst_unused:UNUSED_PAD src0_sel:WORD_0 src1_sel:DWORD
	v_pk_fma_f16 v8, v8, v17, v73
	v_pk_fma_f16 v9, v9, v17, v74
	;; [unrolled: 1-line block ×4, first 2 shown]
	v_mul_u32_u24_sdwa v73, v4, s45 dst_sel:DWORD dst_unused:UNUSED_PAD src0_sel:WORD_1 src1_sel:DWORD
	v_mul_u32_u24_sdwa v74, v5, s45 dst_sel:DWORD dst_unused:UNUSED_PAD src0_sel:WORD_0 src1_sel:DWORD
	v_mul_u32_u24_sdwa v75, v5, s45 dst_sel:DWORD dst_unused:UNUSED_PAD src0_sel:WORD_1 src1_sel:DWORD
	v_mul_u32_u24_sdwa v76, v6, s45 dst_sel:DWORD dst_unused:UNUSED_PAD src0_sel:WORD_0 src1_sel:DWORD
	v_mul_u32_u24_sdwa v93, v6, s45 dst_sel:DWORD dst_unused:UNUSED_PAD src0_sel:WORD_1 src1_sel:DWORD
	v_mul_u32_u24_sdwa v94, v7, s45 dst_sel:DWORD dst_unused:UNUSED_PAD src0_sel:WORD_0 src1_sel:DWORD
	v_mul_u32_u24_sdwa v95, v7, s45 dst_sel:DWORD dst_unused:UNUSED_PAD src0_sel:WORD_1 src1_sel:DWORD
	ds_read2_b64 v[4:7], v64 offset0:192 offset1:224
	v_mul_u32_u24_sdwa v19, v19, s45 dst_sel:DWORD dst_unused:UNUSED_PAD src0_sel:WORD_1 src1_sel:DWORD
	s_waitcnt lgkmcnt(1)
	v_mul_u32_u24_sdwa v96, v13, s45 dst_sel:DWORD dst_unused:UNUSED_PAD src0_sel:WORD_0 src1_sel:DWORD
	v_mul_u32_u24_sdwa v97, v13, s45 dst_sel:DWORD dst_unused:UNUSED_PAD src0_sel:WORD_1 src1_sel:DWORD
	v_mul_u32_u24_sdwa v98, v14, s45 dst_sel:DWORD dst_unused:UNUSED_PAD src0_sel:WORD_0 src1_sel:DWORD
	s_waitcnt lgkmcnt(0)
	v_pk_fma_f16 v17, v4, v103, v89
	v_pk_fma_f16 v89, v5, v103, v90
	v_pk_fma_f16 v90, v6, v103, v91
	v_pk_fma_f16 v91, v7, v103, v92
	v_pk_fma_f16 v69, v4, v18, v69
	v_pk_fma_f16 v70, v5, v18, v70
	v_pk_fma_f16 v71, v6, v18, v71
	v_pk_fma_f16 v16, v7, v18, v16
	v_pk_fma_f16 v18, v4, v104, v44
	v_pk_fma_f16 v44, v5, v104, v45
	v_pk_fma_f16 v45, v6, v104, v67
	v_pk_fma_f16 v67, v7, v104, v68
	v_pk_fma_f16 v8, v4, v19, v8
	v_pk_fma_f16 v9, v5, v19, v9
	v_pk_fma_f16 v10, v6, v19, v10
	v_pk_fma_f16 v11, v7, v19, v11
	ds_read2_b64 v[4:7], v65 offset1:32
	v_mul_u32_u24_sdwa v68, v12, s45 dst_sel:DWORD dst_unused:UNUSED_PAD src0_sel:WORD_0 src1_sel:DWORD
	v_mul_u32_u24_sdwa v92, v12, s45 dst_sel:DWORD dst_unused:UNUSED_PAD src0_sel:WORD_1 src1_sel:DWORD
	v_mul_u32_u24_sdwa v99, v14, s45 dst_sel:DWORD dst_unused:UNUSED_PAD src0_sel:WORD_1 src1_sel:DWORD
	v_mul_u32_u24_sdwa v100, v15, s45 dst_sel:DWORD dst_unused:UNUSED_PAD src0_sel:WORD_0 src1_sel:DWORD
	v_mul_u32_u24_sdwa v101, v15, s45 dst_sel:DWORD dst_unused:UNUSED_PAD src0_sel:WORD_1 src1_sel:DWORD
	s_waitcnt lgkmcnt(0)
	v_pk_fma_f16 v12, v4, v77, v17
	v_pk_fma_f16 v13, v5, v77, v89
	;; [unrolled: 1-line block ×16, first 2 shown]
	ds_read2_b64 v[4:7], v65 offset0:64 offset1:96
	ds_read2_b64 v[8:11], v65 offset0:128 offset1:160
	s_waitcnt lgkmcnt(1)
	v_pk_fma_f16 v12, v4, v43, v12
	v_pk_fma_f16 v13, v5, v43, v13
	;; [unrolled: 1-line block ×16, first 2 shown]
	ds_read2_b64 v[4:7], v65 offset0:192 offset1:224
	s_waitcnt lgkmcnt(1)
	v_pk_fma_f16 v70, v8, v81, v12
	v_pk_fma_f16 v71, v9, v81, v13
	;; [unrolled: 1-line block ×8, first 2 shown]
	ds_read2_b64 v[12:15], v66 offset1:32
	v_pk_fma_f16 v79, v8, v83, v18
	v_pk_fma_f16 v44, v9, v83, v44
	;; [unrolled: 1-line block ×8, first 2 shown]
	ds_read2_b64 v[8:11], v66 offset0:64 offset1:96
	s_waitcnt lgkmcnt(2)
	v_pk_fma_f16 v70, v4, v85, v70
	v_pk_fma_f16 v71, v5, v85, v71
	;; [unrolled: 1-line block ×8, first 2 shown]
	ds_read2_b64 v[16:19], v66 offset0:128 offset1:160
	v_pk_fma_f16 v79, v4, v87, v79
	v_pk_fma_f16 v44, v5, v87, v44
	;; [unrolled: 1-line block ×8, first 2 shown]
	ds_read2_b64 v[4:7], v66 offset0:192 offset1:224
	s_waitcnt lgkmcnt(0)
	s_barrier
	s_load_dword s4, s[18:19], 0x4
	v_pk_fma_f16 v70, v12, v72, v70
	v_pk_fma_f16 v71, v13, v72, v71
	;; [unrolled: 1-line block ×16, first 2 shown]
	s_waitcnt lgkmcnt(0)
	s_lshl_b32 s4, s4, 5
	v_pk_fma_f16 v42, v8, v76, v70
	v_pk_fma_f16 v45, v9, v76, v71
	;; [unrolled: 1-line block ×16, first 2 shown]
	s_add_i32 s2, s4, s2
	v_pk_fma_f16 v15, v16, v68, v42
	v_pk_fma_f16 v40, v17, v68, v45
	;; [unrolled: 1-line block ×16, first 2 shown]
	s_cmp_ge_i32 s2, s34
	v_pk_fma_f16 v79, v4, v98, v15
	v_pk_fma_f16 v75, v4, v99, v44
	;; [unrolled: 1-line block ×16, first 2 shown]
	s_cbranch_scc0 .LBB0_9
.LBB0_10:
	v_cmp_lt_i32_e32 vcc, v52, v49
	s_cmp_lg_u64 s[20:21], 0
	s_cselect_b64 s[4:5], -1, 0
	v_cndmask_b32_e32 v4, v33, v52, vcc
	v_cmp_lt_i32_e32 vcc, v53, v49
	v_lshlrev_b32_e32 v7, 2, v4
	ds_bpermute_b32 v5, v7, v25
	v_cndmask_b32_e32 v4, v33, v53, vcc
	v_cmp_lt_i32_e32 vcc, v54, v49
	v_lshlrev_b32_e32 v11, 2, v4
	ds_bpermute_b32 v6, v7, v22
	v_cndmask_b32_e32 v4, v33, v54, vcc
	v_lshlrev_b32_e32 v12, 2, v4
	ds_bpermute_b32 v4, v7, v24
	ds_bpermute_b32 v7, v7, v23
	v_cmp_lt_i32_e32 vcc, v51, v49
	s_cmp_eq_u32 s3, 0
	s_cselect_b64 s[6:7], -1, 0
	s_waitcnt lgkmcnt(1)
	v_pk_add_f32 v[4:5], v[24:25], v[4:5]
	s_waitcnt lgkmcnt(0)
	v_pk_add_f32 v[6:7], v[22:23], v[6:7]
	ds_bpermute_b32 v8, v11, v4
	ds_bpermute_b32 v9, v11, v5
	;; [unrolled: 1-line block ×4, first 2 shown]
	v_cndmask_b32_e32 v13, v33, v51, vcc
	v_lshlrev_b32_e32 v13, 2, v13
	s_waitcnt lgkmcnt(2)
	v_pk_add_f32 v[4:5], v[4:5], v[8:9]
	ds_bpermute_b32 v8, v12, v4
	s_waitcnt lgkmcnt(1)
	v_pk_add_f32 v[6:7], v[6:7], v[10:11]
	ds_bpermute_b32 v9, v12, v5
	ds_bpermute_b32 v10, v12, v6
	;; [unrolled: 1-line block ×3, first 2 shown]
	v_cmp_lt_i32_e32 vcc, v50, v49
	s_and_b64 s[4:5], s[6:7], s[4:5]
	s_waitcnt lgkmcnt(2)
	v_pk_add_f32 v[4:5], v[4:5], v[8:9]
	ds_bpermute_b32 v8, v13, v4
	s_waitcnt lgkmcnt(1)
	v_pk_add_f32 v[6:7], v[6:7], v[10:11]
	ds_bpermute_b32 v9, v13, v5
	ds_bpermute_b32 v10, v13, v6
	;; [unrolled: 1-line block ×3, first 2 shown]
	v_cndmask_b32_e32 v12, v33, v50, vcc
	v_lshlrev_b32_e32 v13, 2, v12
	s_waitcnt lgkmcnt(2)
	v_pk_add_f32 v[4:5], v[4:5], v[8:9]
	ds_bpermute_b32 v8, v13, v4
	s_waitcnt lgkmcnt(1)
	v_pk_add_f32 v[10:11], v[6:7], v[10:11]
	ds_bpermute_b32 v9, v13, v5
	ds_bpermute_b32 v12, v13, v10
	;; [unrolled: 1-line block ×3, first 2 shown]
	s_and_b64 vcc, exec, s[4:5]
	s_waitcnt lgkmcnt(2)
	v_pk_add_f32 v[6:7], v[4:5], v[8:9]
	s_waitcnt lgkmcnt(0)
	v_pk_add_f32 v[4:5], v[10:11], v[12:13]
	s_cbranch_vccz .LBB0_12
; %bb.11:
	v_add_u32_e32 v8, s35, v46
	v_ashrrev_i32_e32 v9, 31, v8
	v_lshl_add_u64 v[8:9], v[8:9], 2, s[20:21]
	global_load_dwordx4 v[8:11], v[8:9], off
	v_max_f32_e32 v12, v0, v0
	v_max_f32_e32 v13, v1, v1
	s_mov_b32 s5, 0x3fb8aa3b
	v_max_f32_e32 v14, v2, v2
	s_mov_b32 s2, 0xc2ce8ed0
	s_mov_b32 s4, 0x42b17218
	v_mov_b32_e32 v16, 0x7f800000
	s_waitcnt vmcnt(0)
	v_max_f32_e32 v15, v8, v8
	v_max_f32_e32 v12, v12, v15
	;; [unrolled: 1-line block ×3, first 2 shown]
	v_sub_f32_e32 v0, v0, v12
	v_max_f32_e32 v13, v13, v17
	v_sub_f32_e32 v8, v8, v12
	v_mul_f32_e32 v15, 0x3fb8aa3b, v0
	v_max_f32_e32 v18, v10, v10
	v_sub_f32_e32 v1, v1, v13
	v_mul_f32_e32 v17, 0x3fb8aa3b, v8
	v_fma_f32 v24, v0, s5, -v15
	v_rndne_f32_e32 v25, v15
	v_max_f32_e32 v14, v14, v18
	v_sub_f32_e32 v9, v9, v13
	v_mul_f32_e32 v18, 0x3fb8aa3b, v1
	v_fma_f32 v26, v8, s5, -v17
	v_rndne_f32_e32 v27, v17
	v_fmac_f32_e32 v24, 0x32a5705f, v0
	v_sub_f32_e32 v15, v15, v25
	v_mul_f32_e32 v19, 0x3fb8aa3b, v9
	v_fma_f32 v28, v1, s5, -v18
	v_rndne_f32_e32 v29, v18
	v_fmac_f32_e32 v26, 0x32a5705f, v8
	v_sub_f32_e32 v17, v17, v27
	v_add_f32_e32 v15, v15, v24
	v_fma_f32 v30, v9, s5, -v19
	v_rndne_f32_e32 v31, v19
	v_cvt_i32_f32_e32 v25, v25
	v_fmac_f32_e32 v28, 0x32a5705f, v1
	v_sub_f32_e32 v18, v18, v29
	v_add_f32_e32 v17, v17, v26
	v_exp_f32_e32 v15, v15
	v_cvt_i32_f32_e32 v27, v27
	v_fmac_f32_e32 v30, 0x32a5705f, v9
	v_sub_f32_e32 v19, v19, v31
	v_add_f32_e32 v18, v18, v28
	v_exp_f32_e32 v17, v17
	v_cvt_i32_f32_e32 v29, v29
	v_add_f32_e32 v19, v19, v30
	v_exp_f32_e32 v18, v18
	v_cvt_i32_f32_e32 v31, v31
	v_exp_f32_e32 v19, v19
	v_ldexp_f32 v15, v15, v25
	v_cmp_ngt_f32_e32 vcc, s2, v0
	v_ldexp_f32 v17, v17, v27
	v_ldexp_f32 v18, v18, v29
	v_cndmask_b32_e32 v15, 0, v15, vcc
	v_cmp_ngt_f32_e32 vcc, s2, v8
	v_ldexp_f32 v19, v19, v31
	v_sub_f32_e32 v2, v2, v14
	v_cndmask_b32_e32 v17, 0, v17, vcc
	v_cmp_ngt_f32_e32 vcc, s2, v1
	v_mul_f32_e32 v22, 0x3fb8aa3b, v2
	v_sub_f32_e32 v10, v10, v14
	v_cndmask_b32_e32 v18, 0, v18, vcc
	v_cmp_ngt_f32_e32 vcc, s2, v9
	v_fma_f32 v32, v2, s5, -v22
	v_rndne_f32_e32 v33, v22
	v_cndmask_b32_e32 v19, 0, v19, vcc
	v_cmp_nlt_f32_e32 vcc, s4, v0
	v_mul_f32_e32 v23, 0x3fb8aa3b, v10
	v_fmac_f32_e32 v32, 0x32a5705f, v2
	v_cndmask_b32_e32 v0, v16, v15, vcc
	v_cmp_nlt_f32_e32 vcc, s4, v8
	v_cvt_f16_f32_e32 v15, v0
	v_sub_f32_e32 v22, v22, v33
	v_cndmask_b32_e32 v8, v16, v17, vcc
	v_cmp_nlt_f32_e32 vcc, s4, v1
	v_fma_f32 v34, v10, s5, -v23
	v_rndne_f32_e32 v35, v23
	v_add_f32_e32 v22, v22, v32
	v_cndmask_b32_e32 v1, v16, v18, vcc
	v_cvt_i32_f32_e32 v33, v33
	v_fmac_f32_e32 v34, 0x32a5705f, v10
	v_sub_f32_e32 v23, v23, v35
	v_exp_f32_e32 v22, v22
	v_cvt_f16_f32_e32 v17, v1
	v_add_f32_e32 v23, v23, v34
	v_mul_u32_u24_e32 v15, 0x10001, v15
	v_exp_f32_e32 v23, v23
	v_pk_mul_f16 v79, v79, v15
	v_pk_mul_f16 v82, v82, v15
	;; [unrolled: 1-line block ×4, first 2 shown]
	v_cvt_i32_f32_e32 v15, v35
	v_cmp_nlt_f32_e32 vcc, s4, v9
	v_ldexp_f32 v22, v22, v33
	v_mul_u32_u24_e32 v17, 0x10001, v17
	v_cndmask_b32_e32 v9, v16, v19, vcc
	v_cmp_ngt_f32_e32 vcc, s2, v2
	v_pk_mul_f16 v75, v75, v17
	v_pk_mul_f16 v78, v78, v17
	v_pk_mul_f16 v77, v77, v17
	v_pk_mul_f16 v76, v76, v17
	v_cndmask_b32_e32 v17, 0, v22, vcc
	v_cmp_nlt_f32_e32 vcc, s4, v2
	v_ldexp_f32 v15, v23, v15
	v_max_f32_e32 v18, v3, v3
	v_cndmask_b32_e32 v2, v16, v17, vcc
	v_cmp_ngt_f32_e32 vcc, s2, v10
	v_cvt_f16_f32_e32 v17, v2
	v_pk_fma_f32 v[6:7], v[6:7], v[0:1], v[8:9]
	v_cndmask_b32_e32 v15, 0, v15, vcc
	v_cmp_nlt_f32_e32 vcc, s4, v10
	v_mul_u32_u24_e32 v17, 0x10001, v17
	v_pk_mul_f16 v71, v71, v17
	v_cndmask_b32_e32 v10, v16, v15, vcc
	v_max_f32_e32 v15, v11, v11
	v_max_f32_e32 v15, v18, v15
	v_sub_f32_e32 v3, v3, v15
	v_mul_f32_e32 v18, 0x3fb8aa3b, v3
	v_fma_f32 v19, v3, s5, -v18
	v_rndne_f32_e32 v22, v18
	v_fmac_f32_e32 v19, 0x32a5705f, v3
	v_sub_f32_e32 v18, v18, v22
	v_add_f32_e32 v18, v18, v19
	v_exp_f32_e32 v18, v18
	v_cvt_i32_f32_e32 v19, v22
	v_sub_f32_e32 v11, v11, v15
	v_pk_mul_f16 v74, v74, v17
	v_pk_mul_f16 v73, v73, v17
	;; [unrolled: 1-line block ×3, first 2 shown]
	v_ldexp_f32 v17, v18, v19
	v_mul_f32_e32 v18, 0x3fb8aa3b, v11
	v_fma_f32 v19, v11, s5, -v18
	v_rndne_f32_e32 v22, v18
	v_fmac_f32_e32 v19, 0x32a5705f, v11
	v_sub_f32_e32 v18, v18, v22
	v_add_f32_e32 v18, v18, v19
	v_exp_f32_e32 v18, v18
	v_cvt_i32_f32_e32 v19, v22
	v_cmp_ngt_f32_e32 vcc, s2, v3
	s_nop 1
	v_cndmask_b32_e32 v17, 0, v17, vcc
	v_cmp_nlt_f32_e32 vcc, s4, v3
	s_nop 1
	v_cndmask_b32_e32 v3, v16, v17, vcc
	v_ldexp_f32 v17, v18, v19
	v_cvt_f16_f32_e32 v18, v3
	v_cmp_ngt_f32_e32 vcc, s2, v11
	s_nop 1
	v_cndmask_b32_e32 v17, 0, v17, vcc
	v_cmp_nlt_f32_e32 vcc, s4, v11
	s_nop 1
	v_cndmask_b32_e32 v11, v16, v17, vcc
	v_mul_u32_u24_e32 v16, 0x10001, v18
	v_pk_fma_f32 v[4:5], v[4:5], v[2:3], v[10:11]
	v_mov_b64_e32 v[0:1], v[12:13]
	v_pk_mul_f16 v70, v70, v16
	v_pk_mul_f16 v69, v69, v16
	v_pk_mul_f16 v68, v68, v16
	v_pk_mul_f16 v67, v67, v16
	v_mov_b64_e32 v[2:3], v[14:15]
.LBB0_12:
	v_cmp_gt_i32_e32 vcc, s30, v21
	s_and_saveexec_b64 s[4:5], vcc
	s_cbranch_execz .LBB0_29
; %bb.13:
	s_load_dword s8, s[0:1], 0xd4
	v_mov_b32_e32 v10, 1.0
	s_waitcnt lgkmcnt(0)
	s_cmp_lg_u32 s8, 1
	s_cselect_b64 s[0:1], -1, 0
	s_cmp_eq_u32 s8, 1
	s_cselect_b64 s[6:7], -1, 0
	s_and_b64 vcc, exec, s[0:1]
	s_cbranch_vccnz .LBB0_15
; %bb.14:
	v_div_scale_f32 v8, s[4:5], v6, v6, 1.0
	v_rcp_f32_e32 v9, v8
	v_div_scale_f32 v10, vcc, 1.0, v6, 1.0
	v_fma_f32 v11, -v8, v9, 1.0
	v_fmac_f32_e32 v9, v11, v9
	v_mul_f32_e32 v11, v10, v9
	v_fma_f32 v12, -v8, v11, v10
	v_fmac_f32_e32 v11, v12, v9
	v_fma_f32 v8, -v8, v11, v10
	v_div_fmas_f32 v8, v8, v9, v11
	v_div_fixup_f32 v10, v8, v6, 1.0
.LBB0_15:
	s_mul_i32 s33, s33, s30
	v_add_u32_e32 v8, s33, v21
	v_mul_lo_u32 v8, v8, s31
	v_add3_u32 v8, s35, v46, v8
	v_cvt_f32_f16_sdwa v13, v79 dst_sel:DWORD dst_unused:UNUSED_PAD src0_sel:WORD_1
	v_cvt_f32_f16_e32 v12, v79
	v_cvt_f32_f16_sdwa v15, v82 dst_sel:DWORD dst_unused:UNUSED_PAD src0_sel:WORD_1
	v_cvt_f32_f16_e32 v14, v82
	v_mul_lo_u32 v8, s8, v8
	v_add_u32_e32 v8, s3, v8
	v_lshl_add_u32 v16, v8, 8, v47
	v_mov_b32_e32 v17, 0
	v_lshl_add_u64 v[18:19], v[16:17], 2, s[24:25]
	v_pk_mul_f32 v[12:13], v[10:11], v[12:13] op_sel_hi:[0,1]
	v_pk_mul_f32 v[14:15], v[10:11], v[14:15] op_sel_hi:[0,1]
	global_store_dwordx4 v[18:19], v[12:15], off
	v_cmp_eq_u32_e32 vcc, 0, v20
	v_add_u32_e32 v16, 0x80, v16
	v_cvt_f32_f16_sdwa v13, v81 dst_sel:DWORD dst_unused:UNUSED_PAD src0_sel:WORD_1
	v_cvt_f32_f16_e32 v12, v81
	v_cvt_f32_f16_sdwa v15, v80 dst_sel:DWORD dst_unused:UNUSED_PAD src0_sel:WORD_1
	v_cvt_f32_f16_e32 v14, v80
	s_and_b64 s[4:5], vcc, s[0:1]
	v_lshl_add_u64 v[16:17], v[16:17], 2, s[24:25]
	v_pk_mul_f32 v[12:13], v[10:11], v[12:13] op_sel_hi:[0,1]
	v_pk_mul_f32 v[14:15], v[10:11], v[14:15] op_sel_hi:[0,1]
	global_store_dwordx4 v[16:17], v[12:15], off
	s_and_saveexec_b64 s[0:1], s[4:5]
	s_cbranch_execz .LBB0_17
; %bb.16:
	v_ashrrev_i32_e32 v9, 31, v8
	v_lshl_add_u64 v[10:11], v[8:9], 3, s[26:27]
	v_mov_b32_e32 v12, v0
	v_mov_b32_e32 v13, v6
	global_store_dwordx2 v[10:11], v[12:13], off
.LBB0_17:
	s_or_b64 exec, exec, s[0:1]
	v_cndmask_b32_e64 v0, 0, 1, s[6:7]
	v_cmp_ne_u32_e64 s[0:1], 1, v0
	s_andn2_b64 vcc, exec, s[6:7]
	v_mov_b32_e32 v0, 1.0
	s_cbranch_vccnz .LBB0_19
; %bb.18:
	v_div_scale_f32 v0, s[2:3], v7, v7, 1.0
	v_rcp_f32_e32 v6, v0
	v_div_scale_f32 v9, vcc, 1.0, v7, 1.0
	v_fma_f32 v10, -v0, v6, 1.0
	v_fmac_f32_e32 v6, v10, v6
	v_mul_f32_e32 v10, v9, v6
	v_fma_f32 v11, -v0, v10, v9
	v_fmac_f32_e32 v10, v11, v6
	v_fma_f32 v0, -v0, v10, v9
	v_div_fmas_f32 v0, v0, v6, v10
	v_div_fixup_f32 v0, v0, v7, 1.0
.LBB0_19:
	v_cvt_f32_f16_sdwa v11, v75 dst_sel:DWORD dst_unused:UNUSED_PAD src0_sel:WORD_1
	v_cvt_f32_f16_e32 v10, v75
	v_cvt_f32_f16_sdwa v13, v78 dst_sel:DWORD dst_unused:UNUSED_PAD src0_sel:WORD_1
	v_cvt_f32_f16_e32 v12, v78
	v_add_u32_e32 v8, s8, v8
	v_lshl_add_u32 v14, v8, 8, v47
	v_mov_b32_e32 v15, 0
	v_lshl_add_u64 v[16:17], v[14:15], 2, s[24:25]
	v_pk_mul_f32 v[10:11], v[0:1], v[10:11] op_sel_hi:[0,1]
	v_pk_mul_f32 v[12:13], v[0:1], v[12:13] op_sel_hi:[0,1]
	global_store_dwordx4 v[16:17], v[10:13], off
	v_add_u32_e32 v14, 0x80, v14
	v_lshl_add_u64 v[14:15], v[14:15], 2, s[24:25]
	v_cvt_f32_f16_sdwa v11, v77 dst_sel:DWORD dst_unused:UNUSED_PAD src0_sel:WORD_1
	v_cvt_f32_f16_e32 v10, v77
	v_cvt_f32_f16_sdwa v13, v76 dst_sel:DWORD dst_unused:UNUSED_PAD src0_sel:WORD_1
	v_cvt_f32_f16_e32 v12, v76
	v_pk_mul_f32 v[10:11], v[0:1], v[10:11] op_sel_hi:[0,1]
	v_pk_mul_f32 v[12:13], v[0:1], v[12:13] op_sel_hi:[0,1]
	global_store_dwordx4 v[14:15], v[10:13], off
	s_and_saveexec_b64 s[2:3], s[4:5]
	s_cbranch_execz .LBB0_21
; %bb.20:
	v_ashrrev_i32_e32 v9, 31, v8
	v_lshl_add_u64 v[10:11], v[8:9], 3, s[26:27]
	v_mov_b32_e32 v6, v1
	global_store_dwordx2 v[10:11], v[6:7], off
.LBB0_21:
	s_or_b64 exec, exec, s[2:3]
	s_and_b64 vcc, exec, s[0:1]
	v_mov_b32_e32 v6, 1.0
	s_cbranch_vccnz .LBB0_23
; %bb.22:
	v_div_scale_f32 v0, s[2:3], v4, v4, 1.0
	v_rcp_f32_e32 v1, v0
	v_div_scale_f32 v6, vcc, 1.0, v4, 1.0
	v_fma_f32 v7, -v0, v1, 1.0
	v_fmac_f32_e32 v1, v7, v1
	v_mul_f32_e32 v7, v6, v1
	v_fma_f32 v9, -v0, v7, v6
	v_fmac_f32_e32 v7, v9, v1
	v_fma_f32 v0, -v0, v7, v6
	v_div_fmas_f32 v0, v0, v1, v7
	v_div_fixup_f32 v6, v0, v4, 1.0
.LBB0_23:
	v_add_u32_e32 v0, s8, v8
	v_cvt_f32_f16_sdwa v9, v71 dst_sel:DWORD dst_unused:UNUSED_PAD src0_sel:WORD_1
	v_cvt_f32_f16_e32 v8, v71
	v_cvt_f32_f16_sdwa v11, v74 dst_sel:DWORD dst_unused:UNUSED_PAD src0_sel:WORD_1
	v_cvt_f32_f16_e32 v10, v74
	v_lshl_add_u32 v12, v0, 8, v47
	v_mov_b32_e32 v13, 0
	v_lshl_add_u64 v[14:15], v[12:13], 2, s[24:25]
	v_pk_mul_f32 v[8:9], v[6:7], v[8:9] op_sel_hi:[0,1]
	v_pk_mul_f32 v[10:11], v[6:7], v[10:11] op_sel_hi:[0,1]
	global_store_dwordx4 v[14:15], v[8:11], off
	v_add_u32_e32 v12, 0x80, v12
	v_lshl_add_u64 v[12:13], v[12:13], 2, s[24:25]
	v_cvt_f32_f16_sdwa v9, v73 dst_sel:DWORD dst_unused:UNUSED_PAD src0_sel:WORD_1
	v_cvt_f32_f16_e32 v8, v73
	v_cvt_f32_f16_sdwa v11, v72 dst_sel:DWORD dst_unused:UNUSED_PAD src0_sel:WORD_1
	v_cvt_f32_f16_e32 v10, v72
	v_pk_mul_f32 v[8:9], v[6:7], v[8:9] op_sel_hi:[0,1]
	v_pk_mul_f32 v[10:11], v[6:7], v[10:11] op_sel_hi:[0,1]
	global_store_dwordx4 v[12:13], v[8:11], off
	s_and_saveexec_b64 s[2:3], s[4:5]
	s_cbranch_execz .LBB0_25
; %bb.24:
	v_ashrrev_i32_e32 v1, 31, v0
	v_lshl_add_u64 v[6:7], v[0:1], 3, s[26:27]
	v_mov_b32_e32 v8, v2
	v_mov_b32_e32 v9, v4
	global_store_dwordx2 v[6:7], v[8:9], off
.LBB0_25:
	s_or_b64 exec, exec, s[2:3]
	s_and_b64 vcc, exec, s[0:1]
	v_mov_b32_e32 v2, 1.0
	s_cbranch_vccnz .LBB0_27
; %bb.26:
	v_div_scale_f32 v1, s[0:1], v5, v5, 1.0
	v_rcp_f32_e32 v2, v1
	v_div_scale_f32 v4, vcc, 1.0, v5, 1.0
	v_fma_f32 v6, -v1, v2, 1.0
	v_fmac_f32_e32 v2, v6, v2
	v_mul_f32_e32 v6, v4, v2
	v_fma_f32 v7, -v1, v6, v4
	v_fmac_f32_e32 v6, v7, v2
	v_fma_f32 v1, -v1, v6, v4
	v_div_fmas_f32 v1, v1, v2, v6
	v_div_fixup_f32 v2, v1, v5, 1.0
.LBB0_27:
	v_cvt_f32_f16_sdwa v7, v70 dst_sel:DWORD dst_unused:UNUSED_PAD src0_sel:WORD_1
	v_cvt_f32_f16_e32 v6, v70
	v_cvt_f32_f16_sdwa v9, v69 dst_sel:DWORD dst_unused:UNUSED_PAD src0_sel:WORD_1
	v_cvt_f32_f16_e32 v8, v69
	v_add_u32_e32 v0, s8, v0
	v_lshl_add_u32 v10, v0, 8, v47
	v_mov_b32_e32 v11, 0
	v_lshl_add_u64 v[12:13], v[10:11], 2, s[24:25]
	v_pk_mul_f32 v[6:7], v[2:3], v[6:7] op_sel_hi:[0,1]
	v_pk_mul_f32 v[8:9], v[2:3], v[8:9] op_sel_hi:[0,1]
	global_store_dwordx4 v[12:13], v[6:9], off
	v_add_u32_e32 v10, 0x80, v10
	v_lshl_add_u64 v[10:11], v[10:11], 2, s[24:25]
	v_cvt_f32_f16_sdwa v7, v68 dst_sel:DWORD dst_unused:UNUSED_PAD src0_sel:WORD_1
	v_cvt_f32_f16_e32 v6, v68
	v_cvt_f32_f16_sdwa v9, v67 dst_sel:DWORD dst_unused:UNUSED_PAD src0_sel:WORD_1
	v_cvt_f32_f16_e32 v8, v67
	v_pk_mul_f32 v[6:7], v[2:3], v[6:7] op_sel_hi:[0,1]
	v_pk_mul_f32 v[8:9], v[2:3], v[8:9] op_sel_hi:[0,1]
	global_store_dwordx4 v[10:11], v[6:9], off
	s_and_b64 exec, exec, s[4:5]
	s_cbranch_execz .LBB0_29
; %bb.28:
	v_ashrrev_i32_e32 v1, 31, v0
	v_lshl_add_u64 v[0:1], v[0:1], 3, s[26:27]
	v_mov_b32_e32 v4, v3
	global_store_dwordx2 v[0:1], v[4:5], off
.LBB0_29:
	s_endpgm
	.section	.rodata,"a",@progbits
	.p2align	6, 0x0
	.amdhsa_kernel _ZL15flash_attn_tileILi256ELi256ELi4ELi8ELb0EEvPKcS1_S1_S1_S1_PKiPfP15HIP_vector_typeIfLj2EEffffjfiS5_IjLj3EEiiiiiiiiiiiliiliiiiil
		.amdhsa_group_segment_fixed_size 27136
		.amdhsa_private_segment_fixed_size 0
		.amdhsa_kernarg_size 464
		.amdhsa_user_sgpr_count 2
		.amdhsa_user_sgpr_dispatch_ptr 0
		.amdhsa_user_sgpr_queue_ptr 0
		.amdhsa_user_sgpr_kernarg_segment_ptr 1
		.amdhsa_user_sgpr_dispatch_id 0
		.amdhsa_user_sgpr_kernarg_preload_length 0
		.amdhsa_user_sgpr_kernarg_preload_offset 0
		.amdhsa_user_sgpr_private_segment_size 0
		.amdhsa_uses_dynamic_stack 0
		.amdhsa_enable_private_segment 0
		.amdhsa_system_sgpr_workgroup_id_x 1
		.amdhsa_system_sgpr_workgroup_id_y 1
		.amdhsa_system_sgpr_workgroup_id_z 1
		.amdhsa_system_sgpr_workgroup_info 0
		.amdhsa_system_vgpr_workitem_id 1
		.amdhsa_next_free_vgpr 105
		.amdhsa_next_free_sgpr 91
		.amdhsa_accum_offset 108
		.amdhsa_reserve_vcc 1
		.amdhsa_float_round_mode_32 0
		.amdhsa_float_round_mode_16_64 0
		.amdhsa_float_denorm_mode_32 3
		.amdhsa_float_denorm_mode_16_64 3
		.amdhsa_dx10_clamp 1
		.amdhsa_ieee_mode 1
		.amdhsa_fp16_overflow 0
		.amdhsa_tg_split 0
		.amdhsa_exception_fp_ieee_invalid_op 0
		.amdhsa_exception_fp_denorm_src 0
		.amdhsa_exception_fp_ieee_div_zero 0
		.amdhsa_exception_fp_ieee_overflow 0
		.amdhsa_exception_fp_ieee_underflow 0
		.amdhsa_exception_fp_ieee_inexact 0
		.amdhsa_exception_int_div_zero 0
	.end_amdhsa_kernel
	.section	.text._ZL15flash_attn_tileILi256ELi256ELi4ELi8ELb0EEvPKcS1_S1_S1_S1_PKiPfP15HIP_vector_typeIfLj2EEffffjfiS5_IjLj3EEiiiiiiiiiiiliiliiiiil,"axG",@progbits,_ZL15flash_attn_tileILi256ELi256ELi4ELi8ELb0EEvPKcS1_S1_S1_S1_PKiPfP15HIP_vector_typeIfLj2EEffffjfiS5_IjLj3EEiiiiiiiiiiiliiliiiiil,comdat
.Lfunc_end0:
	.size	_ZL15flash_attn_tileILi256ELi256ELi4ELi8ELb0EEvPKcS1_S1_S1_S1_PKiPfP15HIP_vector_typeIfLj2EEffffjfiS5_IjLj3EEiiiiiiiiiiiliiliiiiil, .Lfunc_end0-_ZL15flash_attn_tileILi256ELi256ELi4ELi8ELb0EEvPKcS1_S1_S1_S1_PKiPfP15HIP_vector_typeIfLj2EEffffjfiS5_IjLj3EEiiiiiiiiiiiliiliiiiil
                                        ; -- End function
	.set _ZL15flash_attn_tileILi256ELi256ELi4ELi8ELb0EEvPKcS1_S1_S1_S1_PKiPfP15HIP_vector_typeIfLj2EEffffjfiS5_IjLj3EEiiiiiiiiiiiliiliiiiil.num_vgpr, 105
	.set _ZL15flash_attn_tileILi256ELi256ELi4ELi8ELb0EEvPKcS1_S1_S1_S1_PKiPfP15HIP_vector_typeIfLj2EEffffjfiS5_IjLj3EEiiiiiiiiiiiliiliiiiil.num_agpr, 0
	.set _ZL15flash_attn_tileILi256ELi256ELi4ELi8ELb0EEvPKcS1_S1_S1_S1_PKiPfP15HIP_vector_typeIfLj2EEffffjfiS5_IjLj3EEiiiiiiiiiiiliiliiiiil.numbered_sgpr, 46
	.set _ZL15flash_attn_tileILi256ELi256ELi4ELi8ELb0EEvPKcS1_S1_S1_S1_PKiPfP15HIP_vector_typeIfLj2EEffffjfiS5_IjLj3EEiiiiiiiiiiiliiliiiiil.num_named_barrier, 0
	.set _ZL15flash_attn_tileILi256ELi256ELi4ELi8ELb0EEvPKcS1_S1_S1_S1_PKiPfP15HIP_vector_typeIfLj2EEffffjfiS5_IjLj3EEiiiiiiiiiiiliiliiiiil.private_seg_size, 0
	.set _ZL15flash_attn_tileILi256ELi256ELi4ELi8ELb0EEvPKcS1_S1_S1_S1_PKiPfP15HIP_vector_typeIfLj2EEffffjfiS5_IjLj3EEiiiiiiiiiiiliiliiiiil.uses_vcc, 1
	.set _ZL15flash_attn_tileILi256ELi256ELi4ELi8ELb0EEvPKcS1_S1_S1_S1_PKiPfP15HIP_vector_typeIfLj2EEffffjfiS5_IjLj3EEiiiiiiiiiiiliiliiiiil.uses_flat_scratch, 0
	.set _ZL15flash_attn_tileILi256ELi256ELi4ELi8ELb0EEvPKcS1_S1_S1_S1_PKiPfP15HIP_vector_typeIfLj2EEffffjfiS5_IjLj3EEiiiiiiiiiiiliiliiiiil.has_dyn_sized_stack, 0
	.set _ZL15flash_attn_tileILi256ELi256ELi4ELi8ELb0EEvPKcS1_S1_S1_S1_PKiPfP15HIP_vector_typeIfLj2EEffffjfiS5_IjLj3EEiiiiiiiiiiiliiliiiiil.has_recursion, 0
	.set _ZL15flash_attn_tileILi256ELi256ELi4ELi8ELb0EEvPKcS1_S1_S1_S1_PKiPfP15HIP_vector_typeIfLj2EEffffjfiS5_IjLj3EEiiiiiiiiiiiliiliiiiil.has_indirect_call, 0
	.section	.AMDGPU.csdata,"",@progbits
; Kernel info:
; codeLenInByte = 23924
; TotalNumSgprs: 52
; NumVgprs: 105
; NumAgprs: 0
; TotalNumVgprs: 105
; ScratchSize: 0
; MemoryBound: 0
; FloatMode: 240
; IeeeMode: 1
; LDSByteSize: 27136 bytes/workgroup (compile time only)
; SGPRBlocks: 12
; VGPRBlocks: 13
; NumSGPRsForWavesPerEU: 97
; NumVGPRsForWavesPerEU: 105
; AccumOffset: 108
; Occupancy: 4
; WaveLimiterHint : 1
; COMPUTE_PGM_RSRC2:SCRATCH_EN: 0
; COMPUTE_PGM_RSRC2:USER_SGPR: 2
; COMPUTE_PGM_RSRC2:TRAP_HANDLER: 0
; COMPUTE_PGM_RSRC2:TGID_X_EN: 1
; COMPUTE_PGM_RSRC2:TGID_Y_EN: 1
; COMPUTE_PGM_RSRC2:TGID_Z_EN: 1
; COMPUTE_PGM_RSRC2:TIDIG_COMP_CNT: 1
; COMPUTE_PGM_RSRC3_GFX90A:ACCUM_OFFSET: 26
; COMPUTE_PGM_RSRC3_GFX90A:TG_SPLIT: 0
	.section	.text._ZL25flash_attn_mask_to_KV_maxILi4EEvPK7__half2Piiii,"axG",@progbits,_ZL25flash_attn_mask_to_KV_maxILi4EEvPK7__half2Piiii,comdat
	.globl	_ZL25flash_attn_mask_to_KV_maxILi4EEvPK7__half2Piiii ; -- Begin function _ZL25flash_attn_mask_to_KV_maxILi4EEvPK7__half2Piiii
	.p2align	8
	.type	_ZL25flash_attn_mask_to_KV_maxILi4EEvPK7__half2Piiii,@function
_ZL25flash_attn_mask_to_KV_maxILi4EEvPK7__half2Piiii: ; @_ZL25flash_attn_mask_to_KV_maxILi4EEvPK7__half2Piiii
; %bb.0:
	s_load_dwordx4 s[4:7], s[0:1], 0x0
	v_cmp_gt_u32_e32 vcc, 32, v0
	s_and_saveexec_b64 s[8:9], vcc
; %bb.1:
	v_lshlrev_b32_e32 v1, 2, v0
	v_mov_b32_e32 v2, 1
	ds_write_b32 v1, v2
; %bb.2:
	s_or_b64 exec, exec, s[8:9]
	s_load_dwordx4 s[8:11], s[0:1], 0x10
	s_load_dword s24, s[0:1], 0x20
	v_and_b32_e32 v2, 31, v0
	v_lshlrev_b32_e32 v6, 2, v2
	v_lshrrev_b32_e32 v1, 3, v0
	s_waitcnt lgkmcnt(0)
	s_mul_i32 s1, s2, s9
	s_mul_i32 s0, s10, s3
	s_lshl_b32 s1, s1, 2
	s_add_i32 s0, s0, s1
	s_ashr_i32 s1, s0, 31
	s_lshl_b64 s[0:1], s[0:1], 2
	s_add_u32 s10, s4, s0
	s_addc_u32 s11, s5, s1
	v_cmp_eq_u32_e64 s[0:1], 0, v2
	v_mbcnt_lo_u32_b32 v2, -1, 0
	v_mbcnt_hi_u32_b32 v7, -1, v2
	v_and_b32_e32 v2, 0x60, v7
	s_lshl_b32 s8, s8, 8
	s_mov_b64 s[12:13], 0
	v_mov_b32_e32 v3, 0
	s_movk_i32 s25, 0x204
	v_add_u32_e32 v8, 32, v2
	v_xor_b32_e32 v9, 16, v7
	v_xor_b32_e32 v10, 8, v7
	;; [unrolled: 1-line block ×5, first 2 shown]
	s_barrier
                                        ; implicit-def: $sgpr4_sgpr5
	s_branch .LBB1_5
.LBB1_3:                                ;   in Loop: Header=BB1_5 Depth=1
	s_or_b64 exec, exec, s[14:15]
	s_waitcnt lgkmcnt(0)
	s_barrier
	ds_read_b32 v16, v6
	s_waitcnt lgkmcnt(0)
	s_barrier
	ds_bpermute_b32 v2, v2, v16
	v_cmp_ne_u32_e32 vcc, 0, v16
	s_waitcnt lgkmcnt(0)
	v_cmp_ne_u32_e64 s[4:5], 0, v2
	s_and_b64 s[4:5], vcc, s[4:5]
	s_nop 0
	v_cndmask_b32_e64 v2, 0, 1, s[4:5]
	ds_bpermute_b32 v2, v4, v2
	s_waitcnt lgkmcnt(0)
	v_cmp_ne_u32_e32 vcc, 0, v2
	s_and_b64 s[4:5], vcc, s[4:5]
	v_cndmask_b32_e64 v2, 0, 1, s[4:5]
	ds_bpermute_b32 v2, v5, v2
	s_waitcnt lgkmcnt(0)
	v_cmp_ne_u32_e32 vcc, 0, v2
	s_and_b64 s[4:5], vcc, s[4:5]
	;; [unrolled: 5-line block ×3, first 2 shown]
	v_cndmask_b32_e64 v2, 0, 1, s[4:5]
	ds_bpermute_b32 v2, v15, v2
	s_xor_b64 s[4:5], s[4:5], -1
	s_waitcnt lgkmcnt(0)
	v_cmp_eq_u32_e32 vcc, 0, v2
	s_or_b64 s[4:5], vcc, s[4:5]
.LBB1_4:                                ;   in Loop: Header=BB1_5 Depth=1
	s_and_b64 s[14:15], exec, s[4:5]
	s_or_b64 s[12:13], s[14:15], s[12:13]
	v_mov_b32_e32 v2, s8
	s_mov_b32 s8, s26
	s_andn2_b64 exec, exec, s[12:13]
	s_cbranch_execz .LBB1_20
.LBB1_5:                                ; =>This Inner Loop Header: Depth=1
	s_add_i32 s26, s8, 0xffffff00
	s_or_b64 s[4:5], s[4:5], exec
	s_cmp_lt_i32 s26, 0
	s_cbranch_scc1 .LBB1_4
; %bb.6:                                ;   in Loop: Header=BB1_5 Depth=1
	s_lshr_b32 s4, s26, 1
	v_add_u32_e32 v2, s4, v0
	v_lshl_add_u64 v[4:5], v[2:3], 2, s[10:11]
	global_load_dword v4, v[4:5], off
	v_mov_b32_e32 v5, 0
	s_waitcnt vmcnt(0)
	v_cmp_class_f16_e64 s[4:5], v4, s25
	v_cmp_class_f16_sdwa s[14:15], v4, s25 src0_sel:WORD_1 src1_sel:DWORD
	s_and_b64 s[14:15], s[4:5], s[14:15]
	s_and_saveexec_b64 s[4:5], s[14:15]
	s_cbranch_execz .LBB1_18
; %bb.7:                                ;   in Loop: Header=BB1_5 Depth=1
	v_add_u32_e32 v4, s9, v2
	v_ashrrev_i32_e32 v5, 31, v4
	v_lshl_add_u64 v[14:15], v[4:5], 2, s[10:11]
	global_load_dword v2, v[14:15], off
	v_mov_b32_e32 v5, 0
	s_waitcnt vmcnt(0)
	v_cmp_class_f16_e64 s[16:17], v2, s25
	s_and_saveexec_b64 s[14:15], s[16:17]
	s_cbranch_execz .LBB1_17
; %bb.8:                                ;   in Loop: Header=BB1_5 Depth=1
	v_cmp_class_f16_sdwa s[18:19], v2, s25 src0_sel:WORD_1 src1_sel:DWORD
	v_mov_b32_e32 v5, 0
	s_and_saveexec_b64 s[16:17], s[18:19]
	s_cbranch_execz .LBB1_16
; %bb.9:                                ;   in Loop: Header=BB1_5 Depth=1
	v_add_u32_e32 v4, s9, v4
	v_ashrrev_i32_e32 v5, 31, v4
	v_lshl_add_u64 v[14:15], v[4:5], 2, s[10:11]
	global_load_dword v2, v[14:15], off
	v_mov_b32_e32 v5, 0
	s_waitcnt vmcnt(0)
	v_cmp_class_f16_e64 s[20:21], v2, s25
	s_and_saveexec_b64 s[18:19], s[20:21]
	s_cbranch_execz .LBB1_15
; %bb.10:                               ;   in Loop: Header=BB1_5 Depth=1
	v_cmp_class_f16_sdwa s[22:23], v2, s25 src0_sel:WORD_1 src1_sel:DWORD
	v_mov_b32_e32 v5, 0
	s_and_saveexec_b64 s[20:21], s[22:23]
	s_cbranch_execz .LBB1_14
; %bb.11:                               ;   in Loop: Header=BB1_5 Depth=1
	v_add_u32_e32 v4, s9, v4
	v_ashrrev_i32_e32 v5, 31, v4
	v_lshl_add_u64 v[4:5], v[4:5], 2, s[10:11]
	global_load_dword v2, v[4:5], off
	v_mov_b32_e32 v5, 0
	s_waitcnt vmcnt(0)
	v_cmp_class_f16_e64 s[28:29], v2, s25
	s_and_saveexec_b64 s[22:23], s[28:29]
; %bb.12:                               ;   in Loop: Header=BB1_5 Depth=1
	v_cmp_class_f16_sdwa s[28:29], v2, s25 src0_sel:WORD_1 src1_sel:DWORD
	s_nop 1
	v_cndmask_b32_e64 v5, 0, 1, s[28:29]
; %bb.13:                               ;   in Loop: Header=BB1_5 Depth=1
	s_or_b64 exec, exec, s[22:23]
.LBB1_14:                               ;   in Loop: Header=BB1_5 Depth=1
	s_or_b64 exec, exec, s[20:21]
.LBB1_15:                               ;   in Loop: Header=BB1_5 Depth=1
	s_or_b64 exec, exec, s[18:19]
.LBB1_16:                               ;   in Loop: Header=BB1_5 Depth=1
	s_or_b64 exec, exec, s[16:17]
.LBB1_17:                               ;   in Loop: Header=BB1_5 Depth=1
	s_or_b64 exec, exec, s[14:15]
.LBB1_18:                               ;   in Loop: Header=BB1_5 Depth=1
	s_or_b64 exec, exec, s[4:5]
	v_cmp_lt_i32_e32 vcc, v9, v8
	s_nop 1
	v_cndmask_b32_e32 v2, v7, v9, vcc
	v_lshlrev_b32_e32 v2, 2, v2
	ds_bpermute_b32 v4, v2, v5
	v_cmp_ne_u32_e32 vcc, 0, v5
	s_waitcnt lgkmcnt(0)
	v_cmp_ne_u32_e64 s[4:5], 0, v4
	s_and_b64 s[4:5], vcc, s[4:5]
	v_cmp_lt_i32_e32 vcc, v10, v8
	v_cndmask_b32_e64 v5, 0, 1, s[4:5]
	s_nop 0
	v_cndmask_b32_e32 v4, v7, v10, vcc
	v_lshlrev_b32_e32 v4, 2, v4
	ds_bpermute_b32 v5, v4, v5
	s_waitcnt lgkmcnt(0)
	v_cmp_ne_u32_e32 vcc, 0, v5
	s_and_b64 s[4:5], vcc, s[4:5]
	v_cmp_lt_i32_e32 vcc, v11, v8
	v_cndmask_b32_e64 v14, 0, 1, s[4:5]
	s_nop 0
	v_cndmask_b32_e32 v5, v7, v11, vcc
	v_lshlrev_b32_e32 v5, 2, v5
	ds_bpermute_b32 v14, v5, v14
	s_waitcnt lgkmcnt(0)
	v_cmp_ne_u32_e32 vcc, 0, v14
	;; [unrolled: 9-line block ×3, first 2 shown]
	s_and_b64 s[4:5], vcc, s[4:5]
	v_cmp_lt_i32_e32 vcc, v13, v8
	v_cndmask_b32_e64 v16, 0, 1, s[4:5]
	s_nop 0
	v_cndmask_b32_e32 v15, v7, v13, vcc
	v_lshlrev_b32_e32 v15, 2, v15
	ds_bpermute_b32 v16, v15, v16
	s_and_saveexec_b64 s[14:15], s[0:1]
	s_cbranch_execz .LBB1_3
; %bb.19:                               ;   in Loop: Header=BB1_5 Depth=1
	s_waitcnt lgkmcnt(0)
	v_cmp_ne_u32_e32 vcc, 0, v16
	s_and_b64 s[4:5], vcc, s[4:5]
	v_cndmask_b32_e64 v16, 0, 1, s[4:5]
	ds_write_b32 v1, v16
	s_branch .LBB1_3
.LBB1_20:
	s_or_b64 exec, exec, s[12:13]
	v_cmp_eq_u32_e32 vcc, 0, v0
	s_and_saveexec_b64 s[0:1], vcc
	s_cbranch_execz .LBB1_22
; %bb.21:
	s_mul_i32 s0, s24, s3
	s_add_i32 s0, s0, s2
	s_ashr_i32 s1, s0, 31
	s_lshl_b64 s[0:1], s[0:1], 2
	s_add_u32 s0, s6, s0
	s_addc_u32 s1, s7, s1
	v_mov_b32_e32 v0, 0
	global_store_dword v0, v2, s[0:1]
.LBB1_22:
	s_endpgm
	.section	.rodata,"a",@progbits
	.p2align	6, 0x0
	.amdhsa_kernel _ZL25flash_attn_mask_to_KV_maxILi4EEvPK7__half2Piiii
		.amdhsa_group_segment_fixed_size 128
		.amdhsa_private_segment_fixed_size 0
		.amdhsa_kernarg_size 288
		.amdhsa_user_sgpr_count 2
		.amdhsa_user_sgpr_dispatch_ptr 0
		.amdhsa_user_sgpr_queue_ptr 0
		.amdhsa_user_sgpr_kernarg_segment_ptr 1
		.amdhsa_user_sgpr_dispatch_id 0
		.amdhsa_user_sgpr_kernarg_preload_length 0
		.amdhsa_user_sgpr_kernarg_preload_offset 0
		.amdhsa_user_sgpr_private_segment_size 0
		.amdhsa_uses_dynamic_stack 0
		.amdhsa_enable_private_segment 0
		.amdhsa_system_sgpr_workgroup_id_x 1
		.amdhsa_system_sgpr_workgroup_id_y 1
		.amdhsa_system_sgpr_workgroup_id_z 0
		.amdhsa_system_sgpr_workgroup_info 0
		.amdhsa_system_vgpr_workitem_id 0
		.amdhsa_next_free_vgpr 17
		.amdhsa_next_free_sgpr 30
		.amdhsa_accum_offset 20
		.amdhsa_reserve_vcc 1
		.amdhsa_float_round_mode_32 0
		.amdhsa_float_round_mode_16_64 0
		.amdhsa_float_denorm_mode_32 3
		.amdhsa_float_denorm_mode_16_64 3
		.amdhsa_dx10_clamp 1
		.amdhsa_ieee_mode 1
		.amdhsa_fp16_overflow 0
		.amdhsa_tg_split 0
		.amdhsa_exception_fp_ieee_invalid_op 0
		.amdhsa_exception_fp_denorm_src 0
		.amdhsa_exception_fp_ieee_div_zero 0
		.amdhsa_exception_fp_ieee_overflow 0
		.amdhsa_exception_fp_ieee_underflow 0
		.amdhsa_exception_fp_ieee_inexact 0
		.amdhsa_exception_int_div_zero 0
	.end_amdhsa_kernel
	.section	.text._ZL25flash_attn_mask_to_KV_maxILi4EEvPK7__half2Piiii,"axG",@progbits,_ZL25flash_attn_mask_to_KV_maxILi4EEvPK7__half2Piiii,comdat
.Lfunc_end1:
	.size	_ZL25flash_attn_mask_to_KV_maxILi4EEvPK7__half2Piiii, .Lfunc_end1-_ZL25flash_attn_mask_to_KV_maxILi4EEvPK7__half2Piiii
                                        ; -- End function
	.set _ZL25flash_attn_mask_to_KV_maxILi4EEvPK7__half2Piiii.num_vgpr, 17
	.set _ZL25flash_attn_mask_to_KV_maxILi4EEvPK7__half2Piiii.num_agpr, 0
	.set _ZL25flash_attn_mask_to_KV_maxILi4EEvPK7__half2Piiii.numbered_sgpr, 30
	.set _ZL25flash_attn_mask_to_KV_maxILi4EEvPK7__half2Piiii.num_named_barrier, 0
	.set _ZL25flash_attn_mask_to_KV_maxILi4EEvPK7__half2Piiii.private_seg_size, 0
	.set _ZL25flash_attn_mask_to_KV_maxILi4EEvPK7__half2Piiii.uses_vcc, 1
	.set _ZL25flash_attn_mask_to_KV_maxILi4EEvPK7__half2Piiii.uses_flat_scratch, 0
	.set _ZL25flash_attn_mask_to_KV_maxILi4EEvPK7__half2Piiii.has_dyn_sized_stack, 0
	.set _ZL25flash_attn_mask_to_KV_maxILi4EEvPK7__half2Piiii.has_recursion, 0
	.set _ZL25flash_attn_mask_to_KV_maxILi4EEvPK7__half2Piiii.has_indirect_call, 0
	.section	.AMDGPU.csdata,"",@progbits
; Kernel info:
; codeLenInByte = 988
; TotalNumSgprs: 36
; NumVgprs: 17
; NumAgprs: 0
; TotalNumVgprs: 17
; ScratchSize: 0
; MemoryBound: 0
; FloatMode: 240
; IeeeMode: 1
; LDSByteSize: 128 bytes/workgroup (compile time only)
; SGPRBlocks: 4
; VGPRBlocks: 2
; NumSGPRsForWavesPerEU: 36
; NumVGPRsForWavesPerEU: 17
; AccumOffset: 20
; Occupancy: 8
; WaveLimiterHint : 0
; COMPUTE_PGM_RSRC2:SCRATCH_EN: 0
; COMPUTE_PGM_RSRC2:USER_SGPR: 2
; COMPUTE_PGM_RSRC2:TRAP_HANDLER: 0
; COMPUTE_PGM_RSRC2:TGID_X_EN: 1
; COMPUTE_PGM_RSRC2:TGID_Y_EN: 1
; COMPUTE_PGM_RSRC2:TGID_Z_EN: 0
; COMPUTE_PGM_RSRC2:TIDIG_COMP_CNT: 0
; COMPUTE_PGM_RSRC3_GFX90A:ACCUM_OFFSET: 4
; COMPUTE_PGM_RSRC3_GFX90A:TG_SPLIT: 0
	.section	.text._ZL33flash_attn_stream_k_fixup_uniformILi256ELi4ELi8EEvPfPK15HIP_vector_typeIfLj2EEiiiiiiS1_IjLj3EES5_S5_,"axG",@progbits,_ZL33flash_attn_stream_k_fixup_uniformILi256ELi4ELi8EEvPfPK15HIP_vector_typeIfLj2EEiiiiiiS1_IjLj3EES5_S5_,comdat
	.globl	_ZL33flash_attn_stream_k_fixup_uniformILi256ELi4ELi8EEvPfPK15HIP_vector_typeIfLj2EEiiiiiiS1_IjLj3EES5_S5_ ; -- Begin function _ZL33flash_attn_stream_k_fixup_uniformILi256ELi4ELi8EEvPfPK15HIP_vector_typeIfLj2EEiiiiiiS1_IjLj3EES5_S5_
	.p2align	8
	.type	_ZL33flash_attn_stream_k_fixup_uniformILi256ELi4ELi8EEvPfPK15HIP_vector_typeIfLj2EEiiiiiiS1_IjLj3EES5_S5_,@function
_ZL33flash_attn_stream_k_fixup_uniformILi256ELi4ELi8EEvPfPK15HIP_vector_typeIfLj2EEiiiiiiS1_IjLj3EES5_S5_: ; @_ZL33flash_attn_stream_k_fixup_uniformILi256ELi4ELi8EEvPfPK15HIP_vector_typeIfLj2EEiiiiiiS1_IjLj3EES5_S5_
; %bb.0:
	s_load_dwordx8 s[8:15], s[0:1], 0x1c
	s_load_dwordx2 s[6:7], s[0:1], 0x10
	s_load_dwordx4 s[20:23], s[0:1], 0x3c
	s_waitcnt lgkmcnt(0)
	s_mul_hi_u32 s5, s11, s2
	s_add_i32 s5, s2, s5
	s_lshr_b32 s5, s5, s12
	s_mul_i32 s11, s5, s13
	s_sub_i32 s11, s2, s11
	s_mul_hi_u32 s12, s11, s14
	s_add_i32 s12, s11, s12
	s_lshr_b32 s16, s12, s15
	s_mul_i32 s12, s16, s20
	s_sub_i32 s11, s11, s12
	;; [unrolled: 5-line block ×3, first 2 shown]
	s_lshl_b32 s11, s12, 3
	s_lshl_b32 s12, s17, 2
	s_add_i32 s12, s12, s3
	s_cmp_lt_i32 s12, s6
	s_cselect_b64 s[12:13], -1, 0
	s_add_i32 s14, s11, s4
	s_cmp_lt_i32 s14, s9
	s_cselect_b64 s[14:15], -1, 0
	s_and_b64 s[12:13], s[12:13], s[14:15]
	s_andn2_b64 vcc, exec, s[12:13]
	s_cbranch_vccnz .LBB2_6
; %bb.1:
	s_load_dwordx4 s[12:15], s[0:1], 0x0
	s_mul_i32 s0, s5, s6
	s_add_i32 s0, s0, s3
	s_mul_i32 s0, s0, s7
	s_mul_i32 s16, s16, s9
	s_add_i32 s0, s0, s4
	s_add_i32 s0, s0, s16
	s_mul_i32 s1, s7, s17
	s_add_i32 s0, s0, s11
	s_lshl_b32 s1, s1, 10
	s_lshl_b32 s0, s0, 8
	s_add_i32 s1, s1, s0
	v_or_b32_e32 v4, s1, v0
	s_waitcnt lgkmcnt(0)
	v_mov_b32_e32 v2, s12
	v_mov_b32_e32 v3, s13
	v_ashrrev_i32_e32 v5, 31, v4
	v_lshl_add_u64 v[2:3], v[4:5], 2, v[2:3]
	global_load_dword v5, v[2:3], off
	s_mul_i32 s5, s10, s2
	s_lshl_b32 s11, s3, 3
	s_add_i32 s9, s5, s10
	s_add_i32 s0, s11, s4
	s_lshl_b32 s1, s9, 5
	s_add_i32 s0, s0, s1
	s_sub_i32 s0, s0, 32
	s_ashr_i32 s1, s0, 31
	s_lshl_b64 s[0:1], s[0:1], 3
	s_add_u32 s0, s14, s0
	s_addc_u32 s1, s15, s1
	s_load_dword s12, s[0:1], 0x4
	s_add_i32 s6, s9, -2
	s_cmp_lt_i32 s6, s5
	s_cbranch_scc1 .LBB2_4
; %bb.2:
	s_lshl_b32 s6, s8, 7
	s_ashr_i32 s7, s6, 31
	s_lshl_b64 s[6:7], s[6:7], 2
	s_add_u32 s6, s14, s6
	s_addc_u32 s7, s15, s7
	s_add_i32 s2, s2, 1
	s_load_dword s0, s[0:1], 0x0
	s_mul_i32 s1, s10, s2
	s_lshl_b32 s3, s3, 11
	s_lshl_b32 s10, s4, 8
	s_lshl_b32 s2, s1, 13
	s_add_i32 s3, s10, s3
	s_lshl_b32 s1, s1, 5
	s_add_i32 s3, s3, s2
	s_add_i32 s1, s4, s1
	s_lshl_b32 s2, s8, 5
	s_add_i32 s1, s1, s2
	v_or_b32_e32 v0, s3, v0
	s_add_i32 s1, s1, s11
	s_add_i32 s9, s9, -1
	v_add_u32_e32 v0, 0xffffc000, v0
	s_sub_i32 s2, s1, 64
	s_waitcnt lgkmcnt(0)
	v_mov_b32_e32 v7, s0
	v_mov_b32_e32 v4, s12
	s_mov_b32 s4, 0x3fb8aa3b
	s_mov_b32 s8, 0xc2ce8ed0
	;; [unrolled: 1-line block ×3, first 2 shown]
	v_mov_b32_e32 v6, 0x7f800000
	s_mov_b32 s11, 0xc1a00000
.LBB2_3:                                ; =>This Inner Loop Header: Depth=1
	v_ashrrev_i32_e32 v1, 31, v0
	v_lshl_add_u64 v[8:9], v[0:1], 2, s[6:7]
	global_load_dword v9, v[8:9], off
	s_ashr_i32 s3, s2, 31
	s_lshl_b64 s[0:1], s[2:3], 3
	s_add_u32 s0, s14, s0
	s_addc_u32 s1, s15, s1
	s_load_dwordx2 s[0:1], s[0:1], 0x0
	v_max_f32_e32 v1, v7, v7
	s_add_i32 s9, s9, -1
	s_sub_i32 s2, s2, 32
	v_add_u32_e32 v0, 0xffffe000, v0
	s_waitcnt lgkmcnt(0)
	v_max_f32_e64 v10, s0, s0
	v_max_f32_e32 v1, v1, v10
	v_sub_f32_e32 v11, s0, v1
	v_sub_f32_e32 v10, v7, v1
	v_mul_f32_e32 v12, 0x3fb8aa3b, v11
	v_mov_b32_e32 v7, v1
	v_mul_f32_e32 v1, 0x3fb8aa3b, v10
	v_fma_f32 v15, v11, s4, -v12
	v_rndne_f32_e32 v16, v12
	v_fma_f32 v13, v10, s4, -v1
	v_rndne_f32_e32 v14, v1
	v_fmac_f32_e32 v15, 0x32a5705f, v11
	v_sub_f32_e32 v12, v12, v16
	v_fmac_f32_e32 v13, 0x32a5705f, v10
	v_sub_f32_e32 v1, v1, v14
	v_add_f32_e32 v12, v12, v15
	v_cvt_i32_f32_e32 v16, v16
	v_add_f32_e32 v1, v1, v13
	v_exp_f32_e32 v12, v12
	v_cvt_i32_f32_e32 v14, v14
	v_exp_f32_e32 v1, v1
	v_cmp_ngt_f32_e32 vcc, s8, v11
	v_ldexp_f32 v12, v12, v16
	v_mov_b32_e32 v8, s1
	v_ldexp_f32 v1, v1, v14
	v_cmp_ngt_f32_e64 s[0:1], s8, v10
	v_cndmask_b32_e32 v12, 0, v12, vcc
	v_cmp_nlt_f32_e32 vcc, s10, v11
	v_cndmask_b32_e64 v1, 0, v1, s[0:1]
	v_cmp_nlt_f32_e64 s[0:1], s10, v10
	v_cndmask_b32_e32 v12, v6, v12, vcc
	v_cmp_le_f32_e32 vcc, s11, v11
	v_cndmask_b32_e64 v1, v6, v1, s[0:1]
	v_cmp_le_f32_e64 s[0:1], s11, v10
	v_cndmask_b32_e32 v12, 0, v12, vcc
	s_cmp_le_i32 s9, s5
	v_cndmask_b32_e64 v10, 0, v1, s[0:1]
	s_waitcnt vmcnt(0)
	v_pk_mul_f32 v[8:9], v[8:9], v[12:13] op_sel_hi:[1,0]
	s_nop 0
	v_pk_fma_f32 v[4:5], v[4:5], v[10:11], v[8:9] op_sel_hi:[1,0,1]
	s_cbranch_scc0 .LBB2_3
	s_branch .LBB2_5
.LBB2_4:
	s_waitcnt lgkmcnt(0)
	v_mov_b32_e32 v4, s12
.LBB2_5:
	s_waitcnt vmcnt(0)
	v_div_scale_f32 v0, s[0:1], v4, v4, v5
	v_rcp_f32_e32 v1, v0
	v_div_scale_f32 v6, vcc, v5, v4, v5
	v_fma_f32 v7, -v0, v1, 1.0
	v_fmac_f32_e32 v1, v7, v1
	v_mul_f32_e32 v7, v6, v1
	v_fma_f32 v8, -v0, v7, v6
	v_fmac_f32_e32 v7, v8, v1
	v_fma_f32 v0, -v0, v7, v6
	v_div_fmas_f32 v0, v0, v1, v7
	v_div_fixup_f32 v0, v0, v4, v5
	global_store_dword v[2:3], v0, off
.LBB2_6:
	s_endpgm
	.section	.rodata,"a",@progbits
	.p2align	6, 0x0
	.amdhsa_kernel _ZL33flash_attn_stream_k_fixup_uniformILi256ELi4ELi8EEvPfPK15HIP_vector_typeIfLj2EEiiiiiiS1_IjLj3EES5_S5_
		.amdhsa_group_segment_fixed_size 0
		.amdhsa_private_segment_fixed_size 0
		.amdhsa_kernarg_size 76
		.amdhsa_user_sgpr_count 2
		.amdhsa_user_sgpr_dispatch_ptr 0
		.amdhsa_user_sgpr_queue_ptr 0
		.amdhsa_user_sgpr_kernarg_segment_ptr 1
		.amdhsa_user_sgpr_dispatch_id 0
		.amdhsa_user_sgpr_kernarg_preload_length 0
		.amdhsa_user_sgpr_kernarg_preload_offset 0
		.amdhsa_user_sgpr_private_segment_size 0
		.amdhsa_uses_dynamic_stack 0
		.amdhsa_enable_private_segment 0
		.amdhsa_system_sgpr_workgroup_id_x 1
		.amdhsa_system_sgpr_workgroup_id_y 1
		.amdhsa_system_sgpr_workgroup_id_z 1
		.amdhsa_system_sgpr_workgroup_info 0
		.amdhsa_system_vgpr_workitem_id 0
		.amdhsa_next_free_vgpr 17
		.amdhsa_next_free_sgpr 24
		.amdhsa_accum_offset 20
		.amdhsa_reserve_vcc 1
		.amdhsa_float_round_mode_32 0
		.amdhsa_float_round_mode_16_64 0
		.amdhsa_float_denorm_mode_32 3
		.amdhsa_float_denorm_mode_16_64 3
		.amdhsa_dx10_clamp 1
		.amdhsa_ieee_mode 1
		.amdhsa_fp16_overflow 0
		.amdhsa_tg_split 0
		.amdhsa_exception_fp_ieee_invalid_op 0
		.amdhsa_exception_fp_denorm_src 0
		.amdhsa_exception_fp_ieee_div_zero 0
		.amdhsa_exception_fp_ieee_overflow 0
		.amdhsa_exception_fp_ieee_underflow 0
		.amdhsa_exception_fp_ieee_inexact 0
		.amdhsa_exception_int_div_zero 0
	.end_amdhsa_kernel
	.section	.text._ZL33flash_attn_stream_k_fixup_uniformILi256ELi4ELi8EEvPfPK15HIP_vector_typeIfLj2EEiiiiiiS1_IjLj3EES5_S5_,"axG",@progbits,_ZL33flash_attn_stream_k_fixup_uniformILi256ELi4ELi8EEvPfPK15HIP_vector_typeIfLj2EEiiiiiiS1_IjLj3EES5_S5_,comdat
.Lfunc_end2:
	.size	_ZL33flash_attn_stream_k_fixup_uniformILi256ELi4ELi8EEvPfPK15HIP_vector_typeIfLj2EEiiiiiiS1_IjLj3EES5_S5_, .Lfunc_end2-_ZL33flash_attn_stream_k_fixup_uniformILi256ELi4ELi8EEvPfPK15HIP_vector_typeIfLj2EEiiiiiiS1_IjLj3EES5_S5_
                                        ; -- End function
	.set _ZL33flash_attn_stream_k_fixup_uniformILi256ELi4ELi8EEvPfPK15HIP_vector_typeIfLj2EEiiiiiiS1_IjLj3EES5_S5_.num_vgpr, 17
	.set _ZL33flash_attn_stream_k_fixup_uniformILi256ELi4ELi8EEvPfPK15HIP_vector_typeIfLj2EEiiiiiiS1_IjLj3EES5_S5_.num_agpr, 0
	.set _ZL33flash_attn_stream_k_fixup_uniformILi256ELi4ELi8EEvPfPK15HIP_vector_typeIfLj2EEiiiiiiS1_IjLj3EES5_S5_.numbered_sgpr, 24
	.set _ZL33flash_attn_stream_k_fixup_uniformILi256ELi4ELi8EEvPfPK15HIP_vector_typeIfLj2EEiiiiiiS1_IjLj3EES5_S5_.num_named_barrier, 0
	.set _ZL33flash_attn_stream_k_fixup_uniformILi256ELi4ELi8EEvPfPK15HIP_vector_typeIfLj2EEiiiiiiS1_IjLj3EES5_S5_.private_seg_size, 0
	.set _ZL33flash_attn_stream_k_fixup_uniformILi256ELi4ELi8EEvPfPK15HIP_vector_typeIfLj2EEiiiiiiS1_IjLj3EES5_S5_.uses_vcc, 1
	.set _ZL33flash_attn_stream_k_fixup_uniformILi256ELi4ELi8EEvPfPK15HIP_vector_typeIfLj2EEiiiiiiS1_IjLj3EES5_S5_.uses_flat_scratch, 0
	.set _ZL33flash_attn_stream_k_fixup_uniformILi256ELi4ELi8EEvPfPK15HIP_vector_typeIfLj2EEiiiiiiS1_IjLj3EES5_S5_.has_dyn_sized_stack, 0
	.set _ZL33flash_attn_stream_k_fixup_uniformILi256ELi4ELi8EEvPfPK15HIP_vector_typeIfLj2EEiiiiiiS1_IjLj3EES5_S5_.has_recursion, 0
	.set _ZL33flash_attn_stream_k_fixup_uniformILi256ELi4ELi8EEvPfPK15HIP_vector_typeIfLj2EEiiiiiiS1_IjLj3EES5_S5_.has_indirect_call, 0
	.section	.AMDGPU.csdata,"",@progbits
; Kernel info:
; codeLenInByte = 836
; TotalNumSgprs: 30
; NumVgprs: 17
; NumAgprs: 0
; TotalNumVgprs: 17
; ScratchSize: 0
; MemoryBound: 0
; FloatMode: 240
; IeeeMode: 1
; LDSByteSize: 0 bytes/workgroup (compile time only)
; SGPRBlocks: 3
; VGPRBlocks: 2
; NumSGPRsForWavesPerEU: 30
; NumVGPRsForWavesPerEU: 17
; AccumOffset: 20
; Occupancy: 8
; WaveLimiterHint : 0
; COMPUTE_PGM_RSRC2:SCRATCH_EN: 0
; COMPUTE_PGM_RSRC2:USER_SGPR: 2
; COMPUTE_PGM_RSRC2:TRAP_HANDLER: 0
; COMPUTE_PGM_RSRC2:TGID_X_EN: 1
; COMPUTE_PGM_RSRC2:TGID_Y_EN: 1
; COMPUTE_PGM_RSRC2:TGID_Z_EN: 1
; COMPUTE_PGM_RSRC2:TIDIG_COMP_CNT: 0
; COMPUTE_PGM_RSRC3_GFX90A:ACCUM_OFFSET: 4
; COMPUTE_PGM_RSRC3_GFX90A:TG_SPLIT: 0
	.section	.text._ZL33flash_attn_stream_k_fixup_generalILi256ELi4ELi8EEvPfPK15HIP_vector_typeIfLj2EEiiiiS1_IjLj3EES5_S5_S5_,"axG",@progbits,_ZL33flash_attn_stream_k_fixup_generalILi256ELi4ELi8EEvPfPK15HIP_vector_typeIfLj2EEiiiiS1_IjLj3EES5_S5_S5_,comdat
	.globl	_ZL33flash_attn_stream_k_fixup_generalILi256ELi4ELi8EEvPfPK15HIP_vector_typeIfLj2EEiiiiS1_IjLj3EES5_S5_S5_ ; -- Begin function _ZL33flash_attn_stream_k_fixup_generalILi256ELi4ELi8EEvPfPK15HIP_vector_typeIfLj2EEiiiiS1_IjLj3EES5_S5_S5_
	.p2align	8
	.type	_ZL33flash_attn_stream_k_fixup_generalILi256ELi4ELi8EEvPfPK15HIP_vector_typeIfLj2EEiiiiS1_IjLj3EES5_S5_S5_,@function
_ZL33flash_attn_stream_k_fixup_generalILi256ELi4ELi8EEvPfPK15HIP_vector_typeIfLj2EEiiiiS1_IjLj3EES5_S5_S5_: ; @_ZL33flash_attn_stream_k_fixup_generalILi256ELi4ELi8EEvPfPK15HIP_vector_typeIfLj2EEiiiiS1_IjLj3EES5_S5_S5_
; %bb.0:
	s_load_dwordx4 s[8:11], s[0:1], 0x10
	s_load_dword s22, s[0:1], 0x50
	s_mov_b32 s12, 0
	s_waitcnt lgkmcnt(0)
	s_mul_hi_i32 s13, s11, s2
	s_cmp_lg_u64 s[12:13], 0
	s_mul_i32 s5, s11, s2
	s_cbranch_scc0 .LBB3_20
; %bb.1:
	s_add_u32 s6, s22, 0
	s_addc_u32 s7, 0, 0
	s_xor_b64 s[6:7], s[6:7], 0
	v_cvt_f32_u32_e32 v1, s6
	v_cvt_f32_u32_e32 v2, s7
	s_sub_u32 s12, 0, s6
	s_subb_u32 s18, 0, s7
	v_fmamk_f32 v1, v2, 0x4f800000, v1
	v_rcp_f32_e32 v1, v1
	s_nop 0
	v_mul_f32_e32 v1, 0x5f7ffffc, v1
	v_mul_f32_e32 v2, 0x2f800000, v1
	v_trunc_f32_e32 v2, v2
	v_fmamk_f32 v1, v2, 0xcf800000, v1
	v_cvt_u32_f32_e32 v2, v2
	v_cvt_u32_f32_e32 v1, v1
	v_readfirstlane_b32 s19, v2
	v_readfirstlane_b32 s14, v1
	s_mul_i32 s15, s12, s19
	s_mul_hi_u32 s21, s12, s14
	s_mul_i32 s20, s18, s14
	s_add_i32 s15, s21, s15
	s_add_i32 s15, s15, s20
	s_mul_i32 s23, s12, s14
	s_mul_i32 s21, s14, s15
	s_mul_hi_u32 s24, s14, s23
	s_mul_hi_u32 s20, s14, s15
	s_add_u32 s21, s24, s21
	s_addc_u32 s20, 0, s20
	s_mul_hi_u32 s25, s19, s23
	s_mul_i32 s23, s19, s23
	s_add_u32 s21, s21, s23
	s_mul_hi_u32 s24, s19, s15
	s_addc_u32 s20, s20, s25
	s_addc_u32 s21, s24, 0
	s_mul_i32 s15, s19, s15
	s_add_u32 s15, s20, s15
	s_addc_u32 s20, 0, s21
	s_add_u32 s21, s14, s15
	s_cselect_b64 s[14:15], -1, 0
	s_cmp_lg_u64 s[14:15], 0
	s_addc_u32 s19, s19, s20
	s_mul_i32 s14, s12, s19
	s_mul_hi_u32 s15, s12, s21
	s_add_i32 s14, s15, s14
	s_mul_i32 s18, s18, s21
	s_add_i32 s14, s14, s18
	s_mul_i32 s12, s12, s21
	s_mul_hi_u32 s18, s19, s12
	s_mul_i32 s20, s19, s12
	s_mul_i32 s24, s21, s14
	s_mul_hi_u32 s12, s21, s12
	s_mul_hi_u32 s23, s21, s14
	s_add_u32 s12, s12, s24
	s_addc_u32 s23, 0, s23
	s_add_u32 s12, s12, s20
	s_mul_hi_u32 s15, s19, s14
	s_addc_u32 s12, s23, s18
	s_addc_u32 s15, s15, 0
	s_mul_i32 s14, s19, s14
	s_add_u32 s12, s12, s14
	s_addc_u32 s18, 0, s15
	s_add_u32 s20, s21, s12
	s_cselect_b64 s[14:15], -1, 0
	s_cmp_lg_u64 s[14:15], 0
	s_addc_u32 s18, s19, s18
	s_ashr_i32 s14, s13, 31
	s_add_u32 s12, s5, s14
	s_mov_b32 s15, s14
	s_addc_u32 s13, s13, s14
	s_xor_b64 s[12:13], s[12:13], s[14:15]
	s_mul_i32 s21, s12, s18
	s_mul_hi_u32 s23, s12, s20
	s_mul_hi_u32 s19, s12, s18
	s_add_u32 s21, s23, s21
	s_addc_u32 s19, 0, s19
	s_mul_hi_u32 s24, s13, s20
	s_mul_i32 s20, s13, s20
	s_add_u32 s20, s21, s20
	s_mul_hi_u32 s23, s13, s18
	s_addc_u32 s19, s19, s24
	s_addc_u32 s20, s23, 0
	s_mul_i32 s18, s13, s18
	s_add_u32 s23, s19, s18
	s_addc_u32 s24, 0, s20
	s_mul_i32 s18, s6, s24
	s_mul_hi_u32 s19, s6, s23
	s_add_i32 s18, s19, s18
	s_mul_i32 s19, s7, s23
	s_add_i32 s25, s18, s19
	s_sub_i32 s20, s13, s25
	s_mul_i32 s18, s6, s23
	s_sub_u32 s12, s12, s18
	s_cselect_b64 s[18:19], -1, 0
	s_cmp_lg_u64 s[18:19], 0
	s_subb_u32 s26, s20, s7
	s_sub_u32 s27, s12, s6
	s_cselect_b64 s[20:21], -1, 0
	s_cmp_lg_u64 s[20:21], 0
	s_subb_u32 s20, s26, 0
	s_cmp_ge_u32 s20, s7
	s_cselect_b32 s21, -1, 0
	s_cmp_ge_u32 s27, s6
	s_cselect_b32 s26, -1, 0
	s_cmp_eq_u32 s20, s7
	s_cselect_b32 s20, s26, s21
	s_add_u32 s21, s23, 1
	s_addc_u32 s26, s24, 0
	s_add_u32 s27, s23, 2
	s_addc_u32 s28, s24, 0
	s_cmp_lg_u32 s20, 0
	s_cselect_b32 s20, s27, s21
	s_cselect_b32 s21, s28, s26
	s_cmp_lg_u64 s[18:19], 0
	s_subb_u32 s13, s13, s25
	s_cmp_ge_u32 s13, s7
	s_cselect_b32 s18, -1, 0
	s_cmp_ge_u32 s12, s6
	s_cselect_b32 s6, -1, 0
	s_cmp_eq_u32 s13, s7
	s_cselect_b32 s6, s6, s18
	s_cmp_lg_u32 s6, 0
	s_cselect_b32 s7, s21, s24
	s_cselect_b32 s6, s20, s23
	s_xor_b64 s[12:13], s[14:15], 0
	s_xor_b64 s[6:7], s[6:7], s[12:13]
	s_sub_u32 s6, s6, s12
	s_load_dwordx4 s[12:15], s[0:1], 0x44
	s_cbranch_execnz .LBB3_3
.LBB3_2:
	v_cvt_f32_u32_e32 v1, s22
	s_sub_i32 s6, 0, s22
	v_rcp_iflag_f32_e32 v1, v1
	s_nop 0
	v_mul_f32_e32 v1, 0x4f7ffffe, v1
	v_cvt_u32_f32_e32 v1, v1
	s_nop 0
	v_readfirstlane_b32 s7, v1
	s_mul_i32 s6, s6, s7
	s_mul_hi_u32 s6, s7, s6
	s_add_i32 s7, s7, s6
	s_mul_hi_u32 s6, s5, s7
	s_waitcnt lgkmcnt(0)
	s_mul_i32 s15, s6, s22
	s_sub_i32 s5, s5, s15
	s_add_i32 s7, s6, 1
	s_sub_i32 s15, s5, s22
	s_cmp_ge_u32 s5, s22
	s_cselect_b32 s6, s7, s6
	s_cselect_b32 s5, s15, s5
	s_add_i32 s7, s6, 1
	s_cmp_ge_u32 s5, s22
	s_cselect_b32 s6, s7, s6
.LBB3_3:
	s_add_i32 s5, s2, 1
	s_mul_hi_i32 s21, s11, s5
	s_mov_b32 s20, 0
	s_cmp_lg_u64 s[20:21], 0
	s_mul_i32 s5, s11, s5
	s_cbranch_scc0 .LBB3_21
; %bb.4:
	s_add_u32 s16, s22, 0
	s_addc_u32 s17, 0, 0
	s_xor_b64 s[18:19], s[16:17], 0
	v_cvt_f32_u32_e32 v1, s18
	v_cvt_f32_u32_e32 v2, s19
	s_sub_u32 s7, 0, s18
	s_waitcnt lgkmcnt(0)
	s_subb_u32 s15, 0, s19
	v_fmamk_f32 v1, v2, 0x4f800000, v1
	v_rcp_f32_e32 v1, v1
	s_nop 0
	v_mul_f32_e32 v1, 0x5f7ffffc, v1
	v_mul_f32_e32 v2, 0x2f800000, v1
	v_trunc_f32_e32 v2, v2
	v_fmamk_f32 v1, v2, 0xcf800000, v1
	v_cvt_u32_f32_e32 v2, v2
	v_cvt_u32_f32_e32 v1, v1
	v_readfirstlane_b32 s20, v2
	v_readfirstlane_b32 s23, v1
	s_mul_i32 s24, s7, s20
	s_mul_hi_u32 s26, s7, s23
	s_mul_i32 s25, s15, s23
	s_add_i32 s24, s26, s24
	s_add_i32 s24, s24, s25
	s_mul_i32 s27, s7, s23
	s_mul_i32 s26, s23, s24
	s_mul_hi_u32 s28, s23, s27
	s_mul_hi_u32 s25, s23, s24
	s_add_u32 s26, s28, s26
	s_addc_u32 s25, 0, s25
	s_mul_hi_u32 s29, s20, s27
	s_mul_i32 s27, s20, s27
	s_add_u32 s26, s26, s27
	s_mul_hi_u32 s28, s20, s24
	s_addc_u32 s25, s25, s29
	s_addc_u32 s26, s28, 0
	s_mul_i32 s24, s20, s24
	s_add_u32 s24, s25, s24
	s_addc_u32 s26, 0, s26
	s_add_u32 s23, s23, s24
	s_cselect_b64 s[24:25], -1, 0
	s_cmp_lg_u64 s[24:25], 0
	s_addc_u32 s20, s20, s26
	s_mul_i32 s24, s7, s20
	s_mul_hi_u32 s25, s7, s23
	s_add_i32 s24, s25, s24
	s_mul_i32 s15, s15, s23
	s_add_i32 s24, s24, s15
	s_mul_i32 s7, s7, s23
	s_mul_hi_u32 s25, s20, s7
	s_mul_i32 s26, s20, s7
	s_mul_i32 s28, s23, s24
	s_mul_hi_u32 s7, s23, s7
	s_mul_hi_u32 s27, s23, s24
	s_add_u32 s7, s7, s28
	s_addc_u32 s27, 0, s27
	s_add_u32 s7, s7, s26
	s_mul_hi_u32 s15, s20, s24
	s_addc_u32 s7, s27, s25
	s_addc_u32 s15, s15, 0
	s_mul_i32 s24, s20, s24
	s_add_u32 s7, s7, s24
	s_addc_u32 s15, 0, s15
	s_add_u32 s7, s23, s7
	s_cselect_b64 s[24:25], -1, 0
	s_cmp_lg_u64 s[24:25], 0
	s_addc_u32 s15, s20, s15
	s_ashr_i32 s24, s21, 31
	s_add_u32 s20, s5, s24
	s_mov_b32 s25, s24
	s_addc_u32 s21, s21, s24
	s_xor_b64 s[20:21], s[20:21], s[24:25]
	s_mul_i32 s26, s20, s15
	s_mul_hi_u32 s27, s20, s7
	s_mul_hi_u32 s23, s20, s15
	s_add_u32 s26, s27, s26
	s_addc_u32 s23, 0, s23
	s_mul_hi_u32 s28, s21, s7
	s_mul_i32 s7, s21, s7
	s_add_u32 s7, s26, s7
	s_mul_hi_u32 s27, s21, s15
	s_addc_u32 s7, s23, s28
	s_addc_u32 s23, s27, 0
	s_mul_i32 s15, s21, s15
	s_add_u32 s7, s7, s15
	s_addc_u32 s15, 0, s23
	s_mul_i32 s23, s18, s15
	s_mul_hi_u32 s26, s18, s7
	s_add_i32 s23, s26, s23
	s_mul_i32 s26, s19, s7
	s_add_i32 s23, s23, s26
	s_sub_i32 s28, s21, s23
	s_mul_i32 s26, s18, s7
	s_sub_u32 s20, s20, s26
	s_cselect_b64 s[26:27], -1, 0
	s_cmp_lg_u64 s[26:27], 0
	s_subb_u32 s30, s28, s19
	s_sub_u32 s31, s20, s18
	s_cselect_b64 s[28:29], -1, 0
	s_cmp_lg_u64 s[28:29], 0
	s_subb_u32 s28, s30, 0
	s_cmp_ge_u32 s28, s19
	s_cselect_b32 s29, -1, 0
	s_cmp_ge_u32 s31, s18
	s_cselect_b32 s30, -1, 0
	s_cmp_eq_u32 s28, s19
	s_cselect_b32 s28, s30, s29
	s_add_u32 s29, s7, 1
	s_addc_u32 s30, s15, 0
	s_add_u32 s31, s7, 2
	s_addc_u32 s33, s15, 0
	s_cmp_lg_u32 s28, 0
	s_cselect_b32 s28, s31, s29
	s_cselect_b32 s29, s33, s30
	s_cmp_lg_u64 s[26:27], 0
	s_subb_u32 s21, s21, s23
	s_cmp_ge_u32 s21, s19
	s_cselect_b32 s23, -1, 0
	s_cmp_ge_u32 s20, s18
	s_cselect_b32 s18, -1, 0
	s_cmp_eq_u32 s21, s19
	s_cselect_b32 s18, s18, s23
	s_cmp_lg_u32 s18, 0
	s_cselect_b32 s19, s29, s15
	s_cselect_b32 s18, s28, s7
	s_xor_b64 s[20:21], s[24:25], 0
	s_xor_b64 s[18:19], s[18:19], s[20:21]
	s_sub_u32 s18, s18, s20
	s_cbranch_execnz .LBB3_6
.LBB3_5:
	v_cvt_f32_u32_e32 v1, s22
	s_sub_i32 s7, 0, s22
	v_rcp_iflag_f32_e32 v1, v1
	s_nop 0
	v_mul_f32_e32 v1, 0x4f7ffffe, v1
	v_cvt_u32_f32_e32 v1, v1
	s_waitcnt lgkmcnt(0)
	v_readfirstlane_b32 s15, v1
	s_mul_i32 s7, s7, s15
	s_mul_hi_u32 s7, s15, s7
	s_add_i32 s15, s15, s7
	s_mul_hi_u32 s7, s5, s15
	s_mul_i32 s16, s7, s22
	s_sub_i32 s5, s5, s16
	s_add_i32 s15, s7, 1
	s_sub_i32 s16, s5, s22
	s_cmp_ge_u32 s5, s22
	s_cselect_b32 s7, s15, s7
	s_cselect_b32 s5, s16, s5
	s_add_i32 s15, s7, 1
	s_cmp_ge_u32 s5, s22
	s_cselect_b32 s18, s15, s7
.LBB3_6:
	s_cmp_eq_u32 s6, s18
	s_waitcnt lgkmcnt(0)
	s_mul_hi_u32 s5, s6, s12
	s_cselect_b64 s[16:17], -1, 0
	s_add_i32 s5, s5, s6
	s_lshr_b32 s7, s5, s13
	s_mul_i32 s5, s7, s14
	s_cmp_eq_u32 s5, s6
	s_mul_hi_u32 s5, s18, s12
	s_cselect_b64 s[20:21], -1, 0
	s_add_i32 s5, s5, s18
	s_lshr_b32 s5, s5, s13
	s_cmp_eq_u32 s7, s5
	s_mul_i32 s5, s5, s14
	s_cselect_b64 s[24:25], -1, 0
	s_cmp_lg_u32 s5, s18
	s_cselect_b64 s[18:19], -1, 0
	s_and_b64 s[18:19], s[24:25], s[18:19]
	s_or_b64 s[16:17], s[16:17], s[20:21]
	s_or_b64 s[16:17], s[16:17], s[18:19]
	s_and_b64 vcc, exec, s[16:17]
	s_cbranch_vccnz .LBB3_23
; %bb.7:
	s_load_dwordx8 s[24:31], s[0:1], 0x20
	s_load_dword s15, s[0:1], 0x40
	s_waitcnt lgkmcnt(0)
	s_mul_hi_u32 s5, s6, s24
	s_add_i32 s5, s5, s6
	s_lshr_b32 s5, s5, s25
	s_mul_i32 s16, s5, s26
	s_sub_i32 s16, s6, s16
	s_mul_hi_u32 s17, s16, s27
	s_add_i32 s17, s16, s17
	s_lshr_b32 s20, s17, s28
	s_mul_i32 s17, s20, s29
	s_sub_i32 s16, s16, s17
	;; [unrolled: 5-line block ×3, first 2 shown]
	s_mul_hi_u32 s16, s15, s12
	s_add_i32 s15, s15, s16
	s_lshr_b32 s23, s15, s13
	s_lshl_b32 s15, s23, 2
	s_lshl_b32 s21, s17, 3
	s_add_i32 s15, s15, s3
	s_cmp_lt_i32 s15, s8
	s_cselect_b64 s[16:17], -1, 0
	s_add_i32 s15, s21, s4
	s_cmp_lt_i32 s15, s10
	s_cselect_b64 s[18:19], -1, 0
	s_and_b64 s[16:17], s[16:17], s[18:19]
	s_andn2_b64 vcc, exec, s[16:17]
	s_cbranch_vccnz .LBB3_23
; %bb.8:
	s_load_dwordx4 s[16:19], s[0:1], 0x0
	s_mov_b32 s0, 0
	s_lshl_b32 s15, s3, 3
	s_lshl_b32 s24, s22, 7
	s_mov_b32 s25, s0
	s_add_i32 s15, s15, s4
	s_waitcnt lgkmcnt(0)
	v_mov_b32_e32 v2, s16
	v_mov_b32_e32 v3, s17
	s_lshl_b64 s[16:17], s[24:25], 2
	s_add_u32 s16, s18, s16
	s_mul_i32 s1, s5, s8
	s_addc_u32 s17, s19, s17
	s_add_i32 s1, s1, s3
	s_mul_i32 s1, s1, s9
	s_mul_i32 s20, s20, s10
	s_add_i32 s1, s1, s4
	s_add_i32 s1, s1, s20
	s_mul_i32 s5, s9, s23
	s_add_i32 s1, s1, s21
	s_lshl_b32 s5, s5, 10
	s_lshl_b32 s1, s1, 8
	s_add_i32 s5, s5, s1
	v_or_b32_e32 v4, s5, v0
	v_ashrrev_i32_e32 v5, 31, v4
	v_lshl_add_u64 v[2:3], v[4:5], 2, v[2:3]
	global_load_dword v1, v[2:3], off
	v_cvt_f32_u32_e32 v4, s22
	s_lshl_b32 s1, s2, 5
	s_add_i32 s4, s15, s1
	s_ashr_i32 s5, s4, 31
	s_lshl_b64 s[4:5], s[4:5], 3
	v_rcp_iflag_f32_e32 v4, v4
	s_add_u32 s4, s18, s4
	s_addc_u32 s5, s19, s5
	s_load_dwordx2 s[4:5], s[4:5], 0x0
	v_mul_f32_e32 v4, 0x4f7ffffe, v4
	v_cvt_u32_f32_e32 v7, v4
	s_add_i32 s24, s2, -1
	v_lshl_or_b32 v6, s15, 8, v0
	s_waitcnt lgkmcnt(0)
	v_mov_b32_e32 v0, s5
	v_mov_b32_e32 v9, s4
	s_mov_b32 s10, 0x3fb8aa3b
	s_mov_b32 s20, 0xc2ce8ed0
	;; [unrolled: 1-line block ×4, first 2 shown]
	v_mov_b32_e32 v8, 0x7f800000
	s_mul_hi_i32 s1, s24, s11
	s_cmp_lg_u64 s[0:1], 0
	s_mul_i32 s8, s24, s11
	s_cbranch_scc0 .LBB3_19
.LBB3_9:
	s_add_u32 s2, s22, 0
	s_addc_u32 s3, 0, 0
	s_xor_b64 s[2:3], s[2:3], 0
	v_cvt_f32_u32_e32 v4, s2
	v_cvt_f32_u32_e32 v5, s3
	s_sub_u32 s9, 0, s2
	s_subb_u32 s25, 0, s3
	v_fmac_f32_e32 v4, 0x4f800000, v5
	v_rcp_f32_e32 v4, v4
	s_nop 0
	v_mul_f32_e32 v4, 0x5f7ffffc, v4
	v_mul_f32_e32 v5, 0x2f800000, v4
	v_trunc_f32_e32 v5, v5
	v_fmac_f32_e32 v4, 0xcf800000, v5
	v_cvt_u32_f32_e32 v5, v5
	v_cvt_u32_f32_e32 v4, v4
	v_readfirstlane_b32 s26, v5
	v_readfirstlane_b32 s4, v4
	s_mul_i32 s5, s9, s26
	s_mul_hi_u32 s28, s9, s4
	s_mul_i32 s27, s25, s4
	s_add_i32 s5, s28, s5
	s_mul_i32 s29, s9, s4
	s_add_i32 s5, s5, s27
	s_mul_i32 s28, s4, s5
	s_mul_hi_u32 s30, s4, s29
	s_mul_hi_u32 s27, s4, s5
	s_add_u32 s28, s30, s28
	s_addc_u32 s27, 0, s27
	s_mul_hi_u32 s31, s26, s29
	s_mul_i32 s29, s26, s29
	s_add_u32 s28, s28, s29
	s_mul_hi_u32 s30, s26, s5
	s_addc_u32 s27, s27, s31
	s_addc_u32 s28, s30, 0
	s_mul_i32 s5, s26, s5
	s_add_u32 s5, s27, s5
	s_addc_u32 s27, 0, s28
	s_add_u32 s28, s4, s5
	s_cselect_b64 s[4:5], -1, 0
	s_cmp_lg_u64 s[4:5], 0
	s_addc_u32 s26, s26, s27
	s_mul_i32 s4, s9, s26
	s_mul_hi_u32 s5, s9, s28
	s_add_i32 s4, s5, s4
	s_mul_i32 s25, s25, s28
	s_add_i32 s4, s4, s25
	s_mul_i32 s9, s9, s28
	s_mul_hi_u32 s25, s26, s9
	s_mul_i32 s27, s26, s9
	s_mul_i32 s30, s28, s4
	s_mul_hi_u32 s9, s28, s9
	s_mul_hi_u32 s29, s28, s4
	s_add_u32 s9, s9, s30
	s_addc_u32 s29, 0, s29
	s_add_u32 s9, s9, s27
	s_mul_hi_u32 s5, s26, s4
	s_addc_u32 s9, s29, s25
	s_addc_u32 s5, s5, 0
	s_mul_i32 s4, s26, s4
	s_add_u32 s4, s9, s4
	s_addc_u32 s9, 0, s5
	s_add_u32 s25, s28, s4
	s_cselect_b64 s[4:5], -1, 0
	s_cmp_lg_u64 s[4:5], 0
	s_addc_u32 s9, s26, s9
	s_ashr_i32 s4, s1, 31
	s_add_u32 s26, s8, s4
	s_mov_b32 s5, s4
	s_addc_u32 s27, s1, s4
	s_xor_b64 s[26:27], s[26:27], s[4:5]
	s_mul_i32 s28, s26, s9
	s_mul_hi_u32 s29, s26, s25
	s_mul_hi_u32 s1, s26, s9
	s_add_u32 s28, s29, s28
	s_addc_u32 s1, 0, s1
	s_mul_hi_u32 s30, s27, s25
	s_mul_i32 s25, s27, s25
	s_add_u32 s25, s28, s25
	s_mul_hi_u32 s29, s27, s9
	s_addc_u32 s1, s1, s30
	s_addc_u32 s25, s29, 0
	s_mul_i32 s9, s27, s9
	s_add_u32 s1, s1, s9
	s_addc_u32 s9, 0, s25
	s_mul_i32 s25, s2, s9
	s_mul_hi_u32 s28, s2, s1
	s_add_i32 s25, s28, s25
	s_mul_i32 s28, s3, s1
	s_add_i32 s25, s25, s28
	s_sub_i32 s30, s27, s25
	s_mul_i32 s28, s2, s1
	s_sub_u32 s26, s26, s28
	s_cselect_b64 s[28:29], -1, 0
	s_cmp_lg_u64 s[28:29], 0
	s_subb_u32 s33, s30, s3
	s_sub_u32 s34, s26, s2
	s_cselect_b64 s[30:31], -1, 0
	s_cmp_lg_u64 s[30:31], 0
	s_subb_u32 s30, s33, 0
	s_cmp_ge_u32 s30, s3
	s_cselect_b32 s31, -1, 0
	s_cmp_ge_u32 s34, s2
	s_cselect_b32 s33, -1, 0
	s_cmp_eq_u32 s30, s3
	s_cselect_b32 s30, s33, s31
	s_add_u32 s31, s1, 1
	s_addc_u32 s33, s9, 0
	s_add_u32 s34, s1, 2
	s_addc_u32 s35, s9, 0
	s_cmp_lg_u32 s30, 0
	s_cselect_b32 s30, s34, s31
	s_cselect_b32 s31, s35, s33
	s_cmp_lg_u64 s[28:29], 0
	s_subb_u32 s25, s27, s25
	s_cmp_ge_u32 s25, s3
	s_cselect_b32 s27, -1, 0
	s_cmp_ge_u32 s26, s2
	s_cselect_b32 s2, -1, 0
	s_cmp_eq_u32 s25, s3
	s_cselect_b32 s2, s2, s27
	s_cmp_lg_u32 s2, 0
	s_cselect_b32 s3, s31, s9
	s_cselect_b32 s2, s30, s1
	s_xor_b64 s[4:5], s[4:5], 0
	s_xor_b64 s[2:3], s[2:3], s[4:5]
	s_sub_u32 s4, s2, s4
	s_cbranch_execnz .LBB3_11
.LBB3_10:
	s_sub_i32 s1, 0, s22
	v_readfirstlane_b32 s2, v7
	s_mul_i32 s1, s1, s2
	s_mul_hi_u32 s1, s2, s1
	s_add_i32 s2, s2, s1
	s_mul_hi_u32 s1, s8, s2
	s_mul_i32 s3, s1, s22
	s_sub_i32 s3, s8, s3
	s_add_i32 s2, s1, 1
	s_sub_i32 s4, s3, s22
	s_cmp_ge_u32 s3, s22
	s_cselect_b32 s1, s2, s1
	s_cselect_b32 s3, s4, s3
	s_add_i32 s2, s1, 1
	s_cmp_ge_u32 s3, s22
	s_cselect_b32 s4, s2, s1
.LBB3_11:
	s_cmp_lg_u32 s6, s4
	s_cbranch_scc0 .LBB3_15
; %bb.12:
	s_add_i32 s1, s24, s22
	s_lshl_b32 s1, s1, 5
	s_add_i32 s2, s1, s15
	s_mov_b32 s3, s0
	s_lshl_b64 s[2:3], s[2:3], 3
	s_add_u32 s8, s18, s2
	s_mul_hi_u32 s1, s4, s12
	s_addc_u32 s9, s19, s3
	s_add_i32 s1, s1, s4
	s_lshr_b32 s1, s1, s13
	s_mul_i32 s2, s1, s14
	s_cmp_eq_u32 s2, s4
	s_cselect_b64 s[2:3], -1, 0
	s_cmp_lt_u32 s1, s7
	s_cselect_b64 s[26:27], -1, 0
	s_or_b64 s[26:27], s[26:27], s[2:3]
	s_mov_b64 s[2:3], -1
	s_and_b64 vcc, exec, s[26:27]
	s_mov_b32 s1, s24
	s_mov_b32 s25, s6
	s_cbranch_vccnz .LBB3_14
; %bb.13:
	s_add_i32 s1, s24, -1
	s_mov_b64 s[2:3], 0
	s_mov_b32 s25, s4
.LBB3_14:
	v_lshl_add_u32 v4, s24, 13, v6
	v_ashrrev_i32_e32 v5, 31, v4
	v_lshl_add_u64 v[4:5], v[4:5], 2, s[16:17]
	global_load_dword v5, v[4:5], off
	s_load_dwordx2 s[4:5], s[8:9], 0x0
	v_max_f32_e32 v4, v9, v9
	s_waitcnt lgkmcnt(0)
	v_max_f32_e64 v10, s4, s4
	v_max_f32_e32 v10, v4, v10
	v_sub_f32_e32 v11, v9, v10
	v_sub_f32_e32 v13, s4, v10
	v_mul_f32_e32 v4, 0x3fb8aa3b, v11
	v_mul_f32_e32 v12, 0x3fb8aa3b, v13
	v_fma_f32 v14, v11, s10, -v4
	v_rndne_f32_e32 v15, v4
	v_fma_f32 v16, v13, s10, -v12
	v_rndne_f32_e32 v17, v12
	v_fmac_f32_e32 v14, 0x32a5705f, v11
	v_sub_f32_e32 v4, v4, v15
	v_fmac_f32_e32 v16, 0x32a5705f, v13
	v_sub_f32_e32 v12, v12, v17
	v_add_f32_e32 v4, v4, v14
	v_cvt_i32_f32_e32 v15, v15
	v_add_f32_e32 v12, v12, v16
	v_exp_f32_e32 v14, v4
	v_cvt_i32_f32_e32 v17, v17
	v_exp_f32_e32 v12, v12
	v_cmp_ngt_f32_e32 vcc, s20, v11
	v_ldexp_f32 v14, v14, v15
	v_mov_b32_e32 v4, s5
	v_ldexp_f32 v12, v12, v17
	v_cndmask_b32_e32 v14, 0, v14, vcc
	v_cmp_ngt_f32_e32 vcc, s20, v13
	s_nop 1
	v_cndmask_b32_e32 v12, 0, v12, vcc
	v_cmp_nlt_f32_e32 vcc, s21, v11
	s_nop 1
	v_cndmask_b32_e32 v14, v8, v14, vcc
	v_cmp_nlt_f32_e32 vcc, s21, v13
	s_nop 1
	v_cndmask_b32_e32 v15, v8, v12, vcc
	v_cmp_le_f32_e32 vcc, s23, v11
	s_nop 1
	v_cndmask_b32_e32 v12, 0, v14, vcc
	v_cmp_le_f32_e32 vcc, s23, v13
	s_nop 1
	v_cndmask_b32_e32 v14, 0, v15, vcc
	s_waitcnt vmcnt(0)
	v_pk_mul_f32 v[4:5], v[4:5], v[14:15] op_sel_hi:[1,0]
	s_nop 0
	v_pk_fma_f32 v[4:5], v[0:1], v[12:13], v[4:5] op_sel_hi:[1,0,1]
	s_cbranch_execz .LBB3_16
	s_branch .LBB3_17
.LBB3_15:
                                        ; implicit-def: $vgpr4_vgpr5
                                        ; implicit-def: $sgpr2_sgpr3
                                        ; implicit-def: $vgpr10
                                        ; implicit-def: $sgpr1
                                        ; implicit-def: $sgpr25
.LBB3_16:
	s_add_i32 s1, s24, -1
	s_mov_b64 s[2:3], 0
	s_mov_b32 s25, s6
	v_mov_b32_e32 v10, v9
	s_waitcnt vmcnt(0)
	v_mov_b64_e32 v[4:5], v[0:1]
.LBB3_17:
	s_andn2_b64 vcc, exec, s[2:3]
	s_cbranch_vccz .LBB3_22
; %bb.18:
	s_mov_b32 s6, s25
	s_mov_b32 s24, s1
	v_mov_b32_e32 v9, v10
	s_waitcnt vmcnt(0)
	v_mov_b64_e32 v[0:1], v[4:5]
	s_mul_hi_i32 s1, s24, s11
	s_cmp_lg_u64 s[0:1], 0
	s_mul_i32 s8, s24, s11
	s_cbranch_scc1 .LBB3_9
.LBB3_19:
                                        ; implicit-def: $sgpr4_sgpr5
	s_branch .LBB3_10
.LBB3_20:
                                        ; implicit-def: $sgpr6_sgpr7
	s_load_dwordx4 s[12:15], s[0:1], 0x44
	s_branch .LBB3_2
.LBB3_21:
                                        ; implicit-def: $sgpr18_sgpr19
	s_branch .LBB3_5
.LBB3_22:
	v_div_scale_f32 v0, s[0:1], v4, v4, v5
	s_waitcnt vmcnt(0)
	v_rcp_f32_e32 v1, v0
	v_div_scale_f32 v6, vcc, v5, v4, v5
	v_fma_f32 v7, -v0, v1, 1.0
	v_fmac_f32_e32 v1, v7, v1
	v_mul_f32_e32 v7, v6, v1
	v_fma_f32 v8, -v0, v7, v6
	v_fmac_f32_e32 v7, v8, v1
	v_fma_f32 v0, -v0, v7, v6
	v_div_fmas_f32 v0, v0, v1, v7
	v_div_fixup_f32 v0, v0, v4, v5
	global_store_dword v[2:3], v0, off
.LBB3_23:
	s_endpgm
	.section	.rodata,"a",@progbits
	.p2align	6, 0x0
	.amdhsa_kernel _ZL33flash_attn_stream_k_fixup_generalILi256ELi4ELi8EEvPfPK15HIP_vector_typeIfLj2EEiiiiS1_IjLj3EES5_S5_S5_
		.amdhsa_group_segment_fixed_size 0
		.amdhsa_private_segment_fixed_size 0
		.amdhsa_kernarg_size 336
		.amdhsa_user_sgpr_count 2
		.amdhsa_user_sgpr_dispatch_ptr 0
		.amdhsa_user_sgpr_queue_ptr 0
		.amdhsa_user_sgpr_kernarg_segment_ptr 1
		.amdhsa_user_sgpr_dispatch_id 0
		.amdhsa_user_sgpr_kernarg_preload_length 0
		.amdhsa_user_sgpr_kernarg_preload_offset 0
		.amdhsa_user_sgpr_private_segment_size 0
		.amdhsa_uses_dynamic_stack 0
		.amdhsa_enable_private_segment 0
		.amdhsa_system_sgpr_workgroup_id_x 1
		.amdhsa_system_sgpr_workgroup_id_y 1
		.amdhsa_system_sgpr_workgroup_id_z 1
		.amdhsa_system_sgpr_workgroup_info 0
		.amdhsa_system_vgpr_workitem_id 0
		.amdhsa_next_free_vgpr 18
		.amdhsa_next_free_sgpr 36
		.amdhsa_accum_offset 20
		.amdhsa_reserve_vcc 1
		.amdhsa_float_round_mode_32 0
		.amdhsa_float_round_mode_16_64 0
		.amdhsa_float_denorm_mode_32 3
		.amdhsa_float_denorm_mode_16_64 3
		.amdhsa_dx10_clamp 1
		.amdhsa_ieee_mode 1
		.amdhsa_fp16_overflow 0
		.amdhsa_tg_split 0
		.amdhsa_exception_fp_ieee_invalid_op 0
		.amdhsa_exception_fp_denorm_src 0
		.amdhsa_exception_fp_ieee_div_zero 0
		.amdhsa_exception_fp_ieee_overflow 0
		.amdhsa_exception_fp_ieee_underflow 0
		.amdhsa_exception_fp_ieee_inexact 0
		.amdhsa_exception_int_div_zero 0
	.end_amdhsa_kernel
	.section	.text._ZL33flash_attn_stream_k_fixup_generalILi256ELi4ELi8EEvPfPK15HIP_vector_typeIfLj2EEiiiiS1_IjLj3EES5_S5_S5_,"axG",@progbits,_ZL33flash_attn_stream_k_fixup_generalILi256ELi4ELi8EEvPfPK15HIP_vector_typeIfLj2EEiiiiS1_IjLj3EES5_S5_S5_,comdat
.Lfunc_end3:
	.size	_ZL33flash_attn_stream_k_fixup_generalILi256ELi4ELi8EEvPfPK15HIP_vector_typeIfLj2EEiiiiS1_IjLj3EES5_S5_S5_, .Lfunc_end3-_ZL33flash_attn_stream_k_fixup_generalILi256ELi4ELi8EEvPfPK15HIP_vector_typeIfLj2EEiiiiS1_IjLj3EES5_S5_S5_
                                        ; -- End function
	.set _ZL33flash_attn_stream_k_fixup_generalILi256ELi4ELi8EEvPfPK15HIP_vector_typeIfLj2EEiiiiS1_IjLj3EES5_S5_S5_.num_vgpr, 18
	.set _ZL33flash_attn_stream_k_fixup_generalILi256ELi4ELi8EEvPfPK15HIP_vector_typeIfLj2EEiiiiS1_IjLj3EES5_S5_S5_.num_agpr, 0
	.set _ZL33flash_attn_stream_k_fixup_generalILi256ELi4ELi8EEvPfPK15HIP_vector_typeIfLj2EEiiiiS1_IjLj3EES5_S5_S5_.numbered_sgpr, 36
	.set _ZL33flash_attn_stream_k_fixup_generalILi256ELi4ELi8EEvPfPK15HIP_vector_typeIfLj2EEiiiiS1_IjLj3EES5_S5_S5_.num_named_barrier, 0
	.set _ZL33flash_attn_stream_k_fixup_generalILi256ELi4ELi8EEvPfPK15HIP_vector_typeIfLj2EEiiiiS1_IjLj3EES5_S5_S5_.private_seg_size, 0
	.set _ZL33flash_attn_stream_k_fixup_generalILi256ELi4ELi8EEvPfPK15HIP_vector_typeIfLj2EEiiiiS1_IjLj3EES5_S5_S5_.uses_vcc, 1
	.set _ZL33flash_attn_stream_k_fixup_generalILi256ELi4ELi8EEvPfPK15HIP_vector_typeIfLj2EEiiiiS1_IjLj3EES5_S5_S5_.uses_flat_scratch, 0
	.set _ZL33flash_attn_stream_k_fixup_generalILi256ELi4ELi8EEvPfPK15HIP_vector_typeIfLj2EEiiiiS1_IjLj3EES5_S5_S5_.has_dyn_sized_stack, 0
	.set _ZL33flash_attn_stream_k_fixup_generalILi256ELi4ELi8EEvPfPK15HIP_vector_typeIfLj2EEiiiiS1_IjLj3EES5_S5_S5_.has_recursion, 0
	.set _ZL33flash_attn_stream_k_fixup_generalILi256ELi4ELi8EEvPfPK15HIP_vector_typeIfLj2EEiiiiS1_IjLj3EES5_S5_S5_.has_indirect_call, 0
	.section	.AMDGPU.csdata,"",@progbits
; Kernel info:
; codeLenInByte = 2940
; TotalNumSgprs: 42
; NumVgprs: 18
; NumAgprs: 0
; TotalNumVgprs: 18
; ScratchSize: 0
; MemoryBound: 0
; FloatMode: 240
; IeeeMode: 1
; LDSByteSize: 0 bytes/workgroup (compile time only)
; SGPRBlocks: 5
; VGPRBlocks: 2
; NumSGPRsForWavesPerEU: 42
; NumVGPRsForWavesPerEU: 18
; AccumOffset: 20
; Occupancy: 8
; WaveLimiterHint : 0
; COMPUTE_PGM_RSRC2:SCRATCH_EN: 0
; COMPUTE_PGM_RSRC2:USER_SGPR: 2
; COMPUTE_PGM_RSRC2:TRAP_HANDLER: 0
; COMPUTE_PGM_RSRC2:TGID_X_EN: 1
; COMPUTE_PGM_RSRC2:TGID_Y_EN: 1
; COMPUTE_PGM_RSRC2:TGID_Z_EN: 1
; COMPUTE_PGM_RSRC2:TIDIG_COMP_CNT: 0
; COMPUTE_PGM_RSRC3_GFX90A:ACCUM_OFFSET: 4
; COMPUTE_PGM_RSRC3_GFX90A:TG_SPLIT: 0
	.section	.text._ZL26flash_attn_combine_resultsILi256EEvPKfPK15HIP_vector_typeIfLj2EEPfi,"axG",@progbits,_ZL26flash_attn_combine_resultsILi256EEvPKfPK15HIP_vector_typeIfLj2EEPfi,comdat
	.globl	_ZL26flash_attn_combine_resultsILi256EEvPKfPK15HIP_vector_typeIfLj2EEPfi ; -- Begin function _ZL26flash_attn_combine_resultsILi256EEvPKfPK15HIP_vector_typeIfLj2EEPfi
	.p2align	8
	.type	_ZL26flash_attn_combine_resultsILi256EEvPKfPK15HIP_vector_typeIfLj2EEPfi,@function
_ZL26flash_attn_combine_resultsILi256EEvPKfPK15HIP_vector_typeIfLj2EEPfi: ; @_ZL26flash_attn_combine_resultsILi256EEvPKfPK15HIP_vector_typeIfLj2EEPfi
; %bb.0:
	s_load_dwordx2 s[6:7], s[0:1], 0x20
	s_load_dword s19, s[0:1], 0x18
	s_load_dwordx4 s[8:11], s[0:1], 0x0
	s_load_dwordx2 s[14:15], s[0:1], 0x10
	s_waitcnt lgkmcnt(0)
	s_mul_i32 s0, s6, s4
	s_add_i32 s0, s0, s2
	s_mul_i32 s18, s0, s7
	s_add_i32 s18, s18, s3
	s_lshl_b32 s20, s19, 1
	s_mul_i32 s2, s18, s19
	v_cmp_gt_i32_e32 vcc, s20, v0
	s_and_saveexec_b64 s[0:1], vcc
	s_cbranch_execz .LBB4_13
; %bb.1:
	v_xad_u32 v1, v0, -1, s20
	s_movk_i32 s4, 0xff
	s_ashr_i32 s3, s2, 31
	v_cmp_lt_u32_e32 vcc, s4, v1
	s_mov_b64 s[6:7], -1
	v_mov_b32_e32 v2, v0
	s_and_saveexec_b64 s[4:5], vcc
	s_cbranch_execz .LBB4_10
; %bb.2:
	v_lshrrev_b32_e32 v6, 8, v1
	s_lshl_b64 s[6:7], s[2:3], 3
	v_add_u32_e32 v2, -1, v6
	s_add_u32 s6, s10, s6
	v_or_b32_e32 v1, 0x100, v0
	v_lshrrev_b32_e32 v3, 1, v2
	s_addc_u32 s7, s11, s7
	s_mov_b32 s21, 0
	v_add_u32_e32 v7, 1, v3
	v_cmp_lt_u32_e32 vcc, 13, v2
	v_mov_b32_e32 v4, 0
	v_mov_b64_e32 v[2:3], v[0:1]
	s_and_saveexec_b64 s[12:13], vcc
	s_cbranch_execz .LBB4_6
; %bb.3:
	v_and_b32_e32 v8, -8, v7
	v_lshl_add_u32 v9, v0, 2, 0
	s_mov_b64 s[16:17], 0
	v_mov_b32_e32 v5, 0
	v_mov_b64_e32 v[2:3], v[0:1]
.LBB4_4:                                ; =>This Inner Loop Header: Depth=1
	v_mov_b32_e32 v4, v2
	v_lshl_add_u64 v[24:25], v[4:5], 2, s[6:7]
	v_mov_b32_e32 v4, v3
	v_add_u32_e32 v10, 0x200, v3
	v_mov_b32_e32 v11, v5
	v_lshl_add_u64 v[26:27], v[4:5], 2, s[6:7]
	v_add_u32_e32 v4, 0x200, v2
	v_lshl_add_u64 v[10:11], v[10:11], 2, s[6:7]
	global_load_dword v1, v[24:25], off
	v_lshl_add_u64 v[24:25], v[4:5], 2, s[6:7]
	v_add_u32_e32 v4, 0x400, v2
	global_load_dword v28, v[26:27], off
	global_load_dword v29, v[24:25], off
	;; [unrolled: 1-line block ×3, first 2 shown]
	v_lshl_add_u64 v[10:11], v[4:5], 2, s[6:7]
	v_add_u32_e32 v4, 0x600, v2
	v_add_u32_e32 v12, 0x400, v3
	v_mov_b32_e32 v13, v5
	v_add_u32_e32 v14, 0x600, v3
	v_mov_b32_e32 v15, v5
	v_lshl_add_u64 v[24:25], v[4:5], 2, s[6:7]
	v_add_u32_e32 v4, 0x800, v2
	v_lshl_add_u64 v[12:13], v[12:13], 2, s[6:7]
	v_lshl_add_u64 v[14:15], v[14:15], 2, s[6:7]
	global_load_dword v26, v[10:11], off
	global_load_dword v27, v[12:13], off
	;; [unrolled: 1-line block ×4, first 2 shown]
	v_lshl_add_u64 v[10:11], v[4:5], 2, s[6:7]
	v_add_u32_e32 v4, 0xa00, v2
	v_add_u32_e32 v16, 0x800, v3
	v_mov_b32_e32 v17, v5
	v_add_u32_e32 v18, 0xa00, v3
	v_mov_b32_e32 v19, v5
	v_lshl_add_u64 v[12:13], v[4:5], 2, s[6:7]
	v_add_u32_e32 v4, 0xc00, v2
	v_add_u32_e32 v20, 0xc00, v3
	v_mov_b32_e32 v21, v5
	v_add_u32_e32 v22, 0xe00, v3
	v_mov_b32_e32 v23, v5
	v_lshl_add_u64 v[16:17], v[16:17], 2, s[6:7]
	v_lshl_add_u64 v[18:19], v[18:19], 2, s[6:7]
	global_load_dword v14, v[10:11], off
	global_load_dword v15, v[16:17], off
	;; [unrolled: 1-line block ×4, first 2 shown]
	v_lshl_add_u64 v[10:11], v[4:5], 2, s[6:7]
	v_add_u32_e32 v4, 0xe00, v2
	v_lshl_add_u64 v[20:21], v[20:21], 2, s[6:7]
	v_lshl_add_u64 v[22:23], v[22:23], 2, s[6:7]
	;; [unrolled: 1-line block ×3, first 2 shown]
	global_load_dword v16, v[10:11], off
	global_load_dword v17, v[20:21], off
	global_load_dword v18, v[12:13], off
	global_load_dword v19, v[22:23], off
	v_add_u32_e32 v8, -8, v8
	s_add_i32 s21, s21, 16
	v_cmp_eq_u32_e32 vcc, 0, v8
	v_add_u32_e32 v3, 0x1000, v3
	v_mov_b32_e32 v4, s21
	s_or_b64 s[16:17], vcc, s[16:17]
	v_add_u32_e32 v2, 0x1000, v2
	s_waitcnt vmcnt(14)
	ds_write2st64_b32 v9, v1, v28 offset1:4
	s_waitcnt vmcnt(12)
	ds_write2st64_b32 v9, v29, v30 offset0:8 offset1:12
	s_waitcnt vmcnt(10)
	ds_write2st64_b32 v9, v26, v27 offset0:16 offset1:20
	;; [unrolled: 2-line block ×7, first 2 shown]
	v_add_u32_e32 v9, 0x4000, v9
	s_andn2_b64 exec, exec, s[16:17]
	s_cbranch_execnz .LBB4_4
; %bb.5:
	s_or_b64 exec, exec, s[16:17]
.LBB4_6:
	s_or_b64 exec, exec, s[12:13]
	v_and_b32_e32 v1, 7, v7
	v_cmp_ne_u32_e32 vcc, 0, v1
	s_and_saveexec_b64 s[12:13], vcc
	s_cbranch_execz .LBB4_9
; %bb.7:
	v_lshlrev_b32_e32 v5, 2, v0
	v_lshl_or_b32 v4, v4, 10, v5
	v_add_u32_e32 v7, 0, v4
	s_mov_b64 s[16:17], 0
	v_mov_b32_e32 v5, 0
.LBB4_8:                                ; =>This Inner Loop Header: Depth=1
	v_mov_b32_e32 v4, v2
	v_lshl_add_u64 v[8:9], v[4:5], 2, s[6:7]
	v_mov_b32_e32 v4, v3
	v_lshl_add_u64 v[10:11], v[4:5], 2, s[6:7]
	global_load_dword v4, v[8:9], off
	global_load_dword v12, v[10:11], off
	v_add_u32_e32 v1, -1, v1
	v_cmp_eq_u32_e32 vcc, 0, v1
	v_add_u32_e32 v2, 0x200, v2
	v_add_u32_e32 v3, 0x200, v3
	s_or_b64 s[16:17], vcc, s[16:17]
	s_waitcnt vmcnt(0)
	ds_write2st64_b32 v7, v4, v12 offset1:4
	v_add_u32_e32 v7, 0x800, v7
	s_andn2_b64 exec, exec, s[16:17]
	s_cbranch_execnz .LBB4_8
.LBB4_9:
	s_or_b64 exec, exec, s[12:13]
	v_add_u32_e32 v1, 1, v6
	v_and_b32_e32 v3, 0x1fffffe, v1
	v_cmp_ne_u32_e32 vcc, v1, v3
	v_lshl_or_b32 v2, v3, 8, v0
	s_orn2_b64 s[6:7], vcc, exec
.LBB4_10:
	s_or_b64 exec, exec, s[4:5]
	s_and_b64 exec, exec, s[6:7]
	s_cbranch_execz .LBB4_13
; %bb.11:
	s_lshl_b64 s[4:5], s[2:3], 3
	s_add_u32 s4, s10, s4
	v_mov_b32_e32 v3, 0
	s_addc_u32 s5, s11, s5
	v_lshl_add_u64 v[4:5], v[2:3], 2, s[4:5]
	v_lshl_add_u32 v1, v2, 2, 0
	s_mov_b64 s[4:5], 0
	s_mov_b64 s[6:7], 0x400
.LBB4_12:                               ; =>This Inner Loop Header: Depth=1
	global_load_dword v3, v[4:5], off
	v_add_u32_e32 v2, 0x100, v2
	v_cmp_le_i32_e32 vcc, s20, v2
	v_lshl_add_u64 v[4:5], v[4:5], 0, s[6:7]
	s_or_b64 s[4:5], vcc, s[4:5]
	s_waitcnt vmcnt(0)
	ds_write_b32 v1, v3
	v_add_u32_e32 v1, 0x400, v1
	s_andn2_b64 exec, exec, s[4:5]
	s_cbranch_execnz .LBB4_12
.LBB4_13:
	s_or_b64 exec, exec, s[0:1]
	v_mov_b32_e32 v1, 0
	s_waitcnt lgkmcnt(0)
	s_barrier
	ds_read_b32 v1, v1
	s_cmp_lt_i32 s19, 2
	s_cbranch_scc1 .LBB4_21
; %bb.14:
	s_cmp_eq_u32 s19, 2
	s_cbranch_scc1 .LBB4_18
; %bb.15:
	s_add_i32 s3, s19, -1
	s_and_b32 s4, s3, -2
	s_add_i32 s6, 0, 8
	s_mov_b32 s5, 2
	s_waitcnt lgkmcnt(0)
	v_mov_b32_e32 v4, v1
.LBB4_16:                               ; =>This Inner Loop Header: Depth=1
	v_mov_b32_e32 v2, v1
	v_mov_b32_e32 v1, s6
	;; [unrolled: 1-line block ×3, first 2 shown]
	ds_read2_b32 v[4:5], v1 offset1:2
	s_cmp_lg_u32 s4, s5
	s_cselect_b64 s[10:11], -1, 0
	v_max_f32_e32 v1, v3, v3
	v_max_f32_e32 v6, v2, v2
	s_waitcnt lgkmcnt(0)
	v_cmp_u_f32_e32 vcc, v5, v5
	v_max_f32_e32 v7, v5, v5
	v_max_f32_e32 v8, v4, v4
	v_cndmask_b32_e64 v5, 0, 1, vcc
	v_cmp_u_f32_e32 vcc, v4, v4
	v_readfirstlane_b32 s0, v5
	s_lshl_b32 s0, s0, 1
	v_cndmask_b32_e64 v9, 0, 1, vcc
	v_max_f32_e32 v4, v1, v7
	v_readfirstlane_b32 s1, v9
	s_or_b32 s0, s1, s0
	s_and_b32 s7, s0, 3
	s_cmp_lg_u32 s7, 0
	s_cselect_b64 s[0:1], -1, 0
	s_cmp_eq_u32 s7, 0
	s_cselect_b64 s[12:13], -1, 0
	s_and_b64 s[10:11], s[12:13], s[10:11]
	v_max_f32_e32 v1, v6, v8
	s_add_i32 s5, s5, 2
	s_add_i32 s6, s6, 16
	s_and_b64 vcc, exec, s[10:11]
	s_cbranch_vccnz .LBB4_16
; %bb.17:
	s_add_i32 s5, s5, -4
	s_and_b64 s[6:7], s[0:1], exec
	s_cselect_b32 s5, s5, s3
	s_or_b32 s5, s5, 1
	v_cndmask_b32_e64 v1, v1, v2, s[0:1]
	v_cndmask_b32_e64 v2, v4, v3, s[0:1]
	s_cmp_lg_u32 s3, s4
	v_max_f32_e32 v2, v2, v2
	v_max_f32_e32 v1, v1, v1
	s_cselect_b64 s[6:7], -1, 0
	v_max_f32_e32 v1, v1, v2
	s_or_b64 s[0:1], s[6:7], s[0:1]
	s_and_b64 vcc, exec, s[0:1]
	s_cbranch_vccnz .LBB4_19
	s_branch .LBB4_21
.LBB4_18:
	s_mov_b32 s5, 1
	s_cbranch_execz .LBB4_21
.LBB4_19:
	s_lshl_b32 s1, s5, 3
	s_sub_i32 s0, s19, s5
	s_add_i32 s1, s1, 0
.LBB4_20:                               ; =>This Inner Loop Header: Depth=1
	v_mov_b32_e32 v2, s1
	ds_read_b32 v2, v2
	s_waitcnt lgkmcnt(1)
	v_max_f32_e32 v1, v1, v1
	s_add_i32 s0, s0, -1
	s_add_i32 s1, s1, 8
	s_cmp_eq_u32 s0, 0
	s_waitcnt lgkmcnt(0)
	v_max_f32_e32 v2, v2, v2
	v_max_f32_e32 v1, v1, v2
	s_cbranch_scc0 .LBB4_20
.LBB4_21:
	s_cmp_lt_i32 s19, 1
	s_cbranch_scc1 .LBB4_26
; %bb.22:
	s_lshl_b32 s0, s2, 8
	s_ashr_i32 s1, s0, 31
	s_lshl_b64 s[0:1], s[0:1], 2
	s_add_u32 s16, s8, s0
	s_addc_u32 s17, s9, s1
	s_cmp_lt_u32 s19, 8
	s_cbranch_scc1 .LBB4_27
; %bb.23:
	v_mov_b32_e32 v7, 0
	s_and_b32 s20, s19, 0x7ffffff8
	v_or_b32_e32 v4, 0x700, v0
	s_mov_b32 s21, 0
	s_mov_b32 s22, 0x3fb8aa3b
	s_mov_b32 s23, 0xc2ce8ed0
	s_mov_b32 s24, 0x42b17218
	v_mov_b32_e32 v8, 0x7f800000
	s_mov_b32 s25, 0
	v_mov_b32_e32 v2, v7
	v_mov_b32_e32 v3, v7
.LBB4_24:                               ; =>This Inner Loop Header: Depth=1
	v_add_u32_e32 v6, 0xfffff900, v4
	v_lshl_add_u64 v[26:27], v[6:7], 2, s[16:17]
	v_add_u32_e32 v6, 0xfffffa00, v4
	v_mov_b32_e32 v9, s21
	v_lshl_add_u64 v[30:31], v[6:7], 2, s[16:17]
	v_add_u32_e32 v6, 0xfffffb00, v4
	ds_read2_b64 v[10:13], v9 offset1:1
	ds_read2_b64 v[14:17], v9 offset0:2 offset1:3
	ds_read2_b64 v[18:21], v9 offset0:4 offset1:5
	;; [unrolled: 1-line block ×3, first 2 shown]
	global_load_dword v33, v[26:27], off
	global_load_dword v35, v[30:31], off
	v_lshl_add_u64 v[26:27], v[6:7], 2, s[16:17]
	v_add_u32_e32 v6, 0xfffffc00, v4
	v_lshl_add_u64 v[30:31], v[6:7], 2, s[16:17]
	v_add_u32_e32 v6, 0xfffffd00, v4
	global_load_dword v37, v[26:27], off
	global_load_dword v39, v[30:31], off
	v_lshl_add_u64 v[26:27], v[6:7], 2, s[16:17]
	v_add_u32_e32 v6, 0xfffffe00, v4
	s_waitcnt lgkmcnt(3)
	v_mov_b32_e32 v32, v11
	v_sub_f32_e32 v9, v12, v1
	v_mov_b32_e32 v34, v13
	global_load_dword v11, v[26:27], off
	v_lshl_add_u64 v[12:13], v[6:7], 2, s[16:17]
	s_waitcnt lgkmcnt(2)
	v_mov_b32_e32 v36, v15
	v_add_u32_e32 v6, 0xffffff00, v4
	global_load_dword v15, v[12:13], off
	v_mov_b32_e32 v5, v7
	v_lshl_add_u64 v[12:13], v[6:7], 2, s[16:17]
	v_lshl_add_u64 v[28:29], v[4:5], 2, s[16:17]
	v_sub_f32_e32 v5, v10, v1
	v_mov_b32_e32 v38, v17
	s_waitcnt lgkmcnt(1)
	v_mov_b32_e32 v10, v19
	global_load_dword v17, v[12:13], off
	global_load_dword v19, v[28:29], off
	v_sub_f32_e32 v30, v14, v1
	v_sub_f32_e32 v31, v16, v1
	;; [unrolled: 1-line block ×3, first 2 shown]
	v_mov_b32_e32 v14, v21
	s_waitcnt lgkmcnt(0)
	v_sub_f32_e32 v21, v22, v1
	v_mov_b32_e32 v16, v23
	v_sub_f32_e32 v22, v24, v1
	v_mul_f32_e32 v23, 0x3fb8aa3b, v5
	v_mov_b32_e32 v18, v25
	v_mul_f32_e32 v24, 0x3fb8aa3b, v9
	v_mul_f32_e32 v25, 0x3fb8aa3b, v30
	;; [unrolled: 1-line block ×5, first 2 shown]
	v_fma_f32 v43, v5, s22, -v23
	v_rndne_f32_e32 v44, v23
	v_sub_f32_e32 v20, v20, v1
	v_fma_f32 v45, v9, s22, -v24
	v_rndne_f32_e32 v46, v24
	v_fma_f32 v47, v30, s22, -v25
	v_rndne_f32_e32 v48, v25
	v_fma_f32 v51, v40, s22, -v27
	v_rndne_f32_e32 v52, v27
	v_fma_f32 v55, v21, s22, -v42
	v_rndne_f32_e32 v56, v42
	v_fma_f32 v57, v22, s22, -v6
	v_rndne_f32_e32 v58, v6
	v_fmac_f32_e32 v43, 0x32a5705f, v5
	v_sub_f32_e32 v12, v23, v44
	v_mul_f32_e32 v26, 0x3fb8aa3b, v31
	v_mul_f32_e32 v41, 0x3fb8aa3b, v20
	v_fmac_f32_e32 v45, 0x32a5705f, v9
	v_sub_f32_e32 v23, v24, v46
	v_fmac_f32_e32 v47, 0x32a5705f, v30
	v_sub_f32_e32 v25, v25, v48
	;; [unrolled: 2-line block ×5, first 2 shown]
	v_add_f32_e32 v12, v12, v43
	v_fma_f32 v49, v31, s22, -v26
	v_rndne_f32_e32 v50, v26
	v_fma_f32 v53, v20, s22, -v41
	v_rndne_f32_e32 v54, v41
	v_cvt_i32_f32_e32 v13, v44
	v_add_f32_e32 v23, v23, v45
	v_add_f32_e32 v25, v25, v47
	;; [unrolled: 1-line block ×5, first 2 shown]
	v_exp_f32_e32 v12, v12
	v_cvt_i32_f32_e32 v24, v46
	v_cvt_i32_f32_e32 v28, v48
	v_fmac_f32_e32 v49, 0x32a5705f, v31
	v_sub_f32_e32 v26, v26, v50
	v_cvt_i32_f32_e32 v29, v50
	v_cvt_i32_f32_e32 v44, v52
	v_fmac_f32_e32 v53, 0x32a5705f, v20
	v_sub_f32_e32 v41, v41, v54
	v_cvt_i32_f32_e32 v48, v56
	v_cvt_i32_f32_e32 v50, v58
	v_exp_f32_e32 v23, v23
	v_exp_f32_e32 v25, v25
	;; [unrolled: 1-line block ×5, first 2 shown]
	v_add_f32_e32 v26, v26, v49
	v_add_f32_e32 v41, v41, v53
	v_cvt_i32_f32_e32 v46, v54
	v_exp_f32_e32 v26, v26
	v_exp_f32_e32 v41, v41
	v_ldexp_f32 v12, v12, v13
	v_cmp_ngt_f32_e64 s[12:13], s23, v5
	v_ldexp_f32 v13, v23, v24
	v_cmp_ngt_f32_e32 vcc, s23, v9
	v_ldexp_f32 v23, v25, v28
	v_ldexp_f32 v25, v27, v44
	v_ldexp_f32 v27, v42, v48
	v_cmp_ngt_f32_e64 s[8:9], s23, v21
	v_ldexp_f32 v6, v6, v50
	v_cmp_ngt_f32_e64 s[10:11], s23, v22
	v_cndmask_b32_e64 v12, 0, v12, s[12:13]
	v_cmp_nlt_f32_e64 s[12:13], s24, v5
	v_cmp_ngt_f32_e64 s[0:1], s23, v30
	v_cndmask_b32_e32 v13, 0, v13, vcc
	v_cmp_nlt_f32_e32 vcc, s24, v9
	v_cndmask_b32_e64 v27, 0, v27, s[8:9]
	v_cmp_nlt_f32_e64 s[8:9], s24, v21
	v_cndmask_b32_e64 v21, 0, v6, s[10:11]
	v_cndmask_b32_e64 v6, v8, v12, s[12:13]
	v_ldexp_f32 v24, v26, v29
	v_cmp_ngt_f32_e64 s[2:3], s23, v31
	v_cmp_ngt_f32_e64 s[4:5], s23, v40
	v_ldexp_f32 v26, v41, v46
	v_cmp_ngt_f32_e64 s[6:7], s23, v20
	v_cndmask_b32_e64 v9, 0, v23, s[0:1]
	v_cmp_nlt_f32_e64 s[0:1], s24, v30
	v_cndmask_b32_e32 v12, v8, v13, vcc
	s_waitcnt vmcnt(7)
	v_pk_fma_f32 v[2:3], v[6:7], v[32:33], v[2:3] op_sel_hi:[0,1,1]
	v_cndmask_b32_e64 v23, 0, v24, s[2:3]
	v_cmp_nlt_f32_e64 s[2:3], s24, v31
	v_cndmask_b32_e64 v24, 0, v25, s[4:5]
	v_cndmask_b32_e64 v25, 0, v26, s[6:7]
	v_cmp_nlt_f32_e64 s[6:7], s24, v20
	v_cndmask_b32_e64 v20, v8, v9, s[0:1]
	s_waitcnt vmcnt(6)
	v_pk_fma_f32 v[2:3], v[12:13], v[34:35], v[2:3] op_sel_hi:[0,1,1]
	v_cmp_nlt_f32_e64 s[4:5], s24, v40
	v_cmp_nlt_f32_e64 s[10:11], s24, v22
	v_cndmask_b32_e64 v22, v8, v23, s[2:3]
	s_waitcnt vmcnt(5)
	v_pk_fma_f32 v[2:3], v[20:21], v[36:37], v[2:3] op_sel_hi:[0,1,1]
	v_cndmask_b32_e64 v24, v8, v24, s[4:5]
	s_waitcnt vmcnt(4)
	v_pk_fma_f32 v[2:3], v[22:23], v[38:39], v[2:3] op_sel_hi:[0,1,1]
	;; [unrolled: 3-line block ×4, first 2 shown]
	s_add_i32 s25, s25, 8
	s_add_i32 s21, s21, 64
	v_cndmask_b32_e64 v30, v8, v21, s[10:11]
	s_waitcnt vmcnt(1)
	v_pk_fma_f32 v[2:3], v[28:29], v[16:17], v[2:3] op_sel_hi:[0,1,1]
	s_cmp_eq_u32 s20, s25
	v_add_u32_e32 v4, 0x800, v4
	s_waitcnt vmcnt(0)
	v_pk_fma_f32 v[2:3], v[30:31], v[18:19], v[2:3] op_sel_hi:[0,1,1]
	s_cbranch_scc0 .LBB4_24
; %bb.25:
	s_and_b32 s0, s19, 7
	s_cmp_eq_u32 s0, 0
	s_cbranch_scc0 .LBB4_28
	s_branch .LBB4_30
.LBB4_26:
	s_waitcnt lgkmcnt(0)
	v_mov_b32_e32 v1, 0x7fc00000
	s_branch .LBB4_31
.LBB4_27:
	v_mov_b32_e32 v2, 0
	s_mov_b32 s20, 0
	v_mov_b32_e32 v3, v2
	s_and_b32 s0, s19, 7
	s_cmp_eq_u32 s0, 0
	s_cbranch_scc1 .LBB4_30
.LBB4_28:
	s_lshl_b32 s1, s20, 3
	v_lshl_or_b32 v4, s20, 8, v0
	s_add_i32 s1, s1, 0
	s_mov_b32 s2, 0x3fb8aa3b
	s_mov_b32 s3, 0xc2ce8ed0
	;; [unrolled: 1-line block ×3, first 2 shown]
	v_mov_b32_e32 v6, 0x7f800000
	v_mov_b32_e32 v5, 0
.LBB4_29:                               ; =>This Inner Loop Header: Depth=1
	v_lshl_add_u64 v[8:9], v[4:5], 2, s[16:17]
	global_load_dword v9, v[8:9], off
	v_mov_b32_e32 v7, s1
	ds_read_b64 v[10:11], v7
	s_add_i32 s1, s1, 8
	s_add_i32 s0, s0, -1
	v_add_u32_e32 v4, 0x100, v4
	s_cmp_lg_u32 s0, 0
	s_waitcnt lgkmcnt(0)
	v_sub_f32_e32 v7, v10, v1
	v_mul_f32_e32 v8, 0x3fb8aa3b, v7
	v_fma_f32 v10, v7, s2, -v8
	v_rndne_f32_e32 v12, v8
	v_fmac_f32_e32 v10, 0x32a5705f, v7
	v_sub_f32_e32 v8, v8, v12
	v_add_f32_e32 v8, v8, v10
	v_cvt_i32_f32_e32 v12, v12
	v_exp_f32_e32 v10, v8
	v_cmp_ngt_f32_e32 vcc, s3, v7
	v_mov_b32_e32 v8, v11
	v_ldexp_f32 v10, v10, v12
	v_cndmask_b32_e32 v10, 0, v10, vcc
	v_cmp_nlt_f32_e32 vcc, s4, v7
	s_nop 1
	v_cndmask_b32_e32 v10, v6, v10, vcc
	s_waitcnt vmcnt(0)
	v_pk_fma_f32 v[2:3], v[10:11], v[8:9], v[2:3] op_sel_hi:[0,1,1]
	s_cbranch_scc1 .LBB4_29
.LBB4_30:
	s_waitcnt lgkmcnt(0)
	v_div_scale_f32 v1, s[0:1], v2, v2, v3
	v_rcp_f32_e32 v4, v1
	v_div_scale_f32 v5, vcc, v3, v2, v3
	v_fma_f32 v6, -v1, v4, 1.0
	v_fmac_f32_e32 v4, v6, v4
	v_mul_f32_e32 v6, v5, v4
	v_fma_f32 v7, -v1, v6, v5
	v_fmac_f32_e32 v6, v7, v4
	v_fma_f32 v1, -v1, v6, v5
	v_div_fmas_f32 v1, v1, v4, v6
	v_div_fixup_f32 v1, v1, v2, v3
.LBB4_31:
	s_lshl_b32 s0, s18, 8
	s_ashr_i32 s1, s0, 31
	s_lshl_b64 s[0:1], s[0:1], 2
	s_add_u32 s0, s14, s0
	s_addc_u32 s1, s15, s1
	v_lshlrev_b32_e32 v0, 2, v0
	global_store_dword v0, v1, s[0:1]
	s_endpgm
	.section	.rodata,"a",@progbits
	.p2align	6, 0x0
	.amdhsa_kernel _ZL26flash_attn_combine_resultsILi256EEvPKfPK15HIP_vector_typeIfLj2EEPfi
		.amdhsa_group_segment_fixed_size 0
		.amdhsa_private_segment_fixed_size 0
		.amdhsa_kernarg_size 288
		.amdhsa_user_sgpr_count 2
		.amdhsa_user_sgpr_dispatch_ptr 0
		.amdhsa_user_sgpr_queue_ptr 0
		.amdhsa_user_sgpr_kernarg_segment_ptr 1
		.amdhsa_user_sgpr_dispatch_id 0
		.amdhsa_user_sgpr_kernarg_preload_length 0
		.amdhsa_user_sgpr_kernarg_preload_offset 0
		.amdhsa_user_sgpr_private_segment_size 0
		.amdhsa_uses_dynamic_stack 0
		.amdhsa_enable_private_segment 0
		.amdhsa_system_sgpr_workgroup_id_x 1
		.amdhsa_system_sgpr_workgroup_id_y 1
		.amdhsa_system_sgpr_workgroup_id_z 1
		.amdhsa_system_sgpr_workgroup_info 0
		.amdhsa_system_vgpr_workitem_id 0
		.amdhsa_next_free_vgpr 59
		.amdhsa_next_free_sgpr 26
		.amdhsa_accum_offset 60
		.amdhsa_reserve_vcc 1
		.amdhsa_float_round_mode_32 0
		.amdhsa_float_round_mode_16_64 0
		.amdhsa_float_denorm_mode_32 3
		.amdhsa_float_denorm_mode_16_64 3
		.amdhsa_dx10_clamp 1
		.amdhsa_ieee_mode 1
		.amdhsa_fp16_overflow 0
		.amdhsa_tg_split 0
		.amdhsa_exception_fp_ieee_invalid_op 0
		.amdhsa_exception_fp_denorm_src 0
		.amdhsa_exception_fp_ieee_div_zero 0
		.amdhsa_exception_fp_ieee_overflow 0
		.amdhsa_exception_fp_ieee_underflow 0
		.amdhsa_exception_fp_ieee_inexact 0
		.amdhsa_exception_int_div_zero 0
	.end_amdhsa_kernel
	.section	.text._ZL26flash_attn_combine_resultsILi256EEvPKfPK15HIP_vector_typeIfLj2EEPfi,"axG",@progbits,_ZL26flash_attn_combine_resultsILi256EEvPKfPK15HIP_vector_typeIfLj2EEPfi,comdat
.Lfunc_end4:
	.size	_ZL26flash_attn_combine_resultsILi256EEvPKfPK15HIP_vector_typeIfLj2EEPfi, .Lfunc_end4-_ZL26flash_attn_combine_resultsILi256EEvPKfPK15HIP_vector_typeIfLj2EEPfi
                                        ; -- End function
	.set _ZL26flash_attn_combine_resultsILi256EEvPKfPK15HIP_vector_typeIfLj2EEPfi.num_vgpr, 59
	.set _ZL26flash_attn_combine_resultsILi256EEvPKfPK15HIP_vector_typeIfLj2EEPfi.num_agpr, 0
	.set _ZL26flash_attn_combine_resultsILi256EEvPKfPK15HIP_vector_typeIfLj2EEPfi.numbered_sgpr, 26
	.set _ZL26flash_attn_combine_resultsILi256EEvPKfPK15HIP_vector_typeIfLj2EEPfi.num_named_barrier, 0
	.set _ZL26flash_attn_combine_resultsILi256EEvPKfPK15HIP_vector_typeIfLj2EEPfi.private_seg_size, 0
	.set _ZL26flash_attn_combine_resultsILi256EEvPKfPK15HIP_vector_typeIfLj2EEPfi.uses_vcc, 1
	.set _ZL26flash_attn_combine_resultsILi256EEvPKfPK15HIP_vector_typeIfLj2EEPfi.uses_flat_scratch, 0
	.set _ZL26flash_attn_combine_resultsILi256EEvPKfPK15HIP_vector_typeIfLj2EEPfi.has_dyn_sized_stack, 0
	.set _ZL26flash_attn_combine_resultsILi256EEvPKfPK15HIP_vector_typeIfLj2EEPfi.has_recursion, 0
	.set _ZL26flash_attn_combine_resultsILi256EEvPKfPK15HIP_vector_typeIfLj2EEPfi.has_indirect_call, 0
	.section	.AMDGPU.csdata,"",@progbits
; Kernel info:
; codeLenInByte = 2924
; TotalNumSgprs: 32
; NumVgprs: 59
; NumAgprs: 0
; TotalNumVgprs: 59
; ScratchSize: 0
; MemoryBound: 0
; FloatMode: 240
; IeeeMode: 1
; LDSByteSize: 0 bytes/workgroup (compile time only)
; SGPRBlocks: 3
; VGPRBlocks: 7
; NumSGPRsForWavesPerEU: 32
; NumVGPRsForWavesPerEU: 59
; AccumOffset: 60
; Occupancy: 8
; WaveLimiterHint : 0
; COMPUTE_PGM_RSRC2:SCRATCH_EN: 0
; COMPUTE_PGM_RSRC2:USER_SGPR: 2
; COMPUTE_PGM_RSRC2:TRAP_HANDLER: 0
; COMPUTE_PGM_RSRC2:TGID_X_EN: 1
; COMPUTE_PGM_RSRC2:TGID_Y_EN: 1
; COMPUTE_PGM_RSRC2:TGID_Z_EN: 1
; COMPUTE_PGM_RSRC2:TIDIG_COMP_CNT: 0
; COMPUTE_PGM_RSRC3_GFX90A:ACCUM_OFFSET: 14
; COMPUTE_PGM_RSRC3_GFX90A:TG_SPLIT: 0
	.section	.text._ZL15flash_attn_tileILi256ELi256ELi2ELi8ELb0EEvPKcS1_S1_S1_S1_PKiPfP15HIP_vector_typeIfLj2EEffffjfiS5_IjLj3EEiiiiiiiiiiiliiliiiiil,"axG",@progbits,_ZL15flash_attn_tileILi256ELi256ELi2ELi8ELb0EEvPKcS1_S1_S1_S1_PKiPfP15HIP_vector_typeIfLj2EEffffjfiS5_IjLj3EEiiiiiiiiiiiliiliiiiil,comdat
	.globl	_ZL15flash_attn_tileILi256ELi256ELi2ELi8ELb0EEvPKcS1_S1_S1_S1_PKiPfP15HIP_vector_typeIfLj2EEffffjfiS5_IjLj3EEiiiiiiiiiiiliiliiiiil ; -- Begin function _ZL15flash_attn_tileILi256ELi256ELi2ELi8ELb0EEvPKcS1_S1_S1_S1_PKiPfP15HIP_vector_typeIfLj2EEffffjfiS5_IjLj3EEiiiiiiiiiiiliiliiiiil
	.p2align	8
	.type	_ZL15flash_attn_tileILi256ELi256ELi2ELi8ELb0EEvPKcS1_S1_S1_S1_PKiPfP15HIP_vector_typeIfLj2EEffffjfiS5_IjLj3EEiiiiiiiiiiiliiliiiiil,@function
_ZL15flash_attn_tileILi256ELi256ELi2ELi8ELb0EEvPKcS1_S1_S1_S1_PKiPfP15HIP_vector_typeIfLj2EEffffjfiS5_IjLj3EEiiiiiiiiiiiliiliiiiil: ; @_ZL15flash_attn_tileILi256ELi256ELi2ELi8ELb0EEvPKcS1_S1_S1_S1_PKiPfP15HIP_vector_typeIfLj2EEffffjfiS5_IjLj3EEiiiiiiiiiiiliiliiiiil
; %bb.0:
	s_load_dwordx4 s[20:23], s[0:1], 0x5c
	s_load_dwordx2 s[24:25], s[0:1], 0x80
	s_load_dwordx2 s[28:29], s[0:1], 0xb8
	s_mov_b64 s[26:27], 0
	s_waitcnt lgkmcnt(0)
	s_ashr_i32 s5, s23, 31
	s_lshr_b32 s5, s5, 29
	s_add_i32 s5, s23, s5
	s_ashr_i32 s5, s5, 3
	v_cvt_f32_u32_e32 v1, s5
	s_sub_i32 s6, 0, s5
	v_rcp_iflag_f32_e32 v1, v1
	s_nop 0
	v_mul_f32_e32 v1, 0x4f7ffffe, v1
	v_cvt_u32_f32_e32 v1, v1
	s_nop 0
	v_readfirstlane_b32 s7, v1
	s_mul_i32 s6, s6, s7
	s_mul_hi_u32 s6, s7, s6
	s_add_i32 s7, s7, s6
	s_mul_hi_u32 s6, s4, s7
	s_mul_i32 s7, s6, s5
	s_sub_i32 s7, s4, s7
	s_add_i32 s8, s6, 1
	s_sub_i32 s9, s7, s5
	s_cmp_ge_u32 s7, s5
	s_cselect_b32 s6, s8, s6
	s_cselect_b32 s7, s9, s7
	s_add_i32 s8, s6, 1
	s_cmp_ge_u32 s7, s5
	s_cselect_b32 s30, s8, s6
	s_abs_i32 s5, s25
	v_cvt_f32_u32_e32 v1, s5
	s_lshl_b32 s4, s4, 3
	s_mul_i32 s8, s30, s23
	s_xor_b32 s6, s23, s25
	v_rcp_iflag_f32_e32 v1, v1
	s_sub_i32 s9, 0, s5
	s_sub_i32 s25, s4, s8
	s_abs_i32 s7, s23
	v_mul_f32_e32 v1, 0x4f7ffffe, v1
	v_cvt_u32_f32_e32 v1, v1
	s_ashr_i32 s6, s6, 31
	v_readfirstlane_b32 s4, v1
	s_mul_i32 s9, s9, s4
	s_mul_hi_u32 s8, s4, s9
	s_add_i32 s4, s4, s8
	s_mul_hi_u32 s4, s7, s4
	s_mul_i32 s8, s4, s5
	s_sub_i32 s7, s7, s8
	s_add_i32 s9, s4, 1
	s_sub_i32 s8, s7, s5
	s_cmp_ge_u32 s7, s5
	s_cselect_b32 s4, s9, s4
	s_cselect_b32 s7, s8, s7
	s_add_i32 s8, s4, 1
	s_cmp_ge_u32 s7, s5
	s_cselect_b32 s4, s8, s4
	s_xor_b32 s4, s4, s6
	s_sub_i32 s33, s4, s6
	s_abs_i32 s31, s33
	v_cvt_f32_u32_e32 v1, s31
	s_load_dwordx16 s[4:19], s[0:1], 0x0
	v_rcp_iflag_f32_e32 v1, v1
	s_waitcnt lgkmcnt(0)
	s_cmp_eq_u64 s[10:11], 0
	v_mul_f32_e32 v1, 0x4f7ffffe, v1
	v_cvt_u32_f32_e32 v1, v1
	s_nop 0
	v_readfirstlane_b32 s34, v1
	s_cbranch_scc1 .LBB5_2
; %bb.1:
	s_abs_i32 s28, s28
	v_cvt_f32_u32_e32 v1, s28
	s_sub_i32 s37, 0, s28
	s_abs_i32 s36, s30
	s_ashr_i32 s35, s30, 31
	v_rcp_iflag_f32_e32 v1, v1
	s_load_dwordx2 s[26:27], s[0:1], 0xc8
	v_mul_f32_e32 v1, 0x4f7ffffe, v1
	v_cvt_u32_f32_e32 v1, v1
	s_nop 0
	v_readfirstlane_b32 s38, v1
	s_mul_i32 s37, s37, s38
	s_mul_hi_u32 s37, s38, s37
	s_add_i32 s38, s38, s37
	s_mul_hi_u32 s37, s36, s38
	s_mul_i32 s37, s37, s28
	s_sub_i32 s36, s36, s37
	s_sub_i32 s37, s36, s28
	s_cmp_ge_u32 s36, s28
	s_cselect_b32 s36, s37, s36
	s_sub_i32 s37, s36, s28
	s_cmp_ge_u32 s36, s28
	s_cselect_b32 s28, s37, s36
	s_xor_b32 s28, s28, s35
	s_sub_i32 s28, s28, s35
	s_ashr_i32 s35, s28, 31
	s_waitcnt lgkmcnt(0)
	s_mul_hi_u32 s36, s26, s28
	s_mul_i32 s35, s26, s35
	s_mul_i32 s27, s27, s28
	s_add_i32 s35, s36, s35
	s_add_i32 s35, s35, s27
	s_mul_i32 s26, s26, s28
	s_add_u32 s26, s10, s26
	s_addc_u32 s27, s11, s35
.LBB5_2:
	s_load_dwordx4 s[36:39], s[0:1], 0x70
	v_lshrrev_b32_e32 v3, 10, v0
	v_bfe_u32 v3, v3, 2, 8
	v_lshl_add_u32 v9, s2, 1, v3
	v_mul_hi_u32 v3, s20, v9
	s_waitcnt lgkmcnt(0)
	s_mul_i32 s10, s30, s38
	s_ashr_i32 s28, s10, 31
	s_mul_i32 s11, s25, s37
	s_add_u32 s4, s4, s10
	s_addc_u32 s5, s5, s28
	s_ashr_i32 s10, s11, 31
	v_add_u32_e32 v3, v9, v3
	s_add_u32 s4, s4, s11
	v_lshrrev_b32_e32 v3, s21, v3
	s_addc_u32 s5, s5, s10
	s_ashr_i32 s11, s37, 31
	s_mov_b32 s10, s37
	v_mul_lo_u32 v3, v3, s22
	s_ashr_i32 s37, s36, 31
	v_sub_u32_e32 v3, v9, v3
	s_lshr_b64 s[20:21], s[36:37], 2
	v_mad_u64_u32 v[4:5], s[20:21], s20, v3, 0
	s_lshr_b64 s[38:39], s[10:11], 2
	v_mov_b32_e32 v6, v5
	s_lshr_b32 s10, s37, 2
	v_bfe_u32 v1, v0, 10, 10
	v_mad_u64_u32 v[6:7], s[20:21], s10, v3, v[6:7]
	v_lshlrev_b32_e32 v2, 1, v1
	v_mov_b32_e32 v5, v6
	v_and_b32_e32 v8, 0x3ff, v0
	v_mov_b32_e32 v7, 0
	v_lshl_add_u64 v[4:5], v[4:5], 2, s[4:5]
	v_lshlrev_b32_e32 v6, 4, v8
	v_and_b32_e32 v32, 6, v2
	v_lshl_add_u64 v[14:15], v[4:5], 0, v[6:7]
	v_mad_u64_u32 v[4:5], s[4:5], s38, v32, 0
	v_mov_b32_e32 v0, v5
	s_lshr_b32 s10, s11, 2
	v_mad_u64_u32 v[6:7], s[4:5], s10, v32, v[0:1]
	v_mov_b32_e32 v5, v6
	v_lshl_add_u64 v[16:17], v[4:5], 2, v[14:15]
	v_bitop3_b32 v18, v2, 7, 1 bitop3:0xc8
	global_load_dwordx4 v[4:7], v[16:17], off
	global_load_dwordx4 v[10:13], v[16:17], off offset:512
	v_mad_u64_u32 v[16:17], s[4:5], s38, v18, 0
	v_mov_b32_e32 v0, v17
	v_mad_u64_u32 v[18:19], s[4:5], s10, v18, v[0:1]
	v_mov_b32_e32 v17, v18
	v_lshl_add_u64 v[22:23], v[16:17], 2, v[14:15]
	global_load_dwordx4 v[14:17], v[22:23], off
	global_load_dwordx4 v[18:21], v[22:23], off offset:512
	s_load_dword s4, s[0:1], 0x40
	v_lshlrev_b32_e32 v34, 3, v8
	v_lshlrev_b32_e32 v0, 10, v1
	v_add_u32_e32 v22, 0x2200, v34
	v_add_u32_e32 v24, v22, v0
	v_or_b32_e32 v23, 1, v2
	v_lshl_add_u32 v22, v23, 9, v22
	s_cmp_eq_u64 s[14:15], 0
	s_waitcnt vmcnt(3) lgkmcnt(0)
	v_fma_mixlo_f16 v4, s4, v4, 0
	v_fma_mixlo_f16 v5, s4, v5, 0
	;; [unrolled: 1-line block ×4, first 2 shown]
	s_waitcnt vmcnt(2)
	v_fma_mixlo_f16 v10, s4, v10, 0
	v_fma_mixlo_f16 v11, s4, v11, 0
	v_fma_mixlo_f16 v12, s4, v12, 0
	v_fma_mixlo_f16 v13, s4, v13, 0
	v_lshlrev_b32_e32 v5, 16, v5
	v_and_b32_e32 v4, 0xffff, v4
	v_lshlrev_b32_e32 v7, 16, v7
	v_and_b32_e32 v6, 0xffff, v6
	;; [unrolled: 2-line block ×4, first 2 shown]
	v_or_b32_e32 v4, v5, v4
	v_or3_b32 v5, v7, v6, 0
	v_or_b32_e32 v6, v11, v10
	s_waitcnt vmcnt(1)
	v_fma_mixlo_f16 v14, s4, v14, 0
	v_fma_mixlo_f16 v15, s4, v15, 0
	s_waitcnt vmcnt(0)
	v_fma_mixlo_f16 v18, s4, v18, 0
	v_fma_mixlo_f16 v19, s4, v19, 0
	v_or3_b32 v7, v13, v12, 0
	v_or3_b32 v4, 0, 0, v4
	;; [unrolled: 1-line block ×3, first 2 shown]
	v_fma_mixlo_f16 v16, s4, v16, 0
	v_fma_mixlo_f16 v17, s4, v17, 0
	;; [unrolled: 1-line block ×3, first 2 shown]
	v_lshlrev_b32_e32 v15, 16, v15
	v_and_b32_e32 v14, 0xffff, v14
	v_lshlrev_b32_e32 v19, 16, v19
	v_and_b32_e32 v18, 0xffff, v18
	ds_write2_b64 v24, v[4:5], v[6:7] offset1:32
	v_fma_mixlo_f16 v4, s4, v21, 0
	v_lshlrev_b32_e32 v17, 16, v17
	v_and_b32_e32 v16, 0xffff, v16
	v_or_b32_e32 v10, v15, v14
	v_or_b32_e32 v12, v19, v18
	v_lshlrev_b32_e32 v4, 16, v4
	v_and_b32_e32 v5, 0xffff, v20
	v_or3_b32 v11, v17, v16, 0
	v_or3_b32 v10, 0, 0, v10
	;; [unrolled: 1-line block ×4, first 2 shown]
	ds_write2_b64 v22, v[10:11], v[4:5] offset1:32
	s_waitcnt lgkmcnt(0)
	s_barrier
	s_cbranch_scc1 .LBB5_4
; %bb.3:
	s_load_dword s4, s[0:1], 0xd0
	s_mov_b32 s5, 0
	s_waitcnt lgkmcnt(0)
	s_mul_i32 s4, s4, s30
	s_add_i32 s4, s4, s2
	s_lshl_b64 s[4:5], s[4:5], 2
	s_add_u32 s4, s14, s4
	s_addc_u32 s5, s15, s5
	s_load_dword s24, s[4:5], 0x0
.LBB5_4:
	s_lshl_b32 s2, s3, 5
	v_lshlrev_b32_e32 v33, 2, v8
	s_waitcnt lgkmcnt(0)
	s_cmp_lt_i32 s2, s24
	v_mbcnt_lo_u32_b32 v5, -1, 0
	s_cbranch_scc1 .LBB5_7
; %bb.5:
	v_mbcnt_hi_u32_b32 v19, -1, v5
	v_and_b32_e32 v4, 0x60, v19
	v_add_u32_e32 v35, 32, v4
	v_xor_b32_e32 v40, 16, v19
	v_xor_b32_e32 v39, 8, v19
	;; [unrolled: 1-line block ×5, first 2 shown]
	s_cbranch_execz .LBB5_8
; %bb.6:
	v_mov_b32_e32 v11, 0
	v_mov_b32_e32 v5, 0xfeffffff
	v_mov_b32_e32 v57, 0
	v_mov_b32_e32 v4, v5
	v_mov_b32_e32 v10, v11
	v_mov_b32_e32 v59, 0
	v_mov_b32_e32 v58, 0
	v_mov_b32_e32 v56, 0
	v_mov_b32_e32 v54, 0
	v_mov_b32_e32 v55, 0
	v_mov_b32_e32 v53, 0
	v_mov_b32_e32 v52, 0
	s_branch .LBB5_10
.LBB5_7:
                                        ; implicit-def: $vgpr19
                                        ; implicit-def: $vgpr35
                                        ; implicit-def: $vgpr40
                                        ; implicit-def: $vgpr39
                                        ; implicit-def: $vgpr38
                                        ; implicit-def: $vgpr37
                                        ; implicit-def: $vgpr36
.LBB5_8:
	s_sub_i32 s4, 0, s31
	s_mul_i32 s4, s4, s34
	s_mul_hi_u32 s4, s34, s4
	s_add_i32 s34, s34, s4
	s_load_dwordx2 s[4:5], s[0:1], 0x8c
	s_load_dwordx4 s[36:39], s[0:1], 0x98
	s_abs_i32 s20, s25
	s_mul_hi_u32 s21, s20, s34
	s_ashr_i32 s34, s29, 1
	s_waitcnt lgkmcnt(0)
	s_ashr_i32 s15, s4, 2
	s_ashr_i32 s4, s30, 31
	s_mul_hi_u32 s29, s36, s30
	s_mul_i32 s35, s36, s4
	s_add_i32 s29, s29, s35
	s_mul_i32 s35, s37, s30
	s_ashr_i32 s28, s25, 31
	s_ashr_i32 s33, s33, 31
	;; [unrolled: 1-line block ×3, first 2 shown]
	s_add_i32 s29, s29, s35
	s_mul_i32 s35, s36, s30
	s_add_u32 s6, s6, s35
	s_addc_u32 s7, s7, s29
	s_mul_i32 s29, s21, s31
	s_sub_i32 s20, s20, s29
	s_xor_b32 s28, s28, s33
	s_add_i32 s29, s21, 1
	s_sub_i32 s33, s20, s31
	s_cmp_ge_u32 s20, s31
	s_cselect_b32 s21, s29, s21
	s_cselect_b32 s20, s33, s20
	s_add_i32 s29, s21, 1
	s_cmp_ge_u32 s20, s31
	s_load_dwordx2 s[10:11], s[0:1], 0xa8
	s_cselect_b32 s20, s29, s21
	s_xor_b32 s20, s20, s28
	s_sub_i32 s28, s20, s28
	s_mul_i32 s5, s28, s5
	s_ashr_i32 s21, s5, 31
	s_add_u32 s20, s6, s5
	s_waitcnt lgkmcnt(0)
	s_mul_hi_u32 s5, s10, s30
	s_mul_i32 s4, s10, s4
	s_addc_u32 s21, s7, s21
	s_add_i32 s4, s5, s4
	s_mul_i32 s5, s11, s30
	s_add_i32 s4, s4, s5
	s_mul_i32 s5, s10, s30
	s_add_u32 s5, s8, s5
	s_mul_i32 s28, s28, s39
	s_addc_u32 s4, s9, s4
	s_ashr_i32 s6, s28, 31
	v_lshrrev_b32_e32 v4, 4, v8
	s_add_u32 s28, s5, s28
	v_add_u32_e32 v4, v4, v2
	v_and_b32_e32 v2, 60, v33
	s_addc_u32 s29, s4, s6
	v_lshlrev_b32_e32 v6, 2, v2
	s_movk_i32 s4, 0x110
	v_add_u32_e32 v44, 0x2200, v0
	v_mov_b32_e32 v0, 0x4200
	v_mad_u32_u24 v41, v4, s4, v6
	v_mad_u64_u32 v[18:19], s[4:5], v3, s34, v[8:9]
	v_lshl_add_u32 v45, v1, 7, v0
	v_mul_lo_u32 v0, s14, v1
	v_mul_lo_u32 v14, s15, v4
	v_lshlrev_b32_e32 v20, 2, v33
	v_lshl_add_u32 v6, s14, 3, v0
	v_mbcnt_hi_u32_b32 v19, -1, v5
	v_mov_b32_e32 v13, 0
	v_lshl_add_u32 v16, s15, 4, v14
	v_lshl_add_u32 v46, v1, 9, v20
	v_ashrrev_i32_e32 v1, 31, v0
	v_ashrrev_i32_e32 v7, 31, v6
	s_add_u32 s10, s0, 0xd0
	v_mov_b32_e32 v4, 0xfeffffff
	v_lshlrev_b32_e32 v12, 2, v2
	v_and_b32_e32 v2, 0x60, v19
	v_ashrrev_i32_e32 v15, 31, v14
	v_add_u32_e32 v42, 0x1100, v41
	v_ashrrev_i32_e32 v17, 31, v16
	v_mul_u32_u24_e32 v43, 0x110, v8
	v_add_u32_e32 v47, 0x1000, v46
	s_addc_u32 s11, s1, 0
	v_add_u32_e32 v35, 32, v2
	v_xor_b32_e32 v40, 16, v19
	v_xor_b32_e32 v39, 8, v19
	;; [unrolled: 1-line block ×5, first 2 shown]
	s_mov_b32 s31, 0x3fb8aa3b
	s_mov_b32 s33, 0xc2ce8ed0
	;; [unrolled: 1-line block ×3, first 2 shown]
	v_mov_b32_e32 v48, 0x7f800000
	s_mov_b32 s35, 0x10001
	v_lshlrev_b64 v[22:23], 2, v[0:1]
	v_mov_b32_e32 v21, v13
	v_lshlrev_b64 v[24:25], 2, v[6:7]
	v_add_u32_e32 v49, 0x800, v34
	v_add_u32_e32 v50, 0x1000, v34
	;; [unrolled: 1-line block ×3, first 2 shown]
	v_mov_b32_e32 v52, v13
	v_mov_b32_e32 v53, v13
	;; [unrolled: 1-line block ×11, first 2 shown]
.LBB5_9:                                ; =>This Inner Loop Header: Depth=1
	s_mul_hi_i32 s5, s2, s15
	s_mul_i32 s4, s2, s15
	s_lshl_b64 s[4:5], s[4:5], 2
	s_add_u32 s4, s20, s4
	s_addc_u32 s5, s21, s5
	v_lshl_add_u64 v[0:1], v[14:15], 2, s[4:5]
	v_lshl_add_u64 v[2:3], v[16:17], 2, s[4:5]
	;; [unrolled: 1-line block ×3, first 2 shown]
	v_mov_b32_e32 v62, v5
	v_mov_b32_e32 v63, v4
	v_lshl_add_u64 v[30:31], v[2:3], 0, v[12:13]
	global_load_dwordx4 v[0:3], v[28:29], off
	global_load_dwordx4 v[4:7], v[30:31], off
	v_mov_b32_e32 v60, 0
	v_mov_b32_e32 v61, 0
	s_mul_hi_i32 s5, s2, s14
	s_mul_i32 s4, s2, s14
	s_lshl_b64 s[4:5], s[4:5], 2
	s_add_u32 s4, s28, s4
	s_addc_u32 s5, s29, s5
	s_or_b32 s6, s2, 16
	v_add_u32_e32 v26, s2, v18
	v_ashrrev_i32_e32 v27, 31, v26
	v_cmp_lt_i32_e32 vcc, v40, v35
	v_max_f32_e32 v70, v63, v63
	v_max_f32_e32 v71, v62, v62
	v_cndmask_b32_e32 v64, v19, v40, vcc
	v_lshlrev_b32_e32 v64, 2, v64
	v_cmp_lt_i32_e32 vcc, v39, v35
	s_waitcnt vmcnt(1)
	ds_write_b128 v41, v[0:3]
	s_waitcnt vmcnt(0)
	ds_write_b128 v42, v[4:7]
	s_waitcnt lgkmcnt(0)
	s_barrier
	ds_read_b128 v[0:3], v43
	ds_read_b128 v[4:7], v44
	ds_read_b128 v[66:69], v44 offset:512
	s_waitcnt lgkmcnt(1)
	;;#ASMSTART
	v_dot2_f32_f16 v60, v0, v4, v60
	;;#ASMEND
	s_nop 0
	;;#ASMSTART
	v_dot2_f32_f16 v60, v1, v5, v60
	;;#ASMEND
	v_cndmask_b32_e32 v65, v19, v39, vcc
	;;#ASMSTART
	v_dot2_f32_f16 v60, v2, v6, v60
	;;#ASMEND
	v_lshlrev_b32_e32 v65, 2, v65
	;;#ASMSTART
	v_dot2_f32_f16 v60, v3, v7, v60
	;;#ASMEND
	s_waitcnt lgkmcnt(0)
	;;#ASMSTART
	v_dot2_f32_f16 v61, v0, v66, v61
	;;#ASMEND
	v_cmp_lt_i32_e32 vcc, v38, v35
	;;#ASMSTART
	v_dot2_f32_f16 v61, v1, v67, v61
	;;#ASMEND
	s_nop 0
	;;#ASMSTART
	v_dot2_f32_f16 v61, v2, v68, v61
	;;#ASMEND
	s_nop 0
	;;#ASMSTART
	v_dot2_f32_f16 v61, v3, v69, v61
	;;#ASMEND
	ds_read_b128 v[0:3], v43 offset:16
	ds_read_b128 v[4:7], v44 offset:16
	ds_read_b128 v[66:69], v44 offset:528
	s_waitcnt lgkmcnt(1)
	;;#ASMSTART
	v_dot2_f32_f16 v60, v0, v4, v60
	;;#ASMEND
	s_nop 0
	;;#ASMSTART
	v_dot2_f32_f16 v60, v1, v5, v60
	;;#ASMEND
	s_nop 0
	;;#ASMSTART
	v_dot2_f32_f16 v60, v2, v6, v60
	;;#ASMEND
	s_nop 0
	;;#ASMSTART
	v_dot2_f32_f16 v60, v3, v7, v60
	;;#ASMEND
	s_waitcnt lgkmcnt(0)
	;;#ASMSTART
	v_dot2_f32_f16 v61, v0, v66, v61
	;;#ASMEND
	s_nop 0
	;;#ASMSTART
	v_dot2_f32_f16 v61, v1, v67, v61
	;;#ASMEND
	s_nop 0
	;;#ASMSTART
	v_dot2_f32_f16 v61, v2, v68, v61
	;;#ASMEND
	s_nop 0
	;;#ASMSTART
	v_dot2_f32_f16 v61, v3, v69, v61
	;;#ASMEND
	ds_read_b128 v[0:3], v43 offset:32
	ds_read_b128 v[4:7], v44 offset:32
	ds_read_b128 v[66:69], v44 offset:544
	s_waitcnt lgkmcnt(1)
	;;#ASMSTART
	v_dot2_f32_f16 v60, v0, v4, v60
	;;#ASMEND
	s_nop 0
	;;#ASMSTART
	v_dot2_f32_f16 v60, v1, v5, v60
	;;#ASMEND
	s_nop 0
	;;#ASMSTART
	v_dot2_f32_f16 v60, v2, v6, v60
	;;#ASMEND
	s_nop 0
	;;#ASMSTART
	v_dot2_f32_f16 v60, v3, v7, v60
	;;#ASMEND
	s_waitcnt lgkmcnt(0)
	;;#ASMSTART
	v_dot2_f32_f16 v61, v0, v66, v61
	;;#ASMEND
	s_nop 0
	;; [unrolled: 35-line block ×14, first 2 shown]
	;;#ASMSTART
	v_dot2_f32_f16 v61, v1, v67, v61
	;;#ASMEND
	s_nop 0
	;;#ASMSTART
	v_dot2_f32_f16 v61, v2, v68, v61
	;;#ASMEND
	s_nop 0
	;;#ASMSTART
	v_dot2_f32_f16 v61, v3, v69, v61
	;;#ASMEND
	ds_read_b128 v[0:3], v43 offset:240
	ds_read_b128 v[66:69], v44 offset:240
	;; [unrolled: 1-line block ×3, first 2 shown]
	s_waitcnt lgkmcnt(1)
	;;#ASMSTART
	v_dot2_f32_f16 v60, v0, v66, v60
	;;#ASMEND
	s_nop 0
	;;#ASMSTART
	v_dot2_f32_f16 v60, v1, v67, v60
	;;#ASMEND
	v_cndmask_b32_e32 v66, v19, v38, vcc
	;;#ASMSTART
	v_dot2_f32_f16 v60, v2, v68, v60
	;;#ASMEND
	v_lshlrev_b32_e32 v66, 2, v66
	;;#ASMSTART
	v_dot2_f32_f16 v60, v3, v69, v60
	;;#ASMEND
	s_waitcnt lgkmcnt(0)
	;;#ASMSTART
	v_dot2_f32_f16 v61, v0, v4, v61
	;;#ASMEND
	v_cmp_lt_i32_e32 vcc, v37, v35
	;;#ASMSTART
	v_dot2_f32_f16 v61, v1, v5, v61
	;;#ASMEND
	v_add_u32_e32 v69, v45, v33
	;;#ASMSTART
	v_dot2_f32_f16 v61, v2, v6, v61
	;;#ASMEND
	s_nop 0
	;;#ASMSTART
	v_dot2_f32_f16 v61, v3, v7, v61
	;;#ASMEND
	s_barrier
	global_load_dwordx4 v[0:3], v[28:29], off offset:256
	global_load_dwordx4 v[4:7], v[30:31], off offset:256
	s_waitcnt vmcnt(1)
	ds_write_b128 v41, v[0:3]
	s_waitcnt vmcnt(0)
	ds_write_b128 v42, v[4:7]
	s_waitcnt lgkmcnt(0)
	s_barrier
	ds_read_b128 v[0:3], v43
	ds_read_b128 v[4:7], v44 offset:256
	ds_read_b128 v[28:31], v44 offset:768
	s_waitcnt lgkmcnt(1)
	;;#ASMSTART
	v_dot2_f32_f16 v60, v0, v4, v60
	;;#ASMEND
	s_nop 0
	;;#ASMSTART
	v_dot2_f32_f16 v60, v1, v5, v60
	;;#ASMEND
	v_cndmask_b32_e32 v67, v19, v37, vcc
	;;#ASMSTART
	v_dot2_f32_f16 v60, v2, v6, v60
	;;#ASMEND
	v_lshlrev_b32_e32 v67, 2, v67
	;;#ASMSTART
	v_dot2_f32_f16 v60, v3, v7, v60
	;;#ASMEND
	s_waitcnt lgkmcnt(0)
	;;#ASMSTART
	v_dot2_f32_f16 v61, v0, v28, v61
	;;#ASMEND
	v_cmp_lt_i32_e32 vcc, v36, v35
	;;#ASMSTART
	v_dot2_f32_f16 v61, v1, v29, v61
	;;#ASMEND
	s_nop 0
	;;#ASMSTART
	v_dot2_f32_f16 v61, v2, v30, v61
	;;#ASMEND
	s_nop 0
	;;#ASMSTART
	v_dot2_f32_f16 v61, v3, v31, v61
	;;#ASMEND
	ds_read_b128 v[0:3], v43 offset:16
	ds_read_b128 v[4:7], v44 offset:272
	;; [unrolled: 1-line block ×3, first 2 shown]
	s_waitcnt lgkmcnt(1)
	;;#ASMSTART
	v_dot2_f32_f16 v60, v0, v4, v60
	;;#ASMEND
	s_nop 0
	;;#ASMSTART
	v_dot2_f32_f16 v60, v1, v5, v60
	;;#ASMEND
	v_cndmask_b32_e32 v68, v19, v36, vcc
	;;#ASMSTART
	v_dot2_f32_f16 v60, v2, v6, v60
	;;#ASMEND
	v_lshlrev_b32_e32 v68, 2, v68
	;;#ASMSTART
	v_dot2_f32_f16 v60, v3, v7, v60
	;;#ASMEND
	s_waitcnt lgkmcnt(0)
	;;#ASMSTART
	v_dot2_f32_f16 v61, v0, v28, v61
	;;#ASMEND
	s_nop 0
	;;#ASMSTART
	v_dot2_f32_f16 v61, v1, v29, v61
	;;#ASMEND
	s_nop 0
	;;#ASMSTART
	v_dot2_f32_f16 v61, v2, v30, v61
	;;#ASMEND
	s_nop 0
	;;#ASMSTART
	v_dot2_f32_f16 v61, v3, v31, v61
	;;#ASMEND
	ds_read_b128 v[0:3], v43 offset:32
	ds_read_b128 v[4:7], v44 offset:288
	ds_read_b128 v[28:31], v44 offset:800
	s_waitcnt lgkmcnt(1)
	;;#ASMSTART
	v_dot2_f32_f16 v60, v0, v4, v60
	;;#ASMEND
	s_nop 0
	;;#ASMSTART
	v_dot2_f32_f16 v60, v1, v5, v60
	;;#ASMEND
	s_nop 0
	;;#ASMSTART
	v_dot2_f32_f16 v60, v2, v6, v60
	;;#ASMEND
	s_nop 0
	;;#ASMSTART
	v_dot2_f32_f16 v60, v3, v7, v60
	;;#ASMEND
	s_waitcnt lgkmcnt(0)
	;;#ASMSTART
	v_dot2_f32_f16 v61, v0, v28, v61
	;;#ASMEND
	s_nop 0
	;;#ASMSTART
	v_dot2_f32_f16 v61, v1, v29, v61
	;;#ASMEND
	s_nop 0
	;;#ASMSTART
	v_dot2_f32_f16 v61, v2, v30, v61
	;;#ASMEND
	s_nop 0
	;;#ASMSTART
	v_dot2_f32_f16 v61, v3, v31, v61
	;;#ASMEND
	ds_read_b128 v[0:3], v43 offset:48
	ds_read_b128 v[4:7], v44 offset:304
	ds_read_b128 v[28:31], v44 offset:816
	s_waitcnt lgkmcnt(1)
	;;#ASMSTART
	v_dot2_f32_f16 v60, v0, v4, v60
	;;#ASMEND
	s_nop 0
	;;#ASMSTART
	v_dot2_f32_f16 v60, v1, v5, v60
	;;#ASMEND
	s_nop 0
	;;#ASMSTART
	v_dot2_f32_f16 v60, v2, v6, v60
	;;#ASMEND
	s_nop 0
	;;#ASMSTART
	v_dot2_f32_f16 v60, v3, v7, v60
	;;#ASMEND
	s_waitcnt lgkmcnt(0)
	;;#ASMSTART
	v_dot2_f32_f16 v61, v0, v28, v61
	;;#ASMEND
	s_nop 0
	;;#ASMSTART
	v_dot2_f32_f16 v61, v1, v29, v61
	;;#ASMEND
	s_nop 0
	;;#ASMSTART
	v_dot2_f32_f16 v61, v2, v30, v61
	;;#ASMEND
	s_nop 0
	;;#ASMSTART
	v_dot2_f32_f16 v61, v3, v31, v61
	;;#ASMEND
	ds_read_b128 v[0:3], v43 offset:64
	ds_read_b128 v[4:7], v44 offset:320
	ds_read_b128 v[28:31], v44 offset:832
	s_waitcnt lgkmcnt(1)
	;;#ASMSTART
	v_dot2_f32_f16 v60, v0, v4, v60
	;;#ASMEND
	s_nop 0
	;;#ASMSTART
	v_dot2_f32_f16 v60, v1, v5, v60
	;;#ASMEND
	s_nop 0
	;;#ASMSTART
	v_dot2_f32_f16 v60, v2, v6, v60
	;;#ASMEND
	s_nop 0
	;;#ASMSTART
	v_dot2_f32_f16 v60, v3, v7, v60
	;;#ASMEND
	s_waitcnt lgkmcnt(0)
	;;#ASMSTART
	v_dot2_f32_f16 v61, v0, v28, v61
	;;#ASMEND
	s_nop 0
	;;#ASMSTART
	v_dot2_f32_f16 v61, v1, v29, v61
	;;#ASMEND
	s_nop 0
	;;#ASMSTART
	v_dot2_f32_f16 v61, v2, v30, v61
	;;#ASMEND
	s_nop 0
	;;#ASMSTART
	v_dot2_f32_f16 v61, v3, v31, v61
	;;#ASMEND
	ds_read_b128 v[0:3], v43 offset:80
	ds_read_b128 v[4:7], v44 offset:336
	ds_read_b128 v[28:31], v44 offset:848
	s_waitcnt lgkmcnt(1)
	;;#ASMSTART
	v_dot2_f32_f16 v60, v0, v4, v60
	;;#ASMEND
	s_nop 0
	;;#ASMSTART
	v_dot2_f32_f16 v60, v1, v5, v60
	;;#ASMEND
	s_nop 0
	;;#ASMSTART
	v_dot2_f32_f16 v60, v2, v6, v60
	;;#ASMEND
	s_nop 0
	;;#ASMSTART
	v_dot2_f32_f16 v60, v3, v7, v60
	;;#ASMEND
	s_waitcnt lgkmcnt(0)
	;;#ASMSTART
	v_dot2_f32_f16 v61, v0, v28, v61
	;;#ASMEND
	s_nop 0
	;;#ASMSTART
	v_dot2_f32_f16 v61, v1, v29, v61
	;;#ASMEND
	s_nop 0
	;;#ASMSTART
	v_dot2_f32_f16 v61, v2, v30, v61
	;;#ASMEND
	s_nop 0
	;;#ASMSTART
	v_dot2_f32_f16 v61, v3, v31, v61
	;;#ASMEND
	ds_read_b128 v[0:3], v43 offset:96
	ds_read_b128 v[4:7], v44 offset:352
	ds_read_b128 v[28:31], v44 offset:864
	s_waitcnt lgkmcnt(1)
	;;#ASMSTART
	v_dot2_f32_f16 v60, v0, v4, v60
	;;#ASMEND
	s_nop 0
	;;#ASMSTART
	v_dot2_f32_f16 v60, v1, v5, v60
	;;#ASMEND
	s_nop 0
	;;#ASMSTART
	v_dot2_f32_f16 v60, v2, v6, v60
	;;#ASMEND
	s_nop 0
	;;#ASMSTART
	v_dot2_f32_f16 v60, v3, v7, v60
	;;#ASMEND
	s_waitcnt lgkmcnt(0)
	;;#ASMSTART
	v_dot2_f32_f16 v61, v0, v28, v61
	;;#ASMEND
	s_nop 0
	;;#ASMSTART
	v_dot2_f32_f16 v61, v1, v29, v61
	;;#ASMEND
	s_nop 0
	;;#ASMSTART
	v_dot2_f32_f16 v61, v2, v30, v61
	;;#ASMEND
	s_nop 0
	;;#ASMSTART
	v_dot2_f32_f16 v61, v3, v31, v61
	;;#ASMEND
	ds_read_b128 v[0:3], v43 offset:112
	ds_read_b128 v[4:7], v44 offset:368
	ds_read_b128 v[28:31], v44 offset:880
	s_waitcnt lgkmcnt(1)
	;;#ASMSTART
	v_dot2_f32_f16 v60, v0, v4, v60
	;;#ASMEND
	s_nop 0
	;;#ASMSTART
	v_dot2_f32_f16 v60, v1, v5, v60
	;;#ASMEND
	s_nop 0
	;;#ASMSTART
	v_dot2_f32_f16 v60, v2, v6, v60
	;;#ASMEND
	s_nop 0
	;;#ASMSTART
	v_dot2_f32_f16 v60, v3, v7, v60
	;;#ASMEND
	s_waitcnt lgkmcnt(0)
	;;#ASMSTART
	v_dot2_f32_f16 v61, v0, v28, v61
	;;#ASMEND
	s_nop 0
	;;#ASMSTART
	v_dot2_f32_f16 v61, v1, v29, v61
	;;#ASMEND
	s_nop 0
	;;#ASMSTART
	v_dot2_f32_f16 v61, v2, v30, v61
	;;#ASMEND
	s_nop 0
	;;#ASMSTART
	v_dot2_f32_f16 v61, v3, v31, v61
	;;#ASMEND
	ds_read_b128 v[0:3], v43 offset:128
	ds_read_b128 v[4:7], v44 offset:384
	ds_read_b128 v[28:31], v44 offset:896
	s_waitcnt lgkmcnt(1)
	;;#ASMSTART
	v_dot2_f32_f16 v60, v0, v4, v60
	;;#ASMEND
	s_nop 0
	;;#ASMSTART
	v_dot2_f32_f16 v60, v1, v5, v60
	;;#ASMEND
	s_nop 0
	;;#ASMSTART
	v_dot2_f32_f16 v60, v2, v6, v60
	;;#ASMEND
	s_nop 0
	;;#ASMSTART
	v_dot2_f32_f16 v60, v3, v7, v60
	;;#ASMEND
	s_waitcnt lgkmcnt(0)
	;;#ASMSTART
	v_dot2_f32_f16 v61, v0, v28, v61
	;;#ASMEND
	s_nop 0
	;;#ASMSTART
	v_dot2_f32_f16 v61, v1, v29, v61
	;;#ASMEND
	s_nop 0
	;;#ASMSTART
	v_dot2_f32_f16 v61, v2, v30, v61
	;;#ASMEND
	s_nop 0
	;;#ASMSTART
	v_dot2_f32_f16 v61, v3, v31, v61
	;;#ASMEND
	ds_read_b128 v[0:3], v43 offset:144
	ds_read_b128 v[4:7], v44 offset:400
	ds_read_b128 v[28:31], v44 offset:912
	s_waitcnt lgkmcnt(1)
	;;#ASMSTART
	v_dot2_f32_f16 v60, v0, v4, v60
	;;#ASMEND
	s_nop 0
	;;#ASMSTART
	v_dot2_f32_f16 v60, v1, v5, v60
	;;#ASMEND
	s_nop 0
	;;#ASMSTART
	v_dot2_f32_f16 v60, v2, v6, v60
	;;#ASMEND
	s_nop 0
	;;#ASMSTART
	v_dot2_f32_f16 v60, v3, v7, v60
	;;#ASMEND
	s_waitcnt lgkmcnt(0)
	;;#ASMSTART
	v_dot2_f32_f16 v61, v0, v28, v61
	;;#ASMEND
	s_nop 0
	;;#ASMSTART
	v_dot2_f32_f16 v61, v1, v29, v61
	;;#ASMEND
	s_nop 0
	;;#ASMSTART
	v_dot2_f32_f16 v61, v2, v30, v61
	;;#ASMEND
	s_nop 0
	;;#ASMSTART
	v_dot2_f32_f16 v61, v3, v31, v61
	;;#ASMEND
	ds_read_b128 v[0:3], v43 offset:160
	ds_read_b128 v[4:7], v44 offset:416
	ds_read_b128 v[28:31], v44 offset:928
	s_waitcnt lgkmcnt(1)
	;;#ASMSTART
	v_dot2_f32_f16 v60, v0, v4, v60
	;;#ASMEND
	s_nop 0
	;;#ASMSTART
	v_dot2_f32_f16 v60, v1, v5, v60
	;;#ASMEND
	s_nop 0
	;;#ASMSTART
	v_dot2_f32_f16 v60, v2, v6, v60
	;;#ASMEND
	s_nop 0
	;;#ASMSTART
	v_dot2_f32_f16 v60, v3, v7, v60
	;;#ASMEND
	s_waitcnt lgkmcnt(0)
	;;#ASMSTART
	v_dot2_f32_f16 v61, v0, v28, v61
	;;#ASMEND
	s_nop 0
	;;#ASMSTART
	v_dot2_f32_f16 v61, v1, v29, v61
	;;#ASMEND
	s_nop 0
	;;#ASMSTART
	v_dot2_f32_f16 v61, v2, v30, v61
	;;#ASMEND
	s_nop 0
	;;#ASMSTART
	v_dot2_f32_f16 v61, v3, v31, v61
	;;#ASMEND
	ds_read_b128 v[0:3], v43 offset:176
	ds_read_b128 v[4:7], v44 offset:432
	ds_read_b128 v[28:31], v44 offset:944
	s_waitcnt lgkmcnt(1)
	;;#ASMSTART
	v_dot2_f32_f16 v60, v0, v4, v60
	;;#ASMEND
	s_nop 0
	;;#ASMSTART
	v_dot2_f32_f16 v60, v1, v5, v60
	;;#ASMEND
	s_nop 0
	;;#ASMSTART
	v_dot2_f32_f16 v60, v2, v6, v60
	;;#ASMEND
	s_nop 0
	;;#ASMSTART
	v_dot2_f32_f16 v60, v3, v7, v60
	;;#ASMEND
	s_waitcnt lgkmcnt(0)
	;;#ASMSTART
	v_dot2_f32_f16 v61, v0, v28, v61
	;;#ASMEND
	s_nop 0
	;;#ASMSTART
	v_dot2_f32_f16 v61, v1, v29, v61
	;;#ASMEND
	s_nop 0
	;;#ASMSTART
	v_dot2_f32_f16 v61, v2, v30, v61
	;;#ASMEND
	s_nop 0
	;;#ASMSTART
	v_dot2_f32_f16 v61, v3, v31, v61
	;;#ASMEND
	ds_read_b128 v[0:3], v43 offset:192
	ds_read_b128 v[4:7], v44 offset:448
	ds_read_b128 v[28:31], v44 offset:960
	s_waitcnt lgkmcnt(1)
	;;#ASMSTART
	v_dot2_f32_f16 v60, v0, v4, v60
	;;#ASMEND
	s_nop 0
	;;#ASMSTART
	v_dot2_f32_f16 v60, v1, v5, v60
	;;#ASMEND
	s_nop 0
	;;#ASMSTART
	v_dot2_f32_f16 v60, v2, v6, v60
	;;#ASMEND
	s_nop 0
	;;#ASMSTART
	v_dot2_f32_f16 v60, v3, v7, v60
	;;#ASMEND
	s_waitcnt lgkmcnt(0)
	;;#ASMSTART
	v_dot2_f32_f16 v61, v0, v28, v61
	;;#ASMEND
	s_nop 0
	;;#ASMSTART
	v_dot2_f32_f16 v61, v1, v29, v61
	;;#ASMEND
	s_nop 0
	;;#ASMSTART
	v_dot2_f32_f16 v61, v2, v30, v61
	;;#ASMEND
	s_nop 0
	;;#ASMSTART
	v_dot2_f32_f16 v61, v3, v31, v61
	;;#ASMEND
	ds_read_b128 v[0:3], v43 offset:208
	ds_read_b128 v[4:7], v44 offset:464
	ds_read_b128 v[28:31], v44 offset:976
	s_waitcnt lgkmcnt(1)
	;;#ASMSTART
	v_dot2_f32_f16 v60, v0, v4, v60
	;;#ASMEND
	s_nop 0
	;;#ASMSTART
	v_dot2_f32_f16 v60, v1, v5, v60
	;;#ASMEND
	s_nop 0
	;;#ASMSTART
	v_dot2_f32_f16 v60, v2, v6, v60
	;;#ASMEND
	s_nop 0
	;;#ASMSTART
	v_dot2_f32_f16 v60, v3, v7, v60
	;;#ASMEND
	s_waitcnt lgkmcnt(0)
	;;#ASMSTART
	v_dot2_f32_f16 v61, v0, v28, v61
	;;#ASMEND
	s_nop 0
	;;#ASMSTART
	v_dot2_f32_f16 v61, v1, v29, v61
	;;#ASMEND
	s_nop 0
	;;#ASMSTART
	v_dot2_f32_f16 v61, v2, v30, v61
	;;#ASMEND
	s_nop 0
	;;#ASMSTART
	v_dot2_f32_f16 v61, v3, v31, v61
	;;#ASMEND
	ds_read_b128 v[0:3], v43 offset:224
	ds_read_b128 v[4:7], v44 offset:480
	ds_read_b128 v[28:31], v44 offset:992
	s_waitcnt lgkmcnt(1)
	;;#ASMSTART
	v_dot2_f32_f16 v60, v0, v4, v60
	;;#ASMEND
	s_nop 0
	;;#ASMSTART
	v_dot2_f32_f16 v60, v1, v5, v60
	;;#ASMEND
	s_nop 0
	;;#ASMSTART
	v_dot2_f32_f16 v60, v2, v6, v60
	;;#ASMEND
	s_nop 0
	;;#ASMSTART
	v_dot2_f32_f16 v60, v3, v7, v60
	;;#ASMEND
	s_waitcnt lgkmcnt(0)
	;;#ASMSTART
	v_dot2_f32_f16 v61, v0, v28, v61
	;;#ASMEND
	s_nop 0
	;;#ASMSTART
	v_dot2_f32_f16 v61, v1, v29, v61
	;;#ASMEND
	s_nop 0
	;; [unrolled: 4-line block ×3, first 2 shown]
	;;#ASMSTART
	v_dot2_f32_f16 v61, v3, v31, v61
	;;#ASMEND
	ds_read_b128 v[0:3], v43 offset:240
	ds_read_b128 v[4:7], v44 offset:496
	;; [unrolled: 1-line block ×3, first 2 shown]
	s_waitcnt lgkmcnt(1)
	;;#ASMSTART
	v_dot2_f32_f16 v60, v0, v4, v60
	;;#ASMEND
	s_nop 0
	;;#ASMSTART
	v_dot2_f32_f16 v60, v1, v5, v60
	;;#ASMEND
	v_lshl_add_u64 v[4:5], v[26:27], 1, s[26:27]
	;;#ASMSTART
	v_dot2_f32_f16 v60, v2, v6, v60
	;;#ASMEND
	s_nop 0
	;;#ASMSTART
	v_dot2_f32_f16 v60, v3, v7, v60
	;;#ASMEND
	s_waitcnt lgkmcnt(0)
	;;#ASMSTART
	v_dot2_f32_f16 v61, v0, v28, v61
	;;#ASMEND
	v_lshl_add_u64 v[6:7], s[4:5], 0, v[22:23]
	;;#ASMSTART
	v_dot2_f32_f16 v61, v1, v29, v61
	;;#ASMEND
	v_lshl_add_u64 v[0:1], s[4:5], 0, v[24:25]
	s_mul_hi_i32 s5, s6, s14
	s_mul_i32 s4, s6, s14
	s_lshl_b64 s[4:5], s[4:5], 2
	s_add_u32 s4, s28, s4
	s_addc_u32 s5, s29, s5
	;;#ASMSTART
	v_dot2_f32_f16 v61, v2, v30, v61
	;;#ASMEND
	v_lshl_add_u64 v[28:29], v[0:1], 0, v[20:21]
	v_lshl_add_u64 v[0:1], s[4:5], 0, v[22:23]
	;;#ASMSTART
	v_dot2_f32_f16 v61, v3, v31, v61
	;;#ASMEND
	v_lshl_add_u64 v[26:27], v[0:1], 0, v[20:21]
	global_load_ushort v0, v[4:5], off
	v_lshl_add_u64 v[2:3], v[6:7], 0, v[20:21]
	s_barrier
	v_lshl_add_u64 v[6:7], s[4:5], 0, v[24:25]
	v_lshl_add_u64 v[6:7], v[6:7], 0, v[20:21]
	s_waitcnt vmcnt(0)
	v_cvt_f32_f16_e32 v0, v0
	v_add_f32_e32 v1, v60, v0
	v_add_f32_e32 v0, v61, v0
	;; [unrolled: 1-line block ×4, first 2 shown]
	v_max_f32_e32 v4, v70, v4
	v_max_f32_e32 v5, v71, v5
	ds_bpermute_b32 v30, v64, v4
	ds_bpermute_b32 v31, v64, v5
	s_waitcnt lgkmcnt(1)
	v_max_f32_e32 v30, v30, v30
	s_waitcnt lgkmcnt(0)
	v_max_f32_e32 v31, v31, v31
	v_max_f32_e32 v4, v4, v30
	v_max_f32_e32 v5, v5, v31
	ds_bpermute_b32 v30, v65, v4
	ds_bpermute_b32 v31, v65, v5
	s_waitcnt lgkmcnt(1)
	v_max_f32_e32 v30, v30, v30
	s_waitcnt lgkmcnt(0)
	v_max_f32_e32 v31, v31, v31
	;; [unrolled: 8-line block ×5, first 2 shown]
	v_max_f32_e32 v4, v4, v30
	v_max_f32_e32 v5, v5, v31
	v_sub_f32_e32 v60, v63, v4
	v_sub_f32_e32 v63, v0, v5
	v_mul_f32_e32 v0, 0x3fb8aa3b, v60
	v_sub_f32_e32 v61, v1, v4
	v_sub_f32_e32 v62, v62, v5
	v_fma_f32 v64, v60, s31, -v0
	v_rndne_f32_e32 v65, v0
	v_mul_f32_e32 v1, 0x3fb8aa3b, v61
	v_mul_f32_e32 v30, 0x3fb8aa3b, v62
	v_fmac_f32_e32 v64, 0x32a5705f, v60
	v_sub_f32_e32 v0, v0, v65
	v_fma_f32 v66, v61, s31, -v1
	v_rndne_f32_e32 v67, v1
	v_fma_f32 v68, v62, s31, -v30
	v_add_f32_e32 v0, v0, v64
	v_rndne_f32_e32 v64, v30
	v_mul_f32_e32 v31, 0x3fb8aa3b, v63
	v_fmac_f32_e32 v66, 0x32a5705f, v61
	v_sub_f32_e32 v1, v1, v67
	v_fmac_f32_e32 v68, 0x32a5705f, v62
	v_sub_f32_e32 v30, v30, v64
	v_add_f32_e32 v66, v1, v66
	v_fma_f32 v1, v63, s31, -v31
	v_add_f32_e32 v30, v30, v68
	v_rndne_f32_e32 v68, v31
	v_fmac_f32_e32 v1, 0x32a5705f, v63
	v_sub_f32_e32 v31, v31, v68
	v_cvt_i32_f32_e32 v65, v65
	v_exp_f32_e32 v0, v0
	v_add_f32_e32 v70, v31, v1
	v_cvt_i32_f32_e32 v31, v67
	v_cvt_i32_f32_e32 v64, v64
	v_exp_f32_e32 v66, v66
	v_exp_f32_e32 v30, v30
	v_ldexp_f32 v65, v0, v65
	global_load_dwordx4 v[0:3], v[2:3], off
	v_ldexp_f32 v66, v66, v31
	v_ldexp_f32 v64, v30, v64
	global_load_dwordx4 v[28:31], v[28:29], off
	v_cvt_i32_f32_e32 v67, v68
	v_exp_f32_e32 v68, v70
	v_cmp_ngt_f32_e32 vcc, s33, v62
	v_cmp_ngt_f32_e64 s[4:5], s33, v63
	v_cmp_ngt_f32_e64 s[6:7], s33, v60
	v_ldexp_f32 v67, v68, v67
	v_cmp_ngt_f32_e64 s[8:9], s33, v61
	s_nop 1
	v_cndmask_b32_e64 v66, 0, v66, s[8:9]
	v_cmp_nlt_f32_e64 s[8:9], s34, v61
	v_cndmask_b32_e32 v61, 0, v64, vcc
	v_cmp_nlt_f32_e32 vcc, s34, v62
	v_cndmask_b32_e64 v62, 0, v65, s[6:7]
	v_cndmask_b32_e64 v64, 0, v67, s[4:5]
	v_cmp_nlt_f32_e64 s[4:5], s34, v63
	v_cmp_nlt_f32_e64 s[6:7], s34, v60
	v_cndmask_b32_e32 v61, v48, v61, vcc
	v_cndmask_b32_e64 v63, v48, v64, s[4:5]
	v_cndmask_b32_e64 v60, v48, v62, s[6:7]
	v_cndmask_b32_e64 v62, v48, v66, s[8:9]
	v_cvt_f16_f32_e32 v64, v60
	v_cvt_pk_f16_f32 v65, v62, v63
	v_cvt_f16_f32_e32 v66, v61
	v_pk_fma_f32 v[10:11], v[10:11], v[60:61], v[62:63]
	ds_write_b32 v69, v65
	s_waitcnt vmcnt(1)
	ds_write_b128 v46, v[0:3]
	s_waitcnt vmcnt(0)
	ds_write_b128 v47, v[28:31]
	s_waitcnt lgkmcnt(0)
	s_barrier
	ds_read_b128 v[0:3], v45
	ds_read_b128 v[28:31], v45 offset:16
	ds_read2_b64 v[60:63], v34 offset1:32
	v_mul_u32_u24_e32 v64, 0x10001, v64
	v_mul_u32_u24_e32 v66, 0x10001, v66
	v_pk_mul_f16 v59, v59, v64
	v_pk_mul_f16 v58, v58, v64
	;; [unrolled: 1-line block ×6, first 2 shown]
	s_waitcnt lgkmcnt(2)
	v_mul_u32_u24_sdwa v65, v0, s35 dst_sel:DWORD dst_unused:UNUSED_PAD src0_sel:WORD_0 src1_sel:DWORD
	v_mul_u32_u24_sdwa v0, v0, s35 dst_sel:DWORD dst_unused:UNUSED_PAD src0_sel:WORD_1 src1_sel:DWORD
	s_waitcnt lgkmcnt(0)
	v_pk_fma_f16 v67, v61, v65, v59
	v_pk_fma_f16 v68, v62, v65, v58
	;; [unrolled: 1-line block ×3, first 2 shown]
	v_pk_mul_f16 v65, v60, v65
	v_pk_fma_f16 v55, v61, v0, v55
	v_pk_fma_f16 v53, v62, v0, v53
	;; [unrolled: 1-line block ×3, first 2 shown]
	v_pk_mul_f16 v0, v60, v0
	ds_read2_b64 v[58:61], v34 offset0:64 offset1:96
	v_pk_fma_f16 v57, v57, v64, v65
	ds_read2_b64 v[62:65], v34 offset0:128 offset1:160
	v_pk_fma_f16 v0, v54, v66, v0
	v_mul_u32_u24_sdwa v54, v1, s35 dst_sel:DWORD dst_unused:UNUSED_PAD src0_sel:WORD_0 src1_sel:DWORD
	v_mul_u32_u24_sdwa v1, v1, s35 dst_sel:DWORD dst_unused:UNUSED_PAD src0_sel:WORD_1 src1_sel:DWORD
	s_waitcnt lgkmcnt(1)
	v_pk_fma_f16 v66, v59, v54, v67
	v_pk_fma_f16 v67, v60, v54, v68
	;; [unrolled: 1-line block ×7, first 2 shown]
	ds_read2_b64 v[52:55], v34 offset0:192 offset1:224
	v_pk_fma_f16 v0, v58, v1, v0
	v_mul_u32_u24_sdwa v1, v2, s35 dst_sel:DWORD dst_unused:UNUSED_PAD src0_sel:WORD_0 src1_sel:DWORD
	v_mul_u32_u24_sdwa v2, v2, s35 dst_sel:DWORD dst_unused:UNUSED_PAD src0_sel:WORD_1 src1_sel:DWORD
	s_waitcnt lgkmcnt(1)
	v_pk_fma_f16 v66, v63, v1, v66
	v_pk_fma_f16 v67, v64, v1, v67
	;; [unrolled: 1-line block ×6, first 2 shown]
	ds_read2_b64 v[56:59], v49 offset1:32
	v_pk_fma_f16 v61, v65, v2, v61
	v_pk_fma_f16 v62, v62, v2, v0
	v_mul_u32_u24_sdwa v65, v3, s35 dst_sel:DWORD dst_unused:UNUSED_PAD src0_sel:WORD_0 src1_sel:DWORD
	v_mul_u32_u24_sdwa v69, v3, s35 dst_sel:DWORD dst_unused:UNUSED_PAD src0_sel:WORD_1 src1_sel:DWORD
	ds_read2_b64 v[0:3], v49 offset0:64 offset1:96
	s_waitcnt lgkmcnt(2)
	v_pk_fma_f16 v66, v53, v65, v66
	v_pk_fma_f16 v63, v53, v69, v63
	v_pk_fma_f16 v67, v54, v65, v67
	v_pk_fma_f16 v60, v54, v69, v60
	v_pk_fma_f16 v68, v55, v65, v68
	v_pk_fma_f16 v61, v55, v69, v61
	v_pk_fma_f16 v64, v52, v65, v64
	v_pk_fma_f16 v62, v52, v69, v62
	ds_read2_b64 v[52:55], v49 offset0:128 offset1:160
	v_mul_u32_u24_sdwa v65, v28, s35 dst_sel:DWORD dst_unused:UNUSED_PAD src0_sel:WORD_0 src1_sel:DWORD
	v_mul_u32_u24_sdwa v28, v28, s35 dst_sel:DWORD dst_unused:UNUSED_PAD src0_sel:WORD_1 src1_sel:DWORD
	s_waitcnt lgkmcnt(2)
	v_pk_fma_f16 v66, v57, v65, v66
	v_pk_fma_f16 v63, v57, v28, v63
	;; [unrolled: 1-line block ×8, first 2 shown]
	v_mul_u32_u24_sdwa v62, v29, s35 dst_sel:DWORD dst_unused:UNUSED_PAD src0_sel:WORD_0 src1_sel:DWORD
	v_mul_u32_u24_sdwa v29, v29, s35 dst_sel:DWORD dst_unused:UNUSED_PAD src0_sel:WORD_1 src1_sel:DWORD
	ds_read2_b64 v[56:59], v49 offset0:192 offset1:224
	s_waitcnt lgkmcnt(2)
	v_pk_fma_f16 v65, v1, v62, v66
	v_pk_fma_f16 v1, v1, v29, v63
	v_pk_fma_f16 v66, v2, v62, v67
	v_pk_fma_f16 v2, v2, v29, v60
	v_pk_fma_f16 v67, v3, v62, v68
	v_pk_fma_f16 v3, v3, v29, v61
	v_pk_fma_f16 v64, v0, v62, v64
	v_pk_fma_f16 v0, v0, v29, v28
	ds_read_b128 v[60:63], v45 offset:32
	v_mul_u32_u24_sdwa v28, v30, s35 dst_sel:DWORD dst_unused:UNUSED_PAD src0_sel:WORD_0 src1_sel:DWORD
	v_mul_u32_u24_sdwa v29, v30, s35 dst_sel:DWORD dst_unused:UNUSED_PAD src0_sel:WORD_1 src1_sel:DWORD
	s_waitcnt lgkmcnt(2)
	v_pk_fma_f16 v65, v53, v28, v65
	v_pk_fma_f16 v53, v53, v29, v1
	;; [unrolled: 1-line block ×8, first 2 shown]
	v_mul_u32_u24_sdwa v68, v31, s35 dst_sel:DWORD dst_unused:UNUSED_PAD src0_sel:WORD_0 src1_sel:DWORD
	v_mul_u32_u24_sdwa v69, v31, s35 dst_sel:DWORD dst_unused:UNUSED_PAD src0_sel:WORD_1 src1_sel:DWORD
	ds_read2_b64 v[28:31], v50 offset1:32
	ds_read_b128 v[0:3], v45 offset:48
	s_waitcnt lgkmcnt(3)
	v_pk_fma_f16 v65, v57, v68, v65
	v_pk_fma_f16 v57, v57, v69, v53
	;; [unrolled: 1-line block ×8, first 2 shown]
	ds_read2_b64 v[52:55], v50 offset0:64 offset1:96
	s_waitcnt lgkmcnt(3)
	v_mul_u32_u24_sdwa v68, v60, s35 dst_sel:DWORD dst_unused:UNUSED_PAD src0_sel:WORD_0 src1_sel:DWORD
	v_mul_u32_u24_sdwa v60, v60, s35 dst_sel:DWORD dst_unused:UNUSED_PAD src0_sel:WORD_1 src1_sel:DWORD
	s_waitcnt lgkmcnt(2)
	v_pk_fma_f16 v65, v29, v68, v65
	v_pk_fma_f16 v66, v30, v68, v66
	;; [unrolled: 1-line block ×8, first 2 shown]
	ds_read2_b64 v[28:31], v50 offset0:128 offset1:160
	v_mul_u32_u24_sdwa v60, v61, s35 dst_sel:DWORD dst_unused:UNUSED_PAD src0_sel:WORD_0 src1_sel:DWORD
	v_mul_u32_u24_sdwa v61, v61, s35 dst_sel:DWORD dst_unused:UNUSED_PAD src0_sel:WORD_1 src1_sel:DWORD
	s_waitcnt lgkmcnt(1)
	v_pk_fma_f16 v65, v53, v60, v65
	v_pk_fma_f16 v66, v54, v60, v66
	;; [unrolled: 1-line block ×8, first 2 shown]
	ds_read2_b64 v[52:55], v50 offset0:192 offset1:224
	v_mul_u32_u24_sdwa v61, v62, s35 dst_sel:DWORD dst_unused:UNUSED_PAD src0_sel:WORD_0 src1_sel:DWORD
	v_mul_u32_u24_sdwa v62, v62, s35 dst_sel:DWORD dst_unused:UNUSED_PAD src0_sel:WORD_1 src1_sel:DWORD
	s_waitcnt lgkmcnt(1)
	v_pk_fma_f16 v64, v29, v61, v65
	v_pk_fma_f16 v65, v30, v61, v66
	;; [unrolled: 1-line block ×8, first 2 shown]
	ds_read2_b64 v[28:31], v51 offset1:32
	ds_read2_b64 v[56:59], v51 offset0:64 offset1:96
	v_mul_u32_u24_sdwa v62, v63, s35 dst_sel:DWORD dst_unused:UNUSED_PAD src0_sel:WORD_0 src1_sel:DWORD
	v_mul_u32_u24_sdwa v63, v63, s35 dst_sel:DWORD dst_unused:UNUSED_PAD src0_sel:WORD_1 src1_sel:DWORD
	s_waitcnt lgkmcnt(2)
	v_pk_fma_f16 v64, v53, v62, v64
	v_pk_fma_f16 v67, v53, v63, v67
	;; [unrolled: 1-line block ×8, first 2 shown]
	v_mul_u32_u24_sdwa v62, v0, s35 dst_sel:DWORD dst_unused:UNUSED_PAD src0_sel:WORD_0 src1_sel:DWORD
	v_mul_u32_u24_sdwa v0, v0, s35 dst_sel:DWORD dst_unused:UNUSED_PAD src0_sel:WORD_1 src1_sel:DWORD
	s_waitcnt lgkmcnt(1)
	v_pk_fma_f16 v63, v29, v62, v64
	v_pk_fma_f16 v64, v29, v0, v67
	;; [unrolled: 1-line block ×8, first 2 shown]
	v_mul_u32_u24_sdwa v61, v1, s35 dst_sel:DWORD dst_unused:UNUSED_PAD src0_sel:WORD_0 src1_sel:DWORD
	v_mul_u32_u24_sdwa v1, v1, s35 dst_sel:DWORD dst_unused:UNUSED_PAD src0_sel:WORD_1 src1_sel:DWORD
	ds_read2_b64 v[52:55], v51 offset0:128 offset1:160
	ds_read2_b64 v[28:31], v51 offset0:192 offset1:224
	s_waitcnt lgkmcnt(0)
	s_barrier
	v_pk_fma_f16 v62, v57, v61, v63
	v_pk_fma_f16 v63, v57, v1, v64
	;; [unrolled: 1-line block ×8, first 2 shown]
	global_load_dwordx4 v[56:59], v[26:27], off
	v_mul_u32_u24_sdwa v26, v2, s35 dst_sel:DWORD dst_unused:UNUSED_PAD src0_sel:WORD_0 src1_sel:DWORD
	v_mul_u32_u24_sdwa v27, v2, s35 dst_sel:DWORD dst_unused:UNUSED_PAD src0_sel:WORD_1 src1_sel:DWORD
	v_mul_u32_u24_sdwa v68, v3, s35 dst_sel:DWORD dst_unused:UNUSED_PAD src0_sel:WORD_0 src1_sel:DWORD
	v_mul_u32_u24_sdwa v69, v3, s35 dst_sel:DWORD dst_unused:UNUSED_PAD src0_sel:WORD_1 src1_sel:DWORD
	global_load_dwordx4 v[0:3], v[6:7], off
	v_pk_fma_f16 v6, v53, v26, v62
	v_pk_fma_f16 v7, v53, v27, v63
	;; [unrolled: 1-line block ×16, first 2 shown]
	s_waitcnt vmcnt(1)
	ds_write_b128 v46, v[56:59]
	s_waitcnt vmcnt(0)
	ds_write_b128 v47, v[0:3]
	s_waitcnt lgkmcnt(0)
	s_barrier
	ds_read_b128 v[26:29], v45 offset:64
	ds_read2_b64 v[52:55], v34 offset1:32
	ds_read_b128 v[0:3], v45 offset:80
	ds_read2_b64 v[56:59], v34 offset0:64 offset1:96
	ds_read2_b64 v[60:63], v34 offset0:128 offset1:160
	s_waitcnt lgkmcnt(4)
	v_mul_u32_u24_sdwa v68, v26, s35 dst_sel:DWORD dst_unused:UNUSED_PAD src0_sel:WORD_0 src1_sel:DWORD
	v_mul_u32_u24_sdwa v26, v26, s35 dst_sel:DWORD dst_unused:UNUSED_PAD src0_sel:WORD_1 src1_sel:DWORD
	s_waitcnt lgkmcnt(3)
	v_pk_fma_f16 v66, v52, v68, v66
	v_pk_fma_f16 v67, v52, v26, v67
	;; [unrolled: 1-line block ×8, first 2 shown]
	ds_read2_b64 v[52:55], v34 offset0:192 offset1:224
	v_mul_u32_u24_sdwa v31, v27, s35 dst_sel:DWORD dst_unused:UNUSED_PAD src0_sel:WORD_0 src1_sel:DWORD
	v_mul_u32_u24_sdwa v27, v27, s35 dst_sel:DWORD dst_unused:UNUSED_PAD src0_sel:WORD_1 src1_sel:DWORD
	s_waitcnt lgkmcnt(2)
	v_pk_fma_f16 v66, v56, v31, v66
	v_pk_fma_f16 v67, v56, v27, v67
	;; [unrolled: 1-line block ×8, first 2 shown]
	ds_read2_b64 v[56:59], v49 offset1:32
	v_mul_u32_u24_sdwa v27, v28, s35 dst_sel:DWORD dst_unused:UNUSED_PAD src0_sel:WORD_0 src1_sel:DWORD
	v_mul_u32_u24_sdwa v28, v28, s35 dst_sel:DWORD dst_unused:UNUSED_PAD src0_sel:WORD_1 src1_sel:DWORD
	s_waitcnt lgkmcnt(2)
	v_pk_fma_f16 v65, v60, v27, v66
	v_pk_fma_f16 v66, v60, v28, v67
	;; [unrolled: 1-line block ×8, first 2 shown]
	ds_read2_b64 v[60:63], v49 offset0:64 offset1:96
	v_mul_u32_u24_sdwa v68, v29, s35 dst_sel:DWORD dst_unused:UNUSED_PAD src0_sel:WORD_0 src1_sel:DWORD
	v_mul_u32_u24_sdwa v69, v29, s35 dst_sel:DWORD dst_unused:UNUSED_PAD src0_sel:WORD_1 src1_sel:DWORD
	ds_read2_b64 v[26:29], v49 offset0:128 offset1:160
	s_waitcnt lgkmcnt(3)
	v_pk_fma_f16 v65, v52, v68, v65
	v_pk_fma_f16 v66, v52, v69, v66
	;; [unrolled: 1-line block ×8, first 2 shown]
	v_mul_u32_u24_sdwa v68, v0, s35 dst_sel:DWORD dst_unused:UNUSED_PAD src0_sel:WORD_0 src1_sel:DWORD
	v_mul_u32_u24_sdwa v0, v0, s35 dst_sel:DWORD dst_unused:UNUSED_PAD src0_sel:WORD_1 src1_sel:DWORD
	ds_read2_b64 v[52:55], v49 offset0:192 offset1:224
	s_waitcnt lgkmcnt(3)
	v_pk_fma_f16 v65, v56, v68, v65
	v_pk_fma_f16 v66, v56, v0, v66
	;; [unrolled: 1-line block ×8, first 2 shown]
	ds_read_b128 v[56:59], v45 offset:96
	v_mul_u32_u24_sdwa v67, v1, s35 dst_sel:DWORD dst_unused:UNUSED_PAD src0_sel:WORD_0 src1_sel:DWORD
	v_mul_u32_u24_sdwa v1, v1, s35 dst_sel:DWORD dst_unused:UNUSED_PAD src0_sel:WORD_1 src1_sel:DWORD
	s_waitcnt lgkmcnt(3)
	v_pk_fma_f16 v65, v60, v67, v65
	v_pk_fma_f16 v66, v60, v1, v66
	;; [unrolled: 1-line block ×8, first 2 shown]
	ds_read2_b64 v[60:63], v50 offset1:32
	v_mul_u32_u24_sdwa v1, v2, s35 dst_sel:DWORD dst_unused:UNUSED_PAD src0_sel:WORD_0 src1_sel:DWORD
	v_mul_u32_u24_sdwa v2, v2, s35 dst_sel:DWORD dst_unused:UNUSED_PAD src0_sel:WORD_1 src1_sel:DWORD
	s_waitcnt lgkmcnt(3)
	v_pk_fma_f16 v65, v26, v1, v65
	v_pk_fma_f16 v66, v26, v2, v66
	;; [unrolled: 1-line block ×8, first 2 shown]
	v_mul_u32_u24_sdwa v68, v3, s35 dst_sel:DWORD dst_unused:UNUSED_PAD src0_sel:WORD_0 src1_sel:DWORD
	v_mul_u32_u24_sdwa v69, v3, s35 dst_sel:DWORD dst_unused:UNUSED_PAD src0_sel:WORD_1 src1_sel:DWORD
	ds_read2_b64 v[0:3], v50 offset0:64 offset1:96
	ds_read_b128 v[26:29], v45 offset:112
	s_waitcnt lgkmcnt(4)
	v_pk_fma_f16 v65, v52, v68, v65
	v_pk_fma_f16 v66, v52, v69, v66
	;; [unrolled: 1-line block ×8, first 2 shown]
	ds_read2_b64 v[52:55], v50 offset0:128 offset1:160
	s_waitcnt lgkmcnt(4)
	v_mul_u32_u24_sdwa v68, v56, s35 dst_sel:DWORD dst_unused:UNUSED_PAD src0_sel:WORD_0 src1_sel:DWORD
	v_mul_u32_u24_sdwa v56, v56, s35 dst_sel:DWORD dst_unused:UNUSED_PAD src0_sel:WORD_1 src1_sel:DWORD
	s_waitcnt lgkmcnt(3)
	v_pk_fma_f16 v65, v60, v68, v65
	v_pk_fma_f16 v66, v60, v56, v66
	;; [unrolled: 1-line block ×8, first 2 shown]
	ds_read2_b64 v[60:63], v50 offset0:192 offset1:224
	v_mul_u32_u24_sdwa v67, v57, s35 dst_sel:DWORD dst_unused:UNUSED_PAD src0_sel:WORD_0 src1_sel:DWORD
	v_mul_u32_u24_sdwa v57, v57, s35 dst_sel:DWORD dst_unused:UNUSED_PAD src0_sel:WORD_1 src1_sel:DWORD
	s_waitcnt lgkmcnt(3)
	v_pk_fma_f16 v65, v0, v67, v65
	v_pk_fma_f16 v66, v0, v57, v66
	;; [unrolled: 1-line block ×8, first 2 shown]
	v_mul_u32_u24_sdwa v57, v58, s35 dst_sel:DWORD dst_unused:UNUSED_PAD src0_sel:WORD_0 src1_sel:DWORD
	v_mul_u32_u24_sdwa v58, v58, s35 dst_sel:DWORD dst_unused:UNUSED_PAD src0_sel:WORD_1 src1_sel:DWORD
	ds_read2_b64 v[0:3], v51 offset1:32
	s_waitcnt lgkmcnt(2)
	v_pk_fma_f16 v65, v52, v57, v65
	v_pk_fma_f16 v66, v52, v58, v66
	;; [unrolled: 1-line block ×8, first 2 shown]
	v_mul_u32_u24_sdwa v68, v59, s35 dst_sel:DWORD dst_unused:UNUSED_PAD src0_sel:WORD_0 src1_sel:DWORD
	v_mul_u32_u24_sdwa v69, v59, s35 dst_sel:DWORD dst_unused:UNUSED_PAD src0_sel:WORD_1 src1_sel:DWORD
	ds_read2_b64 v[52:55], v51 offset0:64 offset1:96
	ds_read2_b64 v[56:59], v51 offset0:128 offset1:160
	s_waitcnt lgkmcnt(3)
	v_pk_fma_f16 v65, v60, v68, v65
	v_pk_fma_f16 v66, v60, v69, v66
	;; [unrolled: 1-line block ×8, first 2 shown]
	ds_read2_b64 v[60:63], v51 offset0:192 offset1:224
	s_waitcnt lgkmcnt(0)
	s_barrier
	s_load_dword s4, s[10:11], 0x4
	v_mul_u32_u24_sdwa v68, v26, s35 dst_sel:DWORD dst_unused:UNUSED_PAD src0_sel:WORD_0 src1_sel:DWORD
	v_mul_u32_u24_sdwa v26, v26, s35 dst_sel:DWORD dst_unused:UNUSED_PAD src0_sel:WORD_1 src1_sel:DWORD
	v_pk_fma_f16 v65, v0, v68, v65
	v_pk_fma_f16 v6, v1, v68, v6
	;; [unrolled: 1-line block ×4, first 2 shown]
	v_mul_u32_u24_sdwa v68, v27, s35 dst_sel:DWORD dst_unused:UNUSED_PAD src0_sel:WORD_0 src1_sel:DWORD
	v_pk_fma_f16 v0, v0, v26, v66
	v_pk_fma_f16 v1, v1, v26, v7
	;; [unrolled: 1-line block ×4, first 2 shown]
	v_mul_u32_u24_sdwa v7, v27, s35 dst_sel:DWORD dst_unused:UNUSED_PAD src0_sel:WORD_1 src1_sel:DWORD
	v_mul_u32_u24_sdwa v26, v28, s35 dst_sel:DWORD dst_unused:UNUSED_PAD src0_sel:WORD_0 src1_sel:DWORD
	v_mul_u32_u24_sdwa v27, v28, s35 dst_sel:DWORD dst_unused:UNUSED_PAD src0_sel:WORD_1 src1_sel:DWORD
	s_waitcnt lgkmcnt(0)
	s_lshl_b32 s4, s4, 5
	v_pk_fma_f16 v30, v52, v68, v65
	v_pk_fma_f16 v0, v52, v7, v0
	;; [unrolled: 1-line block ×8, first 2 shown]
	v_mul_u32_u24_sdwa v28, v29, s35 dst_sel:DWORD dst_unused:UNUSED_PAD src0_sel:WORD_0 src1_sel:DWORD
	v_mul_u32_u24_sdwa v29, v29, s35 dst_sel:DWORD dst_unused:UNUSED_PAD src0_sel:WORD_1 src1_sel:DWORD
	s_add_i32 s2, s4, s2
	v_pk_fma_f16 v7, v56, v26, v30
	v_pk_fma_f16 v0, v56, v27, v0
	v_pk_fma_f16 v6, v57, v26, v6
	v_pk_fma_f16 v1, v57, v27, v1
	v_pk_fma_f16 v30, v58, v26, v52
	v_pk_fma_f16 v2, v58, v27, v2
	v_pk_fma_f16 v26, v59, v26, v31
	v_pk_fma_f16 v3, v59, v27, v3
	s_cmp_ge_i32 s2, s24
	v_pk_fma_f16 v57, v60, v28, v7
	v_pk_fma_f16 v54, v60, v29, v0
	;; [unrolled: 1-line block ×8, first 2 shown]
	s_cbranch_scc0 .LBB5_9
.LBB5_10:
	v_cmp_lt_i32_e32 vcc, v40, v35
	s_cmp_lg_u64 s[12:13], 0
	s_cselect_b64 s[4:5], -1, 0
	v_cndmask_b32_e32 v0, v19, v40, vcc
	v_lshlrev_b32_e32 v1, 2, v0
	ds_bpermute_b32 v0, v1, v10
	ds_bpermute_b32 v1, v1, v11
	v_cmp_lt_i32_e32 vcc, v39, v35
	s_cmp_eq_u32 s3, 0
	s_cselect_b64 s[6:7], -1, 0
	v_cndmask_b32_e32 v2, v19, v39, vcc
	v_lshlrev_b32_e32 v3, 2, v2
	s_waitcnt lgkmcnt(0)
	v_pk_add_f32 v[0:1], v[10:11], v[0:1]
	ds_bpermute_b32 v2, v3, v0
	ds_bpermute_b32 v3, v3, v1
	v_cmp_lt_i32_e32 vcc, v38, v35
	s_and_b64 s[4:5], s[6:7], s[4:5]
	s_waitcnt lgkmcnt(0)
	v_pk_add_f32 v[0:1], v[0:1], v[2:3]
	v_cndmask_b32_e32 v6, v19, v38, vcc
	v_lshlrev_b32_e32 v6, 2, v6
	ds_bpermute_b32 v2, v6, v0
	ds_bpermute_b32 v3, v6, v1
	v_cmp_lt_i32_e32 vcc, v37, v35
	s_waitcnt lgkmcnt(0)
	v_pk_add_f32 v[0:1], v[0:1], v[2:3]
	v_cndmask_b32_e32 v6, v19, v37, vcc
	v_lshlrev_b32_e32 v6, 2, v6
	ds_bpermute_b32 v2, v6, v0
	ds_bpermute_b32 v3, v6, v1
	v_cmp_lt_i32_e32 vcc, v36, v35
	s_waitcnt lgkmcnt(0)
	v_pk_add_f32 v[0:1], v[0:1], v[2:3]
	v_cndmask_b32_e32 v6, v19, v36, vcc
	v_lshlrev_b32_e32 v6, 2, v6
	ds_bpermute_b32 v2, v6, v0
	ds_bpermute_b32 v3, v6, v1
	s_and_b64 vcc, exec, s[4:5]
	s_waitcnt lgkmcnt(0)
	v_pk_add_f32 v[0:1], v[0:1], v[2:3]
	s_cbranch_vccz .LBB5_12
; %bb.11:
	v_add_u32_e32 v2, s25, v32
	v_ashrrev_i32_e32 v3, 31, v2
	v_lshl_add_u64 v[2:3], v[2:3], 2, s[12:13]
	global_load_dwordx2 v[2:3], v[2:3], off
	v_max_f32_e32 v6, v4, v4
	v_max_f32_e32 v7, v5, v5
	s_mov_b32 s2, 0x3fb8aa3b
	s_mov_b32 s4, 0xc2ce8ed0
	;; [unrolled: 1-line block ×3, first 2 shown]
	v_mov_b32_e32 v10, 0x7f800000
	s_waitcnt vmcnt(0)
	v_max_f32_e32 v11, v2, v2
	v_max_f32_e32 v6, v6, v11
	;; [unrolled: 1-line block ×3, first 2 shown]
	v_sub_f32_e32 v4, v4, v6
	v_max_f32_e32 v7, v7, v12
	v_sub_f32_e32 v11, v2, v6
	v_mul_f32_e32 v2, 0x3fb8aa3b, v4
	v_sub_f32_e32 v5, v5, v7
	v_sub_f32_e32 v12, v3, v7
	v_mul_f32_e32 v3, 0x3fb8aa3b, v11
	v_fma_f32 v15, v4, s2, -v2
	v_rndne_f32_e32 v16, v2
	v_mul_f32_e32 v13, 0x3fb8aa3b, v5
	v_fma_f32 v17, v11, s2, -v3
	v_rndne_f32_e32 v18, v3
	v_fmac_f32_e32 v15, 0x32a5705f, v4
	v_sub_f32_e32 v2, v2, v16
	v_mul_f32_e32 v14, 0x3fb8aa3b, v12
	v_fma_f32 v19, v5, s2, -v13
	v_rndne_f32_e32 v20, v13
	v_fmac_f32_e32 v17, 0x32a5705f, v11
	v_sub_f32_e32 v3, v3, v18
	v_add_f32_e32 v2, v2, v15
	v_fma_f32 v21, v12, s2, -v14
	v_rndne_f32_e32 v22, v14
	v_cvt_i32_f32_e32 v16, v16
	v_fmac_f32_e32 v19, 0x32a5705f, v5
	v_sub_f32_e32 v13, v13, v20
	v_add_f32_e32 v3, v3, v17
	v_exp_f32_e32 v2, v2
	v_cvt_i32_f32_e32 v18, v18
	v_fmac_f32_e32 v21, 0x32a5705f, v12
	v_sub_f32_e32 v14, v14, v22
	v_add_f32_e32 v13, v13, v19
	v_exp_f32_e32 v3, v3
	v_cvt_i32_f32_e32 v20, v20
	v_add_f32_e32 v14, v14, v21
	v_exp_f32_e32 v13, v13
	v_cvt_i32_f32_e32 v22, v22
	v_exp_f32_e32 v14, v14
	v_ldexp_f32 v2, v2, v16
	v_cmp_ngt_f32_e32 vcc, s4, v4
	v_ldexp_f32 v3, v3, v18
	v_ldexp_f32 v13, v13, v20
	v_cndmask_b32_e32 v2, 0, v2, vcc
	v_cmp_ngt_f32_e32 vcc, s4, v11
	v_ldexp_f32 v14, v14, v22
	s_nop 0
	v_cndmask_b32_e32 v3, 0, v3, vcc
	v_cmp_ngt_f32_e32 vcc, s4, v5
	s_nop 1
	v_cndmask_b32_e32 v13, 0, v13, vcc
	v_cmp_ngt_f32_e32 vcc, s4, v12
	s_nop 1
	v_cndmask_b32_e32 v14, 0, v14, vcc
	v_cmp_nlt_f32_e32 vcc, s5, v4
	s_nop 1
	v_cndmask_b32_e32 v2, v10, v2, vcc
	v_cmp_nlt_f32_e32 vcc, s5, v11
	v_cvt_f16_f32_e32 v11, v2
	s_nop 0
	v_cndmask_b32_e32 v4, v10, v3, vcc
	v_cmp_nlt_f32_e32 vcc, s5, v5
	s_nop 1
	v_cndmask_b32_e32 v3, v10, v13, vcc
	v_cvt_f16_f32_e32 v13, v3
	v_cmp_nlt_f32_e32 vcc, s5, v12
	s_nop 1
	v_cndmask_b32_e32 v5, v10, v14, vcc
	v_pk_fma_f32 v[0:1], v[0:1], v[2:3], v[4:5]
	v_mul_u32_u24_e32 v2, 0x10001, v11
	v_mul_u32_u24_e32 v3, 0x10001, v13
	v_pk_mul_f16 v57, v57, v2
	v_pk_mul_f16 v59, v59, v2
	;; [unrolled: 1-line block ×8, first 2 shown]
	v_mov_b64_e32 v[4:5], v[6:7]
.LBB5_12:
	v_cmp_gt_i32_e32 vcc, s22, v9
	s_and_saveexec_b64 s[4:5], vcc
	s_cbranch_execz .LBB5_21
; %bb.13:
	s_load_dword s6, s[0:1], 0xd4
	v_mov_b32_e32 v6, 1.0
	s_waitcnt lgkmcnt(0)
	s_cmp_lg_u32 s6, 1
	s_cselect_b64 s[0:1], -1, 0
	s_cmp_eq_u32 s6, 1
	s_cselect_b64 s[4:5], -1, 0
	s_and_b64 vcc, exec, s[0:1]
	s_cbranch_vccnz .LBB5_15
; %bb.14:
	v_div_scale_f32 v2, s[8:9], v0, v0, 1.0
	v_rcp_f32_e32 v3, v2
	v_div_scale_f32 v6, vcc, 1.0, v0, 1.0
	v_fma_f32 v7, -v2, v3, 1.0
	v_fmac_f32_e32 v3, v7, v3
	v_mul_f32_e32 v7, v6, v3
	v_fma_f32 v10, -v2, v7, v6
	v_fmac_f32_e32 v7, v10, v3
	v_fma_f32 v2, -v2, v7, v6
	v_div_fmas_f32 v2, v2, v3, v7
	v_div_fixup_f32 v6, v2, v0, 1.0
.LBB5_15:
	s_mul_i32 s30, s30, s22
	v_add_u32_e32 v2, s30, v9
	v_mul_lo_u32 v2, v2, s23
	v_add3_u32 v2, s25, v32, v2
	v_cmp_eq_u32_e32 vcc, 0, v8
	v_cvt_f32_f16_sdwa v9, v57 dst_sel:DWORD dst_unused:UNUSED_PAD src0_sel:WORD_1
	v_cvt_f32_f16_e32 v8, v57
	v_cvt_f32_f16_sdwa v11, v59 dst_sel:DWORD dst_unused:UNUSED_PAD src0_sel:WORD_1
	v_cvt_f32_f16_e32 v10, v59
	v_mul_lo_u32 v2, s6, v2
	v_add_u32_e32 v2, s3, v2
	v_lshl_add_u32 v12, v2, 8, v33
	v_mov_b32_e32 v13, 0
	v_lshl_add_u64 v[14:15], v[12:13], 2, s[16:17]
	v_pk_mul_f32 v[8:9], v[6:7], v[8:9] op_sel_hi:[0,1]
	v_pk_mul_f32 v[10:11], v[6:7], v[10:11] op_sel_hi:[0,1]
	global_store_dwordx4 v[14:15], v[8:11], off
	v_add_u32_e32 v12, 0x80, v12
	s_and_b64 s[0:1], vcc, s[0:1]
	v_cvt_f32_f16_sdwa v9, v58 dst_sel:DWORD dst_unused:UNUSED_PAD src0_sel:WORD_1
	v_cvt_f32_f16_e32 v8, v58
	v_cvt_f32_f16_sdwa v11, v56 dst_sel:DWORD dst_unused:UNUSED_PAD src0_sel:WORD_1
	v_cvt_f32_f16_e32 v10, v56
	v_lshl_add_u64 v[12:13], v[12:13], 2, s[16:17]
	v_pk_mul_f32 v[8:9], v[6:7], v[8:9] op_sel_hi:[0,1]
	v_pk_mul_f32 v[10:11], v[6:7], v[10:11] op_sel_hi:[0,1]
	global_store_dwordx4 v[12:13], v[8:11], off
	s_and_saveexec_b64 s[2:3], s[0:1]
	s_cbranch_execz .LBB5_17
; %bb.16:
	v_ashrrev_i32_e32 v3, 31, v2
	v_lshl_add_u64 v[6:7], v[2:3], 3, s[18:19]
	v_mov_b32_e32 v8, v4
	v_mov_b32_e32 v9, v0
	global_store_dwordx2 v[6:7], v[8:9], off
.LBB5_17:
	s_or_b64 exec, exec, s[2:3]
	s_andn2_b64 vcc, exec, s[4:5]
	v_mov_b32_e32 v0, 1.0
	s_cbranch_vccnz .LBB5_19
; %bb.18:
	v_div_scale_f32 v0, s[2:3], v1, v1, 1.0
	v_rcp_f32_e32 v3, v0
	v_div_scale_f32 v4, vcc, 1.0, v1, 1.0
	v_fma_f32 v6, -v0, v3, 1.0
	v_fmac_f32_e32 v3, v6, v3
	v_mul_f32_e32 v6, v4, v3
	v_fma_f32 v7, -v0, v6, v4
	v_fmac_f32_e32 v6, v7, v3
	v_fma_f32 v0, -v0, v6, v4
	v_div_fmas_f32 v0, v0, v3, v6
	v_div_fixup_f32 v0, v0, v1, 1.0
.LBB5_19:
	v_cvt_f32_f16_sdwa v7, v54 dst_sel:DWORD dst_unused:UNUSED_PAD src0_sel:WORD_1
	v_cvt_f32_f16_e32 v6, v54
	v_cvt_f32_f16_sdwa v9, v55 dst_sel:DWORD dst_unused:UNUSED_PAD src0_sel:WORD_1
	v_cvt_f32_f16_e32 v8, v55
	v_add_u32_e32 v2, s6, v2
	v_lshl_add_u32 v10, v2, 8, v33
	v_mov_b32_e32 v11, 0
	v_lshl_add_u64 v[12:13], v[10:11], 2, s[16:17]
	v_pk_mul_f32 v[6:7], v[0:1], v[6:7] op_sel_hi:[0,1]
	v_pk_mul_f32 v[8:9], v[0:1], v[8:9] op_sel_hi:[0,1]
	global_store_dwordx4 v[12:13], v[6:9], off
	v_add_u32_e32 v10, 0x80, v10
	v_lshl_add_u64 v[10:11], v[10:11], 2, s[16:17]
	v_cvt_f32_f16_sdwa v7, v53 dst_sel:DWORD dst_unused:UNUSED_PAD src0_sel:WORD_1
	v_cvt_f32_f16_e32 v6, v53
	v_cvt_f32_f16_sdwa v9, v52 dst_sel:DWORD dst_unused:UNUSED_PAD src0_sel:WORD_1
	v_cvt_f32_f16_e32 v8, v52
	v_pk_mul_f32 v[6:7], v[0:1], v[6:7] op_sel_hi:[0,1]
	v_pk_mul_f32 v[8:9], v[0:1], v[8:9] op_sel_hi:[0,1]
	global_store_dwordx4 v[10:11], v[6:9], off
	s_and_b64 exec, exec, s[0:1]
	s_cbranch_execz .LBB5_21
; %bb.20:
	v_ashrrev_i32_e32 v3, 31, v2
	v_lshl_add_u64 v[2:3], v[2:3], 3, s[18:19]
	v_mov_b32_e32 v0, v5
	global_store_dwordx2 v[2:3], v[0:1], off
.LBB5_21:
	s_endpgm
	.section	.rodata,"a",@progbits
	.p2align	6, 0x0
	.amdhsa_kernel _ZL15flash_attn_tileILi256ELi256ELi2ELi8ELb0EEvPKcS1_S1_S1_S1_PKiPfP15HIP_vector_typeIfLj2EEffffjfiS5_IjLj3EEiiiiiiiiiiiliiliiiiil
		.amdhsa_group_segment_fixed_size 17920
		.amdhsa_private_segment_fixed_size 0
		.amdhsa_kernarg_size 464
		.amdhsa_user_sgpr_count 2
		.amdhsa_user_sgpr_dispatch_ptr 0
		.amdhsa_user_sgpr_queue_ptr 0
		.amdhsa_user_sgpr_kernarg_segment_ptr 1
		.amdhsa_user_sgpr_dispatch_id 0
		.amdhsa_user_sgpr_kernarg_preload_length 0
		.amdhsa_user_sgpr_kernarg_preload_offset 0
		.amdhsa_user_sgpr_private_segment_size 0
		.amdhsa_uses_dynamic_stack 0
		.amdhsa_enable_private_segment 0
		.amdhsa_system_sgpr_workgroup_id_x 1
		.amdhsa_system_sgpr_workgroup_id_y 1
		.amdhsa_system_sgpr_workgroup_id_z 1
		.amdhsa_system_sgpr_workgroup_info 0
		.amdhsa_system_vgpr_workitem_id 1
		.amdhsa_next_free_vgpr 72
		.amdhsa_next_free_sgpr 40
		.amdhsa_accum_offset 72
		.amdhsa_reserve_vcc 1
		.amdhsa_float_round_mode_32 0
		.amdhsa_float_round_mode_16_64 0
		.amdhsa_float_denorm_mode_32 3
		.amdhsa_float_denorm_mode_16_64 3
		.amdhsa_dx10_clamp 1
		.amdhsa_ieee_mode 1
		.amdhsa_fp16_overflow 0
		.amdhsa_tg_split 0
		.amdhsa_exception_fp_ieee_invalid_op 0
		.amdhsa_exception_fp_denorm_src 0
		.amdhsa_exception_fp_ieee_div_zero 0
		.amdhsa_exception_fp_ieee_overflow 0
		.amdhsa_exception_fp_ieee_underflow 0
		.amdhsa_exception_fp_ieee_inexact 0
		.amdhsa_exception_int_div_zero 0
	.end_amdhsa_kernel
	.section	.text._ZL15flash_attn_tileILi256ELi256ELi2ELi8ELb0EEvPKcS1_S1_S1_S1_PKiPfP15HIP_vector_typeIfLj2EEffffjfiS5_IjLj3EEiiiiiiiiiiiliiliiiiil,"axG",@progbits,_ZL15flash_attn_tileILi256ELi256ELi2ELi8ELb0EEvPKcS1_S1_S1_S1_PKiPfP15HIP_vector_typeIfLj2EEffffjfiS5_IjLj3EEiiiiiiiiiiiliiliiiiil,comdat
.Lfunc_end5:
	.size	_ZL15flash_attn_tileILi256ELi256ELi2ELi8ELb0EEvPKcS1_S1_S1_S1_PKiPfP15HIP_vector_typeIfLj2EEffffjfiS5_IjLj3EEiiiiiiiiiiiliiliiiiil, .Lfunc_end5-_ZL15flash_attn_tileILi256ELi256ELi2ELi8ELb0EEvPKcS1_S1_S1_S1_PKiPfP15HIP_vector_typeIfLj2EEffffjfiS5_IjLj3EEiiiiiiiiiiiliiliiiiil
                                        ; -- End function
	.set _ZL15flash_attn_tileILi256ELi256ELi2ELi8ELb0EEvPKcS1_S1_S1_S1_PKiPfP15HIP_vector_typeIfLj2EEffffjfiS5_IjLj3EEiiiiiiiiiiiliiliiiiil.num_vgpr, 72
	.set _ZL15flash_attn_tileILi256ELi256ELi2ELi8ELb0EEvPKcS1_S1_S1_S1_PKiPfP15HIP_vector_typeIfLj2EEffffjfiS5_IjLj3EEiiiiiiiiiiiliiliiiiil.num_agpr, 0
	.set _ZL15flash_attn_tileILi256ELi256ELi2ELi8ELb0EEvPKcS1_S1_S1_S1_PKiPfP15HIP_vector_typeIfLj2EEffffjfiS5_IjLj3EEiiiiiiiiiiiliiliiiiil.numbered_sgpr, 40
	.set _ZL15flash_attn_tileILi256ELi256ELi2ELi8ELb0EEvPKcS1_S1_S1_S1_PKiPfP15HIP_vector_typeIfLj2EEffffjfiS5_IjLj3EEiiiiiiiiiiiliiliiiiil.num_named_barrier, 0
	.set _ZL15flash_attn_tileILi256ELi256ELi2ELi8ELb0EEvPKcS1_S1_S1_S1_PKiPfP15HIP_vector_typeIfLj2EEffffjfiS5_IjLj3EEiiiiiiiiiiiliiliiiiil.private_seg_size, 0
	.set _ZL15flash_attn_tileILi256ELi256ELi2ELi8ELb0EEvPKcS1_S1_S1_S1_PKiPfP15HIP_vector_typeIfLj2EEffffjfiS5_IjLj3EEiiiiiiiiiiiliiliiiiil.uses_vcc, 1
	.set _ZL15flash_attn_tileILi256ELi256ELi2ELi8ELb0EEvPKcS1_S1_S1_S1_PKiPfP15HIP_vector_typeIfLj2EEffffjfiS5_IjLj3EEiiiiiiiiiiiliiliiiiil.uses_flat_scratch, 0
	.set _ZL15flash_attn_tileILi256ELi256ELi2ELi8ELb0EEvPKcS1_S1_S1_S1_PKiPfP15HIP_vector_typeIfLj2EEffffjfiS5_IjLj3EEiiiiiiiiiiiliiliiiiil.has_dyn_sized_stack, 0
	.set _ZL15flash_attn_tileILi256ELi256ELi2ELi8ELb0EEvPKcS1_S1_S1_S1_PKiPfP15HIP_vector_typeIfLj2EEffffjfiS5_IjLj3EEiiiiiiiiiiiliiliiiiil.has_recursion, 0
	.set _ZL15flash_attn_tileILi256ELi256ELi2ELi8ELb0EEvPKcS1_S1_S1_S1_PKiPfP15HIP_vector_typeIfLj2EEffffjfiS5_IjLj3EEiiiiiiiiiiiliiliiiiil.has_indirect_call, 0
	.section	.AMDGPU.csdata,"",@progbits
; Kernel info:
; codeLenInByte = 13240
; TotalNumSgprs: 46
; NumVgprs: 72
; NumAgprs: 0
; TotalNumVgprs: 72
; ScratchSize: 0
; MemoryBound: 0
; FloatMode: 240
; IeeeMode: 1
; LDSByteSize: 17920 bytes/workgroup (compile time only)
; SGPRBlocks: 5
; VGPRBlocks: 8
; NumSGPRsForWavesPerEU: 46
; NumVGPRsForWavesPerEU: 72
; AccumOffset: 72
; Occupancy: 7
; WaveLimiterHint : 1
; COMPUTE_PGM_RSRC2:SCRATCH_EN: 0
; COMPUTE_PGM_RSRC2:USER_SGPR: 2
; COMPUTE_PGM_RSRC2:TRAP_HANDLER: 0
; COMPUTE_PGM_RSRC2:TGID_X_EN: 1
; COMPUTE_PGM_RSRC2:TGID_Y_EN: 1
; COMPUTE_PGM_RSRC2:TGID_Z_EN: 1
; COMPUTE_PGM_RSRC2:TIDIG_COMP_CNT: 1
; COMPUTE_PGM_RSRC3_GFX90A:ACCUM_OFFSET: 17
; COMPUTE_PGM_RSRC3_GFX90A:TG_SPLIT: 0
	.section	.text._ZL25flash_attn_mask_to_KV_maxILi2EEvPK7__half2Piiii,"axG",@progbits,_ZL25flash_attn_mask_to_KV_maxILi2EEvPK7__half2Piiii,comdat
	.globl	_ZL25flash_attn_mask_to_KV_maxILi2EEvPK7__half2Piiii ; -- Begin function _ZL25flash_attn_mask_to_KV_maxILi2EEvPK7__half2Piiii
	.p2align	8
	.type	_ZL25flash_attn_mask_to_KV_maxILi2EEvPK7__half2Piiii,@function
_ZL25flash_attn_mask_to_KV_maxILi2EEvPK7__half2Piiii: ; @_ZL25flash_attn_mask_to_KV_maxILi2EEvPK7__half2Piiii
; %bb.0:
	s_load_dwordx4 s[4:7], s[0:1], 0x0
	v_cmp_gt_u32_e32 vcc, 32, v0
	s_and_saveexec_b64 s[8:9], vcc
; %bb.1:
	v_lshlrev_b32_e32 v1, 2, v0
	v_mov_b32_e32 v2, 1
	ds_write_b32 v1, v2
; %bb.2:
	s_or_b64 exec, exec, s[8:9]
	s_load_dwordx4 s[8:11], s[0:1], 0x10
	s_load_dword s16, s[0:1], 0x20
	v_and_b32_e32 v2, 31, v0
	v_lshlrev_b32_e32 v4, 2, v2
	v_lshrrev_b32_e32 v1, 3, v0
	s_waitcnt lgkmcnt(0)
	s_mul_i32 s1, s2, s9
	s_mul_i32 s0, s10, s3
	s_lshl_b32 s1, s1, 1
	s_add_i32 s0, s0, s1
	s_ashr_i32 s1, s0, 31
	s_lshl_b64 s[0:1], s[0:1], 2
	s_add_u32 s10, s4, s0
	s_addc_u32 s11, s5, s1
	v_cmp_eq_u32_e64 s[0:1], 0, v2
	v_mbcnt_lo_u32_b32 v2, -1, 0
	v_mbcnt_hi_u32_b32 v5, -1, v2
	v_and_b32_e32 v2, 0x60, v5
	s_lshl_b32 s8, s8, 8
	s_mov_b64 s[12:13], 0
	v_mov_b32_e32 v3, 0
	s_movk_i32 s17, 0x204
	v_add_u32_e32 v6, 32, v2
	v_xor_b32_e32 v7, 16, v5
	v_xor_b32_e32 v8, 8, v5
	;; [unrolled: 1-line block ×5, first 2 shown]
	s_barrier
                                        ; implicit-def: $sgpr4_sgpr5
	s_branch .LBB6_5
.LBB6_3:                                ;   in Loop: Header=BB6_5 Depth=1
	s_or_b64 exec, exec, s[14:15]
	s_waitcnt lgkmcnt(0)
	s_barrier
	ds_read_b32 v16, v4
	s_waitcnt lgkmcnt(0)
	s_barrier
	ds_bpermute_b32 v2, v2, v16
	v_cmp_ne_u32_e32 vcc, 0, v16
	s_waitcnt lgkmcnt(0)
	v_cmp_ne_u32_e64 s[4:5], 0, v2
	s_and_b64 s[4:5], vcc, s[4:5]
	s_nop 0
	v_cndmask_b32_e64 v2, 0, 1, s[4:5]
	ds_bpermute_b32 v2, v12, v2
	s_waitcnt lgkmcnt(0)
	v_cmp_ne_u32_e32 vcc, 0, v2
	s_and_b64 s[4:5], vcc, s[4:5]
	v_cndmask_b32_e64 v2, 0, 1, s[4:5]
	ds_bpermute_b32 v2, v13, v2
	s_waitcnt lgkmcnt(0)
	v_cmp_ne_u32_e32 vcc, 0, v2
	s_and_b64 s[4:5], vcc, s[4:5]
	;; [unrolled: 5-line block ×3, first 2 shown]
	v_cndmask_b32_e64 v2, 0, 1, s[4:5]
	ds_bpermute_b32 v2, v15, v2
	s_xor_b64 s[4:5], s[4:5], -1
	s_waitcnt lgkmcnt(0)
	v_cmp_eq_u32_e32 vcc, 0, v2
	s_or_b64 s[4:5], vcc, s[4:5]
.LBB6_4:                                ;   in Loop: Header=BB6_5 Depth=1
	s_and_b64 s[14:15], exec, s[4:5]
	s_or_b64 s[12:13], s[14:15], s[12:13]
	v_mov_b32_e32 v2, s8
	s_mov_b32 s8, s18
	s_andn2_b64 exec, exec, s[12:13]
	s_cbranch_execz .LBB6_12
.LBB6_5:                                ; =>This Inner Loop Header: Depth=1
	s_add_i32 s18, s8, 0xffffff00
	s_or_b64 s[4:5], s[4:5], exec
	s_cmp_lt_i32 s18, 0
	s_cbranch_scc1 .LBB6_4
; %bb.6:                                ;   in Loop: Header=BB6_5 Depth=1
	s_lshr_b32 s4, s18, 1
	v_add_u32_e32 v2, s4, v0
	v_lshl_add_u64 v[12:13], v[2:3], 2, s[10:11]
	global_load_dword v12, v[12:13], off
	s_waitcnt vmcnt(0)
	v_cmp_class_f16_e64 s[4:5], v12, s17
	v_cmp_class_f16_sdwa s[14:15], v12, s17 src0_sel:WORD_1 src1_sel:DWORD
	s_and_b64 s[14:15], s[4:5], s[14:15]
	v_mov_b32_e32 v12, 0
	s_and_saveexec_b64 s[4:5], s[14:15]
	s_cbranch_execz .LBB6_10
; %bb.7:                                ;   in Loop: Header=BB6_5 Depth=1
	v_add_u32_e32 v12, s9, v2
	v_ashrrev_i32_e32 v13, 31, v12
	v_lshl_add_u64 v[12:13], v[12:13], 2, s[10:11]
	global_load_dword v2, v[12:13], off
	v_mov_b32_e32 v12, 0
	s_waitcnt vmcnt(0)
	v_cmp_class_f16_e64 s[20:21], v2, s17
	s_and_saveexec_b64 s[14:15], s[20:21]
; %bb.8:                                ;   in Loop: Header=BB6_5 Depth=1
	v_cmp_class_f16_sdwa s[20:21], v2, s17 src0_sel:WORD_1 src1_sel:DWORD
	s_nop 1
	v_cndmask_b32_e64 v12, 0, 1, s[20:21]
; %bb.9:                                ;   in Loop: Header=BB6_5 Depth=1
	s_or_b64 exec, exec, s[14:15]
.LBB6_10:                               ;   in Loop: Header=BB6_5 Depth=1
	s_or_b64 exec, exec, s[4:5]
	v_cmp_lt_i32_e32 vcc, v7, v6
	s_nop 1
	v_cndmask_b32_e32 v2, v5, v7, vcc
	v_lshlrev_b32_e32 v2, 2, v2
	ds_bpermute_b32 v13, v2, v12
	v_cmp_ne_u32_e32 vcc, 0, v12
	s_waitcnt lgkmcnt(0)
	v_cmp_ne_u32_e64 s[4:5], 0, v13
	s_and_b64 s[4:5], vcc, s[4:5]
	v_cmp_lt_i32_e32 vcc, v8, v6
	v_cndmask_b32_e64 v13, 0, 1, s[4:5]
	s_nop 0
	v_cndmask_b32_e32 v12, v5, v8, vcc
	v_lshlrev_b32_e32 v12, 2, v12
	ds_bpermute_b32 v13, v12, v13
	s_waitcnt lgkmcnt(0)
	v_cmp_ne_u32_e32 vcc, 0, v13
	s_and_b64 s[4:5], vcc, s[4:5]
	v_cmp_lt_i32_e32 vcc, v9, v6
	v_cndmask_b32_e64 v14, 0, 1, s[4:5]
	s_nop 0
	v_cndmask_b32_e32 v13, v5, v9, vcc
	v_lshlrev_b32_e32 v13, 2, v13
	ds_bpermute_b32 v14, v13, v14
	s_waitcnt lgkmcnt(0)
	v_cmp_ne_u32_e32 vcc, 0, v14
	;; [unrolled: 9-line block ×3, first 2 shown]
	s_and_b64 s[4:5], vcc, s[4:5]
	v_cmp_lt_i32_e32 vcc, v11, v6
	v_cndmask_b32_e64 v16, 0, 1, s[4:5]
	s_nop 0
	v_cndmask_b32_e32 v15, v5, v11, vcc
	v_lshlrev_b32_e32 v15, 2, v15
	ds_bpermute_b32 v16, v15, v16
	s_and_saveexec_b64 s[14:15], s[0:1]
	s_cbranch_execz .LBB6_3
; %bb.11:                               ;   in Loop: Header=BB6_5 Depth=1
	s_waitcnt lgkmcnt(0)
	v_cmp_ne_u32_e32 vcc, 0, v16
	s_and_b64 s[4:5], vcc, s[4:5]
	v_cndmask_b32_e64 v16, 0, 1, s[4:5]
	ds_write_b32 v1, v16
	s_branch .LBB6_3
.LBB6_12:
	s_or_b64 exec, exec, s[12:13]
	v_cmp_eq_u32_e32 vcc, 0, v0
	s_and_saveexec_b64 s[0:1], vcc
	s_cbranch_execz .LBB6_14
; %bb.13:
	s_mul_i32 s0, s16, s3
	s_add_i32 s0, s0, s2
	s_ashr_i32 s1, s0, 31
	s_lshl_b64 s[0:1], s[0:1], 2
	s_add_u32 s0, s6, s0
	s_addc_u32 s1, s7, s1
	v_mov_b32_e32 v0, 0
	global_store_dword v0, v2, s[0:1]
.LBB6_14:
	s_endpgm
	.section	.rodata,"a",@progbits
	.p2align	6, 0x0
	.amdhsa_kernel _ZL25flash_attn_mask_to_KV_maxILi2EEvPK7__half2Piiii
		.amdhsa_group_segment_fixed_size 128
		.amdhsa_private_segment_fixed_size 0
		.amdhsa_kernarg_size 288
		.amdhsa_user_sgpr_count 2
		.amdhsa_user_sgpr_dispatch_ptr 0
		.amdhsa_user_sgpr_queue_ptr 0
		.amdhsa_user_sgpr_kernarg_segment_ptr 1
		.amdhsa_user_sgpr_dispatch_id 0
		.amdhsa_user_sgpr_kernarg_preload_length 0
		.amdhsa_user_sgpr_kernarg_preload_offset 0
		.amdhsa_user_sgpr_private_segment_size 0
		.amdhsa_uses_dynamic_stack 0
		.amdhsa_enable_private_segment 0
		.amdhsa_system_sgpr_workgroup_id_x 1
		.amdhsa_system_sgpr_workgroup_id_y 1
		.amdhsa_system_sgpr_workgroup_id_z 0
		.amdhsa_system_sgpr_workgroup_info 0
		.amdhsa_system_vgpr_workitem_id 0
		.amdhsa_next_free_vgpr 17
		.amdhsa_next_free_sgpr 22
		.amdhsa_accum_offset 20
		.amdhsa_reserve_vcc 1
		.amdhsa_float_round_mode_32 0
		.amdhsa_float_round_mode_16_64 0
		.amdhsa_float_denorm_mode_32 3
		.amdhsa_float_denorm_mode_16_64 3
		.amdhsa_dx10_clamp 1
		.amdhsa_ieee_mode 1
		.amdhsa_fp16_overflow 0
		.amdhsa_tg_split 0
		.amdhsa_exception_fp_ieee_invalid_op 0
		.amdhsa_exception_fp_denorm_src 0
		.amdhsa_exception_fp_ieee_div_zero 0
		.amdhsa_exception_fp_ieee_overflow 0
		.amdhsa_exception_fp_ieee_underflow 0
		.amdhsa_exception_fp_ieee_inexact 0
		.amdhsa_exception_int_div_zero 0
	.end_amdhsa_kernel
	.section	.text._ZL25flash_attn_mask_to_KV_maxILi2EEvPK7__half2Piiii,"axG",@progbits,_ZL25flash_attn_mask_to_KV_maxILi2EEvPK7__half2Piiii,comdat
.Lfunc_end6:
	.size	_ZL25flash_attn_mask_to_KV_maxILi2EEvPK7__half2Piiii, .Lfunc_end6-_ZL25flash_attn_mask_to_KV_maxILi2EEvPK7__half2Piiii
                                        ; -- End function
	.set _ZL25flash_attn_mask_to_KV_maxILi2EEvPK7__half2Piiii.num_vgpr, 17
	.set _ZL25flash_attn_mask_to_KV_maxILi2EEvPK7__half2Piiii.num_agpr, 0
	.set _ZL25flash_attn_mask_to_KV_maxILi2EEvPK7__half2Piiii.numbered_sgpr, 22
	.set _ZL25flash_attn_mask_to_KV_maxILi2EEvPK7__half2Piiii.num_named_barrier, 0
	.set _ZL25flash_attn_mask_to_KV_maxILi2EEvPK7__half2Piiii.private_seg_size, 0
	.set _ZL25flash_attn_mask_to_KV_maxILi2EEvPK7__half2Piiii.uses_vcc, 1
	.set _ZL25flash_attn_mask_to_KV_maxILi2EEvPK7__half2Piiii.uses_flat_scratch, 0
	.set _ZL25flash_attn_mask_to_KV_maxILi2EEvPK7__half2Piiii.has_dyn_sized_stack, 0
	.set _ZL25flash_attn_mask_to_KV_maxILi2EEvPK7__half2Piiii.has_recursion, 0
	.set _ZL25flash_attn_mask_to_KV_maxILi2EEvPK7__half2Piiii.has_indirect_call, 0
	.section	.AMDGPU.csdata,"",@progbits
; Kernel info:
; codeLenInByte = 836
; TotalNumSgprs: 28
; NumVgprs: 17
; NumAgprs: 0
; TotalNumVgprs: 17
; ScratchSize: 0
; MemoryBound: 0
; FloatMode: 240
; IeeeMode: 1
; LDSByteSize: 128 bytes/workgroup (compile time only)
; SGPRBlocks: 3
; VGPRBlocks: 2
; NumSGPRsForWavesPerEU: 28
; NumVGPRsForWavesPerEU: 17
; AccumOffset: 20
; Occupancy: 8
; WaveLimiterHint : 0
; COMPUTE_PGM_RSRC2:SCRATCH_EN: 0
; COMPUTE_PGM_RSRC2:USER_SGPR: 2
; COMPUTE_PGM_RSRC2:TRAP_HANDLER: 0
; COMPUTE_PGM_RSRC2:TGID_X_EN: 1
; COMPUTE_PGM_RSRC2:TGID_Y_EN: 1
; COMPUTE_PGM_RSRC2:TGID_Z_EN: 0
; COMPUTE_PGM_RSRC2:TIDIG_COMP_CNT: 0
; COMPUTE_PGM_RSRC3_GFX90A:ACCUM_OFFSET: 4
; COMPUTE_PGM_RSRC3_GFX90A:TG_SPLIT: 0
	.section	.text._ZL33flash_attn_stream_k_fixup_uniformILi256ELi2ELi8EEvPfPK15HIP_vector_typeIfLj2EEiiiiiiS1_IjLj3EES5_S5_,"axG",@progbits,_ZL33flash_attn_stream_k_fixup_uniformILi256ELi2ELi8EEvPfPK15HIP_vector_typeIfLj2EEiiiiiiS1_IjLj3EES5_S5_,comdat
	.globl	_ZL33flash_attn_stream_k_fixup_uniformILi256ELi2ELi8EEvPfPK15HIP_vector_typeIfLj2EEiiiiiiS1_IjLj3EES5_S5_ ; -- Begin function _ZL33flash_attn_stream_k_fixup_uniformILi256ELi2ELi8EEvPfPK15HIP_vector_typeIfLj2EEiiiiiiS1_IjLj3EES5_S5_
	.p2align	8
	.type	_ZL33flash_attn_stream_k_fixup_uniformILi256ELi2ELi8EEvPfPK15HIP_vector_typeIfLj2EEiiiiiiS1_IjLj3EES5_S5_,@function
_ZL33flash_attn_stream_k_fixup_uniformILi256ELi2ELi8EEvPfPK15HIP_vector_typeIfLj2EEiiiiiiS1_IjLj3EES5_S5_: ; @_ZL33flash_attn_stream_k_fixup_uniformILi256ELi2ELi8EEvPfPK15HIP_vector_typeIfLj2EEiiiiiiS1_IjLj3EES5_S5_
; %bb.0:
	s_load_dwordx8 s[8:15], s[0:1], 0x1c
	s_load_dwordx2 s[6:7], s[0:1], 0x10
	s_load_dwordx4 s[20:23], s[0:1], 0x3c
	s_waitcnt lgkmcnt(0)
	s_mul_hi_u32 s5, s11, s2
	s_add_i32 s5, s2, s5
	s_lshr_b32 s5, s5, s12
	s_mul_i32 s11, s5, s13
	s_sub_i32 s11, s2, s11
	s_mul_hi_u32 s12, s11, s14
	s_add_i32 s12, s11, s12
	s_lshr_b32 s16, s12, s15
	s_mul_i32 s12, s16, s20
	s_sub_i32 s11, s11, s12
	;; [unrolled: 5-line block ×3, first 2 shown]
	s_lshl_b32 s11, s12, 3
	s_lshl_b32 s12, s17, 1
	s_add_i32 s12, s12, s3
	s_cmp_lt_i32 s12, s6
	s_cselect_b64 s[12:13], -1, 0
	s_add_i32 s14, s11, s4
	s_cmp_lt_i32 s14, s9
	s_cselect_b64 s[14:15], -1, 0
	s_and_b64 s[12:13], s[12:13], s[14:15]
	s_andn2_b64 vcc, exec, s[12:13]
	s_cbranch_vccnz .LBB7_6
; %bb.1:
	s_load_dwordx4 s[12:15], s[0:1], 0x0
	s_mul_i32 s0, s5, s6
	s_add_i32 s0, s0, s3
	s_mul_i32 s0, s0, s7
	s_mul_i32 s16, s16, s9
	s_add_i32 s0, s0, s4
	s_add_i32 s0, s0, s16
	s_mul_i32 s1, s7, s17
	s_add_i32 s0, s0, s11
	s_lshl_b32 s1, s1, 9
	s_lshl_b32 s0, s0, 8
	s_add_i32 s1, s1, s0
	v_or_b32_e32 v4, s1, v0
	s_waitcnt lgkmcnt(0)
	v_mov_b32_e32 v2, s12
	v_mov_b32_e32 v3, s13
	v_ashrrev_i32_e32 v5, 31, v4
	v_lshl_add_u64 v[2:3], v[4:5], 2, v[2:3]
	global_load_dword v5, v[2:3], off
	s_mul_i32 s5, s10, s2
	s_lshl_b32 s11, s3, 3
	s_add_i32 s9, s5, s10
	s_add_i32 s0, s11, s4
	s_lshl_b32 s1, s9, 4
	s_add_i32 s0, s0, s1
	s_add_i32 s0, s0, -16
	s_ashr_i32 s1, s0, 31
	s_lshl_b64 s[0:1], s[0:1], 3
	s_add_u32 s0, s14, s0
	s_addc_u32 s1, s15, s1
	s_load_dword s12, s[0:1], 0x4
	s_add_i32 s6, s9, -2
	s_cmp_lt_i32 s6, s5
	s_cbranch_scc1 .LBB7_4
; %bb.2:
	s_lshl_b32 s6, s8, 6
	s_ashr_i32 s7, s6, 31
	s_lshl_b64 s[6:7], s[6:7], 2
	s_add_u32 s6, s14, s6
	s_addc_u32 s7, s15, s7
	s_add_i32 s2, s2, 1
	s_load_dword s0, s[0:1], 0x0
	s_mul_i32 s1, s10, s2
	s_lshl_b32 s3, s3, 11
	s_lshl_b32 s10, s4, 8
	;; [unrolled: 1-line block ×3, first 2 shown]
	s_add_i32 s3, s10, s3
	s_lshl_b32 s1, s1, 4
	s_add_i32 s3, s3, s2
	s_add_i32 s1, s4, s1
	s_lshl_b32 s2, s8, 4
	s_add_i32 s1, s1, s2
	v_or_b32_e32 v0, s3, v0
	s_add_i32 s1, s1, s11
	s_add_i32 s9, s9, -1
	v_add_u32_e32 v0, 0xffffe000, v0
	s_sub_i32 s2, s1, 32
	s_waitcnt lgkmcnt(0)
	v_mov_b32_e32 v7, s0
	v_mov_b32_e32 v4, s12
	s_mov_b32 s4, 0x3fb8aa3b
	s_mov_b32 s8, 0xc2ce8ed0
	;; [unrolled: 1-line block ×3, first 2 shown]
	v_mov_b32_e32 v6, 0x7f800000
	s_mov_b32 s11, 0xc1a00000
.LBB7_3:                                ; =>This Inner Loop Header: Depth=1
	v_ashrrev_i32_e32 v1, 31, v0
	v_lshl_add_u64 v[8:9], v[0:1], 2, s[6:7]
	global_load_dword v9, v[8:9], off
	s_ashr_i32 s3, s2, 31
	s_lshl_b64 s[0:1], s[2:3], 3
	s_add_u32 s0, s14, s0
	s_addc_u32 s1, s15, s1
	s_load_dwordx2 s[0:1], s[0:1], 0x0
	v_max_f32_e32 v1, v7, v7
	s_add_i32 s9, s9, -1
	s_add_i32 s2, s2, -16
	v_add_u32_e32 v0, 0xfffff000, v0
	s_waitcnt lgkmcnt(0)
	v_max_f32_e64 v10, s0, s0
	v_max_f32_e32 v1, v1, v10
	v_sub_f32_e32 v11, s0, v1
	v_sub_f32_e32 v10, v7, v1
	v_mul_f32_e32 v12, 0x3fb8aa3b, v11
	v_mov_b32_e32 v7, v1
	v_mul_f32_e32 v1, 0x3fb8aa3b, v10
	v_fma_f32 v15, v11, s4, -v12
	v_rndne_f32_e32 v16, v12
	v_fma_f32 v13, v10, s4, -v1
	v_rndne_f32_e32 v14, v1
	v_fmac_f32_e32 v15, 0x32a5705f, v11
	v_sub_f32_e32 v12, v12, v16
	v_fmac_f32_e32 v13, 0x32a5705f, v10
	v_sub_f32_e32 v1, v1, v14
	v_add_f32_e32 v12, v12, v15
	v_cvt_i32_f32_e32 v16, v16
	v_add_f32_e32 v1, v1, v13
	v_exp_f32_e32 v12, v12
	v_cvt_i32_f32_e32 v14, v14
	v_exp_f32_e32 v1, v1
	v_cmp_ngt_f32_e32 vcc, s8, v11
	v_ldexp_f32 v12, v12, v16
	v_mov_b32_e32 v8, s1
	v_ldexp_f32 v1, v1, v14
	v_cmp_ngt_f32_e64 s[0:1], s8, v10
	v_cndmask_b32_e32 v12, 0, v12, vcc
	v_cmp_nlt_f32_e32 vcc, s10, v11
	v_cndmask_b32_e64 v1, 0, v1, s[0:1]
	v_cmp_nlt_f32_e64 s[0:1], s10, v10
	v_cndmask_b32_e32 v12, v6, v12, vcc
	v_cmp_le_f32_e32 vcc, s11, v11
	v_cndmask_b32_e64 v1, v6, v1, s[0:1]
	v_cmp_le_f32_e64 s[0:1], s11, v10
	v_cndmask_b32_e32 v12, 0, v12, vcc
	s_cmp_le_i32 s9, s5
	v_cndmask_b32_e64 v10, 0, v1, s[0:1]
	s_waitcnt vmcnt(0)
	v_pk_mul_f32 v[8:9], v[8:9], v[12:13] op_sel_hi:[1,0]
	s_nop 0
	v_pk_fma_f32 v[4:5], v[4:5], v[10:11], v[8:9] op_sel_hi:[1,0,1]
	s_cbranch_scc0 .LBB7_3
	s_branch .LBB7_5
.LBB7_4:
	s_waitcnt lgkmcnt(0)
	v_mov_b32_e32 v4, s12
.LBB7_5:
	s_waitcnt vmcnt(0)
	v_div_scale_f32 v0, s[0:1], v4, v4, v5
	v_rcp_f32_e32 v1, v0
	v_div_scale_f32 v6, vcc, v5, v4, v5
	v_fma_f32 v7, -v0, v1, 1.0
	v_fmac_f32_e32 v1, v7, v1
	v_mul_f32_e32 v7, v6, v1
	v_fma_f32 v8, -v0, v7, v6
	v_fmac_f32_e32 v7, v8, v1
	v_fma_f32 v0, -v0, v7, v6
	v_div_fmas_f32 v0, v0, v1, v7
	v_div_fixup_f32 v0, v0, v4, v5
	global_store_dword v[2:3], v0, off
.LBB7_6:
	s_endpgm
	.section	.rodata,"a",@progbits
	.p2align	6, 0x0
	.amdhsa_kernel _ZL33flash_attn_stream_k_fixup_uniformILi256ELi2ELi8EEvPfPK15HIP_vector_typeIfLj2EEiiiiiiS1_IjLj3EES5_S5_
		.amdhsa_group_segment_fixed_size 0
		.amdhsa_private_segment_fixed_size 0
		.amdhsa_kernarg_size 76
		.amdhsa_user_sgpr_count 2
		.amdhsa_user_sgpr_dispatch_ptr 0
		.amdhsa_user_sgpr_queue_ptr 0
		.amdhsa_user_sgpr_kernarg_segment_ptr 1
		.amdhsa_user_sgpr_dispatch_id 0
		.amdhsa_user_sgpr_kernarg_preload_length 0
		.amdhsa_user_sgpr_kernarg_preload_offset 0
		.amdhsa_user_sgpr_private_segment_size 0
		.amdhsa_uses_dynamic_stack 0
		.amdhsa_enable_private_segment 0
		.amdhsa_system_sgpr_workgroup_id_x 1
		.amdhsa_system_sgpr_workgroup_id_y 1
		.amdhsa_system_sgpr_workgroup_id_z 1
		.amdhsa_system_sgpr_workgroup_info 0
		.amdhsa_system_vgpr_workitem_id 0
		.amdhsa_next_free_vgpr 17
		.amdhsa_next_free_sgpr 24
		.amdhsa_accum_offset 20
		.amdhsa_reserve_vcc 1
		.amdhsa_float_round_mode_32 0
		.amdhsa_float_round_mode_16_64 0
		.amdhsa_float_denorm_mode_32 3
		.amdhsa_float_denorm_mode_16_64 3
		.amdhsa_dx10_clamp 1
		.amdhsa_ieee_mode 1
		.amdhsa_fp16_overflow 0
		.amdhsa_tg_split 0
		.amdhsa_exception_fp_ieee_invalid_op 0
		.amdhsa_exception_fp_denorm_src 0
		.amdhsa_exception_fp_ieee_div_zero 0
		.amdhsa_exception_fp_ieee_overflow 0
		.amdhsa_exception_fp_ieee_underflow 0
		.amdhsa_exception_fp_ieee_inexact 0
		.amdhsa_exception_int_div_zero 0
	.end_amdhsa_kernel
	.section	.text._ZL33flash_attn_stream_k_fixup_uniformILi256ELi2ELi8EEvPfPK15HIP_vector_typeIfLj2EEiiiiiiS1_IjLj3EES5_S5_,"axG",@progbits,_ZL33flash_attn_stream_k_fixup_uniformILi256ELi2ELi8EEvPfPK15HIP_vector_typeIfLj2EEiiiiiiS1_IjLj3EES5_S5_,comdat
.Lfunc_end7:
	.size	_ZL33flash_attn_stream_k_fixup_uniformILi256ELi2ELi8EEvPfPK15HIP_vector_typeIfLj2EEiiiiiiS1_IjLj3EES5_S5_, .Lfunc_end7-_ZL33flash_attn_stream_k_fixup_uniformILi256ELi2ELi8EEvPfPK15HIP_vector_typeIfLj2EEiiiiiiS1_IjLj3EES5_S5_
                                        ; -- End function
	.set _ZL33flash_attn_stream_k_fixup_uniformILi256ELi2ELi8EEvPfPK15HIP_vector_typeIfLj2EEiiiiiiS1_IjLj3EES5_S5_.num_vgpr, 17
	.set _ZL33flash_attn_stream_k_fixup_uniformILi256ELi2ELi8EEvPfPK15HIP_vector_typeIfLj2EEiiiiiiS1_IjLj3EES5_S5_.num_agpr, 0
	.set _ZL33flash_attn_stream_k_fixup_uniformILi256ELi2ELi8EEvPfPK15HIP_vector_typeIfLj2EEiiiiiiS1_IjLj3EES5_S5_.numbered_sgpr, 24
	.set _ZL33flash_attn_stream_k_fixup_uniformILi256ELi2ELi8EEvPfPK15HIP_vector_typeIfLj2EEiiiiiiS1_IjLj3EES5_S5_.num_named_barrier, 0
	.set _ZL33flash_attn_stream_k_fixup_uniformILi256ELi2ELi8EEvPfPK15HIP_vector_typeIfLj2EEiiiiiiS1_IjLj3EES5_S5_.private_seg_size, 0
	.set _ZL33flash_attn_stream_k_fixup_uniformILi256ELi2ELi8EEvPfPK15HIP_vector_typeIfLj2EEiiiiiiS1_IjLj3EES5_S5_.uses_vcc, 1
	.set _ZL33flash_attn_stream_k_fixup_uniformILi256ELi2ELi8EEvPfPK15HIP_vector_typeIfLj2EEiiiiiiS1_IjLj3EES5_S5_.uses_flat_scratch, 0
	.set _ZL33flash_attn_stream_k_fixup_uniformILi256ELi2ELi8EEvPfPK15HIP_vector_typeIfLj2EEiiiiiiS1_IjLj3EES5_S5_.has_dyn_sized_stack, 0
	.set _ZL33flash_attn_stream_k_fixup_uniformILi256ELi2ELi8EEvPfPK15HIP_vector_typeIfLj2EEiiiiiiS1_IjLj3EES5_S5_.has_recursion, 0
	.set _ZL33flash_attn_stream_k_fixup_uniformILi256ELi2ELi8EEvPfPK15HIP_vector_typeIfLj2EEiiiiiiS1_IjLj3EES5_S5_.has_indirect_call, 0
	.section	.AMDGPU.csdata,"",@progbits
; Kernel info:
; codeLenInByte = 836
; TotalNumSgprs: 30
; NumVgprs: 17
; NumAgprs: 0
; TotalNumVgprs: 17
; ScratchSize: 0
; MemoryBound: 0
; FloatMode: 240
; IeeeMode: 1
; LDSByteSize: 0 bytes/workgroup (compile time only)
; SGPRBlocks: 3
; VGPRBlocks: 2
; NumSGPRsForWavesPerEU: 30
; NumVGPRsForWavesPerEU: 17
; AccumOffset: 20
; Occupancy: 8
; WaveLimiterHint : 0
; COMPUTE_PGM_RSRC2:SCRATCH_EN: 0
; COMPUTE_PGM_RSRC2:USER_SGPR: 2
; COMPUTE_PGM_RSRC2:TRAP_HANDLER: 0
; COMPUTE_PGM_RSRC2:TGID_X_EN: 1
; COMPUTE_PGM_RSRC2:TGID_Y_EN: 1
; COMPUTE_PGM_RSRC2:TGID_Z_EN: 1
; COMPUTE_PGM_RSRC2:TIDIG_COMP_CNT: 0
; COMPUTE_PGM_RSRC3_GFX90A:ACCUM_OFFSET: 4
; COMPUTE_PGM_RSRC3_GFX90A:TG_SPLIT: 0
	.section	.text._ZL33flash_attn_stream_k_fixup_generalILi256ELi2ELi8EEvPfPK15HIP_vector_typeIfLj2EEiiiiS1_IjLj3EES5_S5_S5_,"axG",@progbits,_ZL33flash_attn_stream_k_fixup_generalILi256ELi2ELi8EEvPfPK15HIP_vector_typeIfLj2EEiiiiS1_IjLj3EES5_S5_S5_,comdat
	.globl	_ZL33flash_attn_stream_k_fixup_generalILi256ELi2ELi8EEvPfPK15HIP_vector_typeIfLj2EEiiiiS1_IjLj3EES5_S5_S5_ ; -- Begin function _ZL33flash_attn_stream_k_fixup_generalILi256ELi2ELi8EEvPfPK15HIP_vector_typeIfLj2EEiiiiS1_IjLj3EES5_S5_S5_
	.p2align	8
	.type	_ZL33flash_attn_stream_k_fixup_generalILi256ELi2ELi8EEvPfPK15HIP_vector_typeIfLj2EEiiiiS1_IjLj3EES5_S5_S5_,@function
_ZL33flash_attn_stream_k_fixup_generalILi256ELi2ELi8EEvPfPK15HIP_vector_typeIfLj2EEiiiiS1_IjLj3EES5_S5_S5_: ; @_ZL33flash_attn_stream_k_fixup_generalILi256ELi2ELi8EEvPfPK15HIP_vector_typeIfLj2EEiiiiS1_IjLj3EES5_S5_S5_
; %bb.0:
	s_load_dwordx4 s[8:11], s[0:1], 0x10
	s_load_dword s22, s[0:1], 0x50
	s_mov_b32 s12, 0
	s_waitcnt lgkmcnt(0)
	s_mul_hi_i32 s13, s11, s2
	s_cmp_lg_u64 s[12:13], 0
	s_mul_i32 s5, s11, s2
	s_cbranch_scc0 .LBB8_20
; %bb.1:
	s_add_u32 s6, s22, 0
	s_addc_u32 s7, 0, 0
	s_xor_b64 s[6:7], s[6:7], 0
	v_cvt_f32_u32_e32 v1, s6
	v_cvt_f32_u32_e32 v2, s7
	s_sub_u32 s12, 0, s6
	s_subb_u32 s18, 0, s7
	v_fmamk_f32 v1, v2, 0x4f800000, v1
	v_rcp_f32_e32 v1, v1
	s_nop 0
	v_mul_f32_e32 v1, 0x5f7ffffc, v1
	v_mul_f32_e32 v2, 0x2f800000, v1
	v_trunc_f32_e32 v2, v2
	v_fmamk_f32 v1, v2, 0xcf800000, v1
	v_cvt_u32_f32_e32 v2, v2
	v_cvt_u32_f32_e32 v1, v1
	v_readfirstlane_b32 s19, v2
	v_readfirstlane_b32 s14, v1
	s_mul_i32 s15, s12, s19
	s_mul_hi_u32 s21, s12, s14
	s_mul_i32 s20, s18, s14
	s_add_i32 s15, s21, s15
	s_add_i32 s15, s15, s20
	s_mul_i32 s23, s12, s14
	s_mul_i32 s21, s14, s15
	s_mul_hi_u32 s24, s14, s23
	s_mul_hi_u32 s20, s14, s15
	s_add_u32 s21, s24, s21
	s_addc_u32 s20, 0, s20
	s_mul_hi_u32 s25, s19, s23
	s_mul_i32 s23, s19, s23
	s_add_u32 s21, s21, s23
	s_mul_hi_u32 s24, s19, s15
	s_addc_u32 s20, s20, s25
	s_addc_u32 s21, s24, 0
	s_mul_i32 s15, s19, s15
	s_add_u32 s15, s20, s15
	s_addc_u32 s20, 0, s21
	s_add_u32 s21, s14, s15
	s_cselect_b64 s[14:15], -1, 0
	s_cmp_lg_u64 s[14:15], 0
	s_addc_u32 s19, s19, s20
	s_mul_i32 s14, s12, s19
	s_mul_hi_u32 s15, s12, s21
	s_add_i32 s14, s15, s14
	s_mul_i32 s18, s18, s21
	s_add_i32 s14, s14, s18
	s_mul_i32 s12, s12, s21
	s_mul_hi_u32 s18, s19, s12
	s_mul_i32 s20, s19, s12
	s_mul_i32 s24, s21, s14
	s_mul_hi_u32 s12, s21, s12
	s_mul_hi_u32 s23, s21, s14
	s_add_u32 s12, s12, s24
	s_addc_u32 s23, 0, s23
	s_add_u32 s12, s12, s20
	s_mul_hi_u32 s15, s19, s14
	s_addc_u32 s12, s23, s18
	s_addc_u32 s15, s15, 0
	s_mul_i32 s14, s19, s14
	s_add_u32 s12, s12, s14
	s_addc_u32 s18, 0, s15
	s_add_u32 s20, s21, s12
	s_cselect_b64 s[14:15], -1, 0
	s_cmp_lg_u64 s[14:15], 0
	s_addc_u32 s18, s19, s18
	s_ashr_i32 s14, s13, 31
	s_add_u32 s12, s5, s14
	s_mov_b32 s15, s14
	s_addc_u32 s13, s13, s14
	s_xor_b64 s[12:13], s[12:13], s[14:15]
	s_mul_i32 s21, s12, s18
	s_mul_hi_u32 s23, s12, s20
	s_mul_hi_u32 s19, s12, s18
	s_add_u32 s21, s23, s21
	s_addc_u32 s19, 0, s19
	s_mul_hi_u32 s24, s13, s20
	s_mul_i32 s20, s13, s20
	s_add_u32 s20, s21, s20
	s_mul_hi_u32 s23, s13, s18
	s_addc_u32 s19, s19, s24
	s_addc_u32 s20, s23, 0
	s_mul_i32 s18, s13, s18
	s_add_u32 s23, s19, s18
	s_addc_u32 s24, 0, s20
	s_mul_i32 s18, s6, s24
	s_mul_hi_u32 s19, s6, s23
	s_add_i32 s18, s19, s18
	s_mul_i32 s19, s7, s23
	s_add_i32 s25, s18, s19
	s_sub_i32 s20, s13, s25
	s_mul_i32 s18, s6, s23
	s_sub_u32 s12, s12, s18
	s_cselect_b64 s[18:19], -1, 0
	s_cmp_lg_u64 s[18:19], 0
	s_subb_u32 s26, s20, s7
	s_sub_u32 s27, s12, s6
	s_cselect_b64 s[20:21], -1, 0
	s_cmp_lg_u64 s[20:21], 0
	s_subb_u32 s20, s26, 0
	s_cmp_ge_u32 s20, s7
	s_cselect_b32 s21, -1, 0
	s_cmp_ge_u32 s27, s6
	s_cselect_b32 s26, -1, 0
	s_cmp_eq_u32 s20, s7
	s_cselect_b32 s20, s26, s21
	s_add_u32 s21, s23, 1
	s_addc_u32 s26, s24, 0
	s_add_u32 s27, s23, 2
	s_addc_u32 s28, s24, 0
	s_cmp_lg_u32 s20, 0
	s_cselect_b32 s20, s27, s21
	s_cselect_b32 s21, s28, s26
	s_cmp_lg_u64 s[18:19], 0
	s_subb_u32 s13, s13, s25
	s_cmp_ge_u32 s13, s7
	s_cselect_b32 s18, -1, 0
	s_cmp_ge_u32 s12, s6
	s_cselect_b32 s6, -1, 0
	s_cmp_eq_u32 s13, s7
	s_cselect_b32 s6, s6, s18
	s_cmp_lg_u32 s6, 0
	s_cselect_b32 s7, s21, s24
	s_cselect_b32 s6, s20, s23
	s_xor_b64 s[12:13], s[14:15], 0
	s_xor_b64 s[6:7], s[6:7], s[12:13]
	s_sub_u32 s6, s6, s12
	s_load_dwordx4 s[12:15], s[0:1], 0x44
	s_cbranch_execnz .LBB8_3
.LBB8_2:
	v_cvt_f32_u32_e32 v1, s22
	s_sub_i32 s6, 0, s22
	v_rcp_iflag_f32_e32 v1, v1
	s_nop 0
	v_mul_f32_e32 v1, 0x4f7ffffe, v1
	v_cvt_u32_f32_e32 v1, v1
	s_nop 0
	v_readfirstlane_b32 s7, v1
	s_mul_i32 s6, s6, s7
	s_mul_hi_u32 s6, s7, s6
	s_add_i32 s7, s7, s6
	s_mul_hi_u32 s6, s5, s7
	s_waitcnt lgkmcnt(0)
	s_mul_i32 s15, s6, s22
	s_sub_i32 s5, s5, s15
	s_add_i32 s7, s6, 1
	s_sub_i32 s15, s5, s22
	s_cmp_ge_u32 s5, s22
	s_cselect_b32 s6, s7, s6
	s_cselect_b32 s5, s15, s5
	s_add_i32 s7, s6, 1
	s_cmp_ge_u32 s5, s22
	s_cselect_b32 s6, s7, s6
.LBB8_3:
	s_add_i32 s5, s2, 1
	s_mul_hi_i32 s21, s11, s5
	s_mov_b32 s20, 0
	s_cmp_lg_u64 s[20:21], 0
	s_mul_i32 s5, s11, s5
	s_cbranch_scc0 .LBB8_21
; %bb.4:
	s_add_u32 s16, s22, 0
	s_addc_u32 s17, 0, 0
	s_xor_b64 s[18:19], s[16:17], 0
	v_cvt_f32_u32_e32 v1, s18
	v_cvt_f32_u32_e32 v2, s19
	s_sub_u32 s7, 0, s18
	s_waitcnt lgkmcnt(0)
	s_subb_u32 s15, 0, s19
	v_fmamk_f32 v1, v2, 0x4f800000, v1
	v_rcp_f32_e32 v1, v1
	s_nop 0
	v_mul_f32_e32 v1, 0x5f7ffffc, v1
	v_mul_f32_e32 v2, 0x2f800000, v1
	v_trunc_f32_e32 v2, v2
	v_fmamk_f32 v1, v2, 0xcf800000, v1
	v_cvt_u32_f32_e32 v2, v2
	v_cvt_u32_f32_e32 v1, v1
	v_readfirstlane_b32 s20, v2
	v_readfirstlane_b32 s23, v1
	s_mul_i32 s24, s7, s20
	s_mul_hi_u32 s26, s7, s23
	s_mul_i32 s25, s15, s23
	s_add_i32 s24, s26, s24
	s_add_i32 s24, s24, s25
	s_mul_i32 s27, s7, s23
	s_mul_i32 s26, s23, s24
	s_mul_hi_u32 s28, s23, s27
	s_mul_hi_u32 s25, s23, s24
	s_add_u32 s26, s28, s26
	s_addc_u32 s25, 0, s25
	s_mul_hi_u32 s29, s20, s27
	s_mul_i32 s27, s20, s27
	s_add_u32 s26, s26, s27
	s_mul_hi_u32 s28, s20, s24
	s_addc_u32 s25, s25, s29
	s_addc_u32 s26, s28, 0
	s_mul_i32 s24, s20, s24
	s_add_u32 s24, s25, s24
	s_addc_u32 s26, 0, s26
	s_add_u32 s23, s23, s24
	s_cselect_b64 s[24:25], -1, 0
	s_cmp_lg_u64 s[24:25], 0
	s_addc_u32 s20, s20, s26
	s_mul_i32 s24, s7, s20
	s_mul_hi_u32 s25, s7, s23
	s_add_i32 s24, s25, s24
	s_mul_i32 s15, s15, s23
	s_add_i32 s24, s24, s15
	s_mul_i32 s7, s7, s23
	s_mul_hi_u32 s25, s20, s7
	s_mul_i32 s26, s20, s7
	s_mul_i32 s28, s23, s24
	s_mul_hi_u32 s7, s23, s7
	s_mul_hi_u32 s27, s23, s24
	s_add_u32 s7, s7, s28
	s_addc_u32 s27, 0, s27
	s_add_u32 s7, s7, s26
	s_mul_hi_u32 s15, s20, s24
	s_addc_u32 s7, s27, s25
	s_addc_u32 s15, s15, 0
	s_mul_i32 s24, s20, s24
	s_add_u32 s7, s7, s24
	s_addc_u32 s15, 0, s15
	s_add_u32 s7, s23, s7
	s_cselect_b64 s[24:25], -1, 0
	s_cmp_lg_u64 s[24:25], 0
	s_addc_u32 s15, s20, s15
	s_ashr_i32 s24, s21, 31
	s_add_u32 s20, s5, s24
	s_mov_b32 s25, s24
	s_addc_u32 s21, s21, s24
	s_xor_b64 s[20:21], s[20:21], s[24:25]
	s_mul_i32 s26, s20, s15
	s_mul_hi_u32 s27, s20, s7
	s_mul_hi_u32 s23, s20, s15
	s_add_u32 s26, s27, s26
	s_addc_u32 s23, 0, s23
	s_mul_hi_u32 s28, s21, s7
	s_mul_i32 s7, s21, s7
	s_add_u32 s7, s26, s7
	s_mul_hi_u32 s27, s21, s15
	s_addc_u32 s7, s23, s28
	s_addc_u32 s23, s27, 0
	s_mul_i32 s15, s21, s15
	s_add_u32 s7, s7, s15
	s_addc_u32 s15, 0, s23
	s_mul_i32 s23, s18, s15
	s_mul_hi_u32 s26, s18, s7
	s_add_i32 s23, s26, s23
	s_mul_i32 s26, s19, s7
	s_add_i32 s23, s23, s26
	s_sub_i32 s28, s21, s23
	s_mul_i32 s26, s18, s7
	s_sub_u32 s20, s20, s26
	s_cselect_b64 s[26:27], -1, 0
	s_cmp_lg_u64 s[26:27], 0
	s_subb_u32 s30, s28, s19
	s_sub_u32 s31, s20, s18
	s_cselect_b64 s[28:29], -1, 0
	s_cmp_lg_u64 s[28:29], 0
	s_subb_u32 s28, s30, 0
	s_cmp_ge_u32 s28, s19
	s_cselect_b32 s29, -1, 0
	s_cmp_ge_u32 s31, s18
	s_cselect_b32 s30, -1, 0
	s_cmp_eq_u32 s28, s19
	s_cselect_b32 s28, s30, s29
	s_add_u32 s29, s7, 1
	s_addc_u32 s30, s15, 0
	s_add_u32 s31, s7, 2
	s_addc_u32 s33, s15, 0
	s_cmp_lg_u32 s28, 0
	s_cselect_b32 s28, s31, s29
	s_cselect_b32 s29, s33, s30
	s_cmp_lg_u64 s[26:27], 0
	s_subb_u32 s21, s21, s23
	s_cmp_ge_u32 s21, s19
	s_cselect_b32 s23, -1, 0
	s_cmp_ge_u32 s20, s18
	s_cselect_b32 s18, -1, 0
	s_cmp_eq_u32 s21, s19
	s_cselect_b32 s18, s18, s23
	s_cmp_lg_u32 s18, 0
	s_cselect_b32 s19, s29, s15
	s_cselect_b32 s18, s28, s7
	s_xor_b64 s[20:21], s[24:25], 0
	s_xor_b64 s[18:19], s[18:19], s[20:21]
	s_sub_u32 s18, s18, s20
	s_cbranch_execnz .LBB8_6
.LBB8_5:
	v_cvt_f32_u32_e32 v1, s22
	s_sub_i32 s7, 0, s22
	v_rcp_iflag_f32_e32 v1, v1
	s_nop 0
	v_mul_f32_e32 v1, 0x4f7ffffe, v1
	v_cvt_u32_f32_e32 v1, v1
	s_waitcnt lgkmcnt(0)
	v_readfirstlane_b32 s15, v1
	s_mul_i32 s7, s7, s15
	s_mul_hi_u32 s7, s15, s7
	s_add_i32 s15, s15, s7
	s_mul_hi_u32 s7, s5, s15
	s_mul_i32 s16, s7, s22
	s_sub_i32 s5, s5, s16
	s_add_i32 s15, s7, 1
	s_sub_i32 s16, s5, s22
	s_cmp_ge_u32 s5, s22
	s_cselect_b32 s7, s15, s7
	s_cselect_b32 s5, s16, s5
	s_add_i32 s15, s7, 1
	s_cmp_ge_u32 s5, s22
	s_cselect_b32 s18, s15, s7
.LBB8_6:
	s_cmp_eq_u32 s6, s18
	s_waitcnt lgkmcnt(0)
	s_mul_hi_u32 s5, s6, s12
	s_cselect_b64 s[16:17], -1, 0
	s_add_i32 s5, s5, s6
	s_lshr_b32 s7, s5, s13
	s_mul_i32 s5, s7, s14
	s_cmp_eq_u32 s5, s6
	s_mul_hi_u32 s5, s18, s12
	s_cselect_b64 s[20:21], -1, 0
	s_add_i32 s5, s5, s18
	s_lshr_b32 s5, s5, s13
	s_cmp_eq_u32 s7, s5
	s_mul_i32 s5, s5, s14
	s_cselect_b64 s[24:25], -1, 0
	s_cmp_lg_u32 s5, s18
	s_cselect_b64 s[18:19], -1, 0
	s_and_b64 s[18:19], s[24:25], s[18:19]
	s_or_b64 s[16:17], s[16:17], s[20:21]
	s_or_b64 s[16:17], s[16:17], s[18:19]
	s_and_b64 vcc, exec, s[16:17]
	s_cbranch_vccnz .LBB8_23
; %bb.7:
	s_load_dwordx8 s[24:31], s[0:1], 0x20
	s_load_dword s15, s[0:1], 0x40
	s_waitcnt lgkmcnt(0)
	s_mul_hi_u32 s5, s6, s24
	s_add_i32 s5, s5, s6
	s_lshr_b32 s5, s5, s25
	s_mul_i32 s16, s5, s26
	s_sub_i32 s16, s6, s16
	s_mul_hi_u32 s17, s16, s27
	s_add_i32 s17, s16, s17
	s_lshr_b32 s20, s17, s28
	s_mul_i32 s17, s20, s29
	s_sub_i32 s16, s16, s17
	;; [unrolled: 5-line block ×3, first 2 shown]
	s_mul_hi_u32 s16, s15, s12
	s_add_i32 s15, s15, s16
	s_lshr_b32 s23, s15, s13
	s_lshl_b32 s15, s23, 1
	s_lshl_b32 s21, s17, 3
	s_add_i32 s15, s15, s3
	s_cmp_lt_i32 s15, s8
	s_cselect_b64 s[16:17], -1, 0
	s_add_i32 s15, s21, s4
	s_cmp_lt_i32 s15, s10
	s_cselect_b64 s[18:19], -1, 0
	s_and_b64 s[16:17], s[16:17], s[18:19]
	s_andn2_b64 vcc, exec, s[16:17]
	s_cbranch_vccnz .LBB8_23
; %bb.8:
	s_load_dwordx4 s[16:19], s[0:1], 0x0
	s_mov_b32 s0, 0
	s_lshl_b32 s15, s3, 3
	s_lshl_b32 s24, s22, 6
	s_mov_b32 s25, s0
	s_add_i32 s15, s15, s4
	s_waitcnt lgkmcnt(0)
	v_mov_b32_e32 v2, s16
	v_mov_b32_e32 v3, s17
	s_lshl_b64 s[16:17], s[24:25], 2
	s_add_u32 s16, s18, s16
	s_mul_i32 s1, s5, s8
	s_addc_u32 s17, s19, s17
	s_add_i32 s1, s1, s3
	s_mul_i32 s1, s1, s9
	s_mul_i32 s20, s20, s10
	s_add_i32 s1, s1, s4
	s_add_i32 s1, s1, s20
	s_mul_i32 s5, s9, s23
	s_add_i32 s1, s1, s21
	s_lshl_b32 s5, s5, 9
	s_lshl_b32 s1, s1, 8
	s_add_i32 s5, s5, s1
	v_or_b32_e32 v4, s5, v0
	v_ashrrev_i32_e32 v5, 31, v4
	v_lshl_add_u64 v[2:3], v[4:5], 2, v[2:3]
	global_load_dword v1, v[2:3], off
	v_cvt_f32_u32_e32 v4, s22
	s_lshl_b32 s1, s2, 4
	s_add_i32 s4, s15, s1
	s_ashr_i32 s5, s4, 31
	s_lshl_b64 s[4:5], s[4:5], 3
	v_rcp_iflag_f32_e32 v4, v4
	s_add_u32 s4, s18, s4
	s_addc_u32 s5, s19, s5
	s_load_dwordx2 s[4:5], s[4:5], 0x0
	v_mul_f32_e32 v4, 0x4f7ffffe, v4
	v_cvt_u32_f32_e32 v7, v4
	s_add_i32 s24, s2, -1
	v_lshl_or_b32 v6, s15, 8, v0
	s_waitcnt lgkmcnt(0)
	v_mov_b32_e32 v0, s5
	v_mov_b32_e32 v9, s4
	s_mov_b32 s10, 0x3fb8aa3b
	s_mov_b32 s20, 0xc2ce8ed0
	;; [unrolled: 1-line block ×4, first 2 shown]
	v_mov_b32_e32 v8, 0x7f800000
	s_mul_hi_i32 s1, s24, s11
	s_cmp_lg_u64 s[0:1], 0
	s_mul_i32 s8, s24, s11
	s_cbranch_scc0 .LBB8_19
.LBB8_9:
	s_add_u32 s2, s22, 0
	s_addc_u32 s3, 0, 0
	s_xor_b64 s[2:3], s[2:3], 0
	v_cvt_f32_u32_e32 v4, s2
	v_cvt_f32_u32_e32 v5, s3
	s_sub_u32 s9, 0, s2
	s_subb_u32 s25, 0, s3
	v_fmac_f32_e32 v4, 0x4f800000, v5
	v_rcp_f32_e32 v4, v4
	s_nop 0
	v_mul_f32_e32 v4, 0x5f7ffffc, v4
	v_mul_f32_e32 v5, 0x2f800000, v4
	v_trunc_f32_e32 v5, v5
	v_fmac_f32_e32 v4, 0xcf800000, v5
	v_cvt_u32_f32_e32 v5, v5
	v_cvt_u32_f32_e32 v4, v4
	v_readfirstlane_b32 s26, v5
	v_readfirstlane_b32 s4, v4
	s_mul_i32 s5, s9, s26
	s_mul_hi_u32 s28, s9, s4
	s_mul_i32 s27, s25, s4
	s_add_i32 s5, s28, s5
	s_mul_i32 s29, s9, s4
	s_add_i32 s5, s5, s27
	s_mul_i32 s28, s4, s5
	s_mul_hi_u32 s30, s4, s29
	s_mul_hi_u32 s27, s4, s5
	s_add_u32 s28, s30, s28
	s_addc_u32 s27, 0, s27
	s_mul_hi_u32 s31, s26, s29
	s_mul_i32 s29, s26, s29
	s_add_u32 s28, s28, s29
	s_mul_hi_u32 s30, s26, s5
	s_addc_u32 s27, s27, s31
	s_addc_u32 s28, s30, 0
	s_mul_i32 s5, s26, s5
	s_add_u32 s5, s27, s5
	s_addc_u32 s27, 0, s28
	s_add_u32 s28, s4, s5
	s_cselect_b64 s[4:5], -1, 0
	s_cmp_lg_u64 s[4:5], 0
	s_addc_u32 s26, s26, s27
	s_mul_i32 s4, s9, s26
	s_mul_hi_u32 s5, s9, s28
	s_add_i32 s4, s5, s4
	s_mul_i32 s25, s25, s28
	s_add_i32 s4, s4, s25
	s_mul_i32 s9, s9, s28
	s_mul_hi_u32 s25, s26, s9
	s_mul_i32 s27, s26, s9
	s_mul_i32 s30, s28, s4
	s_mul_hi_u32 s9, s28, s9
	s_mul_hi_u32 s29, s28, s4
	s_add_u32 s9, s9, s30
	s_addc_u32 s29, 0, s29
	s_add_u32 s9, s9, s27
	s_mul_hi_u32 s5, s26, s4
	s_addc_u32 s9, s29, s25
	s_addc_u32 s5, s5, 0
	s_mul_i32 s4, s26, s4
	s_add_u32 s4, s9, s4
	s_addc_u32 s9, 0, s5
	s_add_u32 s25, s28, s4
	s_cselect_b64 s[4:5], -1, 0
	s_cmp_lg_u64 s[4:5], 0
	s_addc_u32 s9, s26, s9
	s_ashr_i32 s4, s1, 31
	s_add_u32 s26, s8, s4
	s_mov_b32 s5, s4
	s_addc_u32 s27, s1, s4
	s_xor_b64 s[26:27], s[26:27], s[4:5]
	s_mul_i32 s28, s26, s9
	s_mul_hi_u32 s29, s26, s25
	s_mul_hi_u32 s1, s26, s9
	s_add_u32 s28, s29, s28
	s_addc_u32 s1, 0, s1
	s_mul_hi_u32 s30, s27, s25
	s_mul_i32 s25, s27, s25
	s_add_u32 s25, s28, s25
	s_mul_hi_u32 s29, s27, s9
	s_addc_u32 s1, s1, s30
	s_addc_u32 s25, s29, 0
	s_mul_i32 s9, s27, s9
	s_add_u32 s1, s1, s9
	s_addc_u32 s9, 0, s25
	s_mul_i32 s25, s2, s9
	s_mul_hi_u32 s28, s2, s1
	s_add_i32 s25, s28, s25
	s_mul_i32 s28, s3, s1
	s_add_i32 s25, s25, s28
	s_sub_i32 s30, s27, s25
	s_mul_i32 s28, s2, s1
	s_sub_u32 s26, s26, s28
	s_cselect_b64 s[28:29], -1, 0
	s_cmp_lg_u64 s[28:29], 0
	s_subb_u32 s33, s30, s3
	s_sub_u32 s34, s26, s2
	s_cselect_b64 s[30:31], -1, 0
	s_cmp_lg_u64 s[30:31], 0
	s_subb_u32 s30, s33, 0
	s_cmp_ge_u32 s30, s3
	s_cselect_b32 s31, -1, 0
	s_cmp_ge_u32 s34, s2
	s_cselect_b32 s33, -1, 0
	s_cmp_eq_u32 s30, s3
	s_cselect_b32 s30, s33, s31
	s_add_u32 s31, s1, 1
	s_addc_u32 s33, s9, 0
	s_add_u32 s34, s1, 2
	s_addc_u32 s35, s9, 0
	s_cmp_lg_u32 s30, 0
	s_cselect_b32 s30, s34, s31
	s_cselect_b32 s31, s35, s33
	s_cmp_lg_u64 s[28:29], 0
	s_subb_u32 s25, s27, s25
	s_cmp_ge_u32 s25, s3
	s_cselect_b32 s27, -1, 0
	s_cmp_ge_u32 s26, s2
	s_cselect_b32 s2, -1, 0
	s_cmp_eq_u32 s25, s3
	s_cselect_b32 s2, s2, s27
	s_cmp_lg_u32 s2, 0
	s_cselect_b32 s3, s31, s9
	s_cselect_b32 s2, s30, s1
	s_xor_b64 s[4:5], s[4:5], 0
	s_xor_b64 s[2:3], s[2:3], s[4:5]
	s_sub_u32 s4, s2, s4
	s_cbranch_execnz .LBB8_11
.LBB8_10:
	s_sub_i32 s1, 0, s22
	v_readfirstlane_b32 s2, v7
	s_mul_i32 s1, s1, s2
	s_mul_hi_u32 s1, s2, s1
	s_add_i32 s2, s2, s1
	s_mul_hi_u32 s1, s8, s2
	s_mul_i32 s3, s1, s22
	s_sub_i32 s3, s8, s3
	s_add_i32 s2, s1, 1
	s_sub_i32 s4, s3, s22
	s_cmp_ge_u32 s3, s22
	s_cselect_b32 s1, s2, s1
	s_cselect_b32 s3, s4, s3
	s_add_i32 s2, s1, 1
	s_cmp_ge_u32 s3, s22
	s_cselect_b32 s4, s2, s1
.LBB8_11:
	s_cmp_lg_u32 s6, s4
	s_cbranch_scc0 .LBB8_15
; %bb.12:
	s_add_i32 s1, s24, s22
	s_lshl_b32 s1, s1, 4
	s_add_i32 s2, s1, s15
	s_mov_b32 s3, s0
	s_lshl_b64 s[2:3], s[2:3], 3
	s_add_u32 s8, s18, s2
	s_mul_hi_u32 s1, s4, s12
	s_addc_u32 s9, s19, s3
	s_add_i32 s1, s1, s4
	s_lshr_b32 s1, s1, s13
	s_mul_i32 s2, s1, s14
	s_cmp_eq_u32 s2, s4
	s_cselect_b64 s[2:3], -1, 0
	s_cmp_lt_u32 s1, s7
	s_cselect_b64 s[26:27], -1, 0
	s_or_b64 s[26:27], s[26:27], s[2:3]
	s_mov_b64 s[2:3], -1
	s_and_b64 vcc, exec, s[26:27]
	s_mov_b32 s1, s24
	s_mov_b32 s25, s6
	s_cbranch_vccnz .LBB8_14
; %bb.13:
	s_add_i32 s1, s24, -1
	s_mov_b64 s[2:3], 0
	s_mov_b32 s25, s4
.LBB8_14:
	v_lshl_add_u32 v4, s24, 12, v6
	v_ashrrev_i32_e32 v5, 31, v4
	v_lshl_add_u64 v[4:5], v[4:5], 2, s[16:17]
	global_load_dword v5, v[4:5], off
	s_load_dwordx2 s[4:5], s[8:9], 0x0
	v_max_f32_e32 v4, v9, v9
	s_waitcnt lgkmcnt(0)
	v_max_f32_e64 v10, s4, s4
	v_max_f32_e32 v10, v4, v10
	v_sub_f32_e32 v11, v9, v10
	v_sub_f32_e32 v13, s4, v10
	v_mul_f32_e32 v4, 0x3fb8aa3b, v11
	v_mul_f32_e32 v12, 0x3fb8aa3b, v13
	v_fma_f32 v14, v11, s10, -v4
	v_rndne_f32_e32 v15, v4
	v_fma_f32 v16, v13, s10, -v12
	v_rndne_f32_e32 v17, v12
	v_fmac_f32_e32 v14, 0x32a5705f, v11
	v_sub_f32_e32 v4, v4, v15
	v_fmac_f32_e32 v16, 0x32a5705f, v13
	v_sub_f32_e32 v12, v12, v17
	v_add_f32_e32 v4, v4, v14
	v_cvt_i32_f32_e32 v15, v15
	v_add_f32_e32 v12, v12, v16
	v_exp_f32_e32 v14, v4
	v_cvt_i32_f32_e32 v17, v17
	v_exp_f32_e32 v12, v12
	v_cmp_ngt_f32_e32 vcc, s20, v11
	v_ldexp_f32 v14, v14, v15
	v_mov_b32_e32 v4, s5
	v_ldexp_f32 v12, v12, v17
	v_cndmask_b32_e32 v14, 0, v14, vcc
	v_cmp_ngt_f32_e32 vcc, s20, v13
	s_nop 1
	v_cndmask_b32_e32 v12, 0, v12, vcc
	v_cmp_nlt_f32_e32 vcc, s21, v11
	s_nop 1
	v_cndmask_b32_e32 v14, v8, v14, vcc
	v_cmp_nlt_f32_e32 vcc, s21, v13
	s_nop 1
	v_cndmask_b32_e32 v15, v8, v12, vcc
	v_cmp_le_f32_e32 vcc, s23, v11
	s_nop 1
	v_cndmask_b32_e32 v12, 0, v14, vcc
	v_cmp_le_f32_e32 vcc, s23, v13
	s_nop 1
	v_cndmask_b32_e32 v14, 0, v15, vcc
	s_waitcnt vmcnt(0)
	v_pk_mul_f32 v[4:5], v[4:5], v[14:15] op_sel_hi:[1,0]
	s_nop 0
	v_pk_fma_f32 v[4:5], v[0:1], v[12:13], v[4:5] op_sel_hi:[1,0,1]
	s_cbranch_execz .LBB8_16
	s_branch .LBB8_17
.LBB8_15:
                                        ; implicit-def: $vgpr4_vgpr5
                                        ; implicit-def: $sgpr2_sgpr3
                                        ; implicit-def: $vgpr10
                                        ; implicit-def: $sgpr1
                                        ; implicit-def: $sgpr25
.LBB8_16:
	s_add_i32 s1, s24, -1
	s_mov_b64 s[2:3], 0
	s_mov_b32 s25, s6
	v_mov_b32_e32 v10, v9
	s_waitcnt vmcnt(0)
	v_mov_b64_e32 v[4:5], v[0:1]
.LBB8_17:
	s_andn2_b64 vcc, exec, s[2:3]
	s_cbranch_vccz .LBB8_22
; %bb.18:
	s_mov_b32 s6, s25
	s_mov_b32 s24, s1
	v_mov_b32_e32 v9, v10
	s_waitcnt vmcnt(0)
	v_mov_b64_e32 v[0:1], v[4:5]
	s_mul_hi_i32 s1, s24, s11
	s_cmp_lg_u64 s[0:1], 0
	s_mul_i32 s8, s24, s11
	s_cbranch_scc1 .LBB8_9
.LBB8_19:
                                        ; implicit-def: $sgpr4_sgpr5
	s_branch .LBB8_10
.LBB8_20:
                                        ; implicit-def: $sgpr6_sgpr7
	s_load_dwordx4 s[12:15], s[0:1], 0x44
	s_branch .LBB8_2
.LBB8_21:
                                        ; implicit-def: $sgpr18_sgpr19
	s_branch .LBB8_5
.LBB8_22:
	v_div_scale_f32 v0, s[0:1], v4, v4, v5
	s_waitcnt vmcnt(0)
	v_rcp_f32_e32 v1, v0
	v_div_scale_f32 v6, vcc, v5, v4, v5
	v_fma_f32 v7, -v0, v1, 1.0
	v_fmac_f32_e32 v1, v7, v1
	v_mul_f32_e32 v7, v6, v1
	v_fma_f32 v8, -v0, v7, v6
	v_fmac_f32_e32 v7, v8, v1
	v_fma_f32 v0, -v0, v7, v6
	v_div_fmas_f32 v0, v0, v1, v7
	v_div_fixup_f32 v0, v0, v4, v5
	global_store_dword v[2:3], v0, off
.LBB8_23:
	s_endpgm
	.section	.rodata,"a",@progbits
	.p2align	6, 0x0
	.amdhsa_kernel _ZL33flash_attn_stream_k_fixup_generalILi256ELi2ELi8EEvPfPK15HIP_vector_typeIfLj2EEiiiiS1_IjLj3EES5_S5_S5_
		.amdhsa_group_segment_fixed_size 0
		.amdhsa_private_segment_fixed_size 0
		.amdhsa_kernarg_size 336
		.amdhsa_user_sgpr_count 2
		.amdhsa_user_sgpr_dispatch_ptr 0
		.amdhsa_user_sgpr_queue_ptr 0
		.amdhsa_user_sgpr_kernarg_segment_ptr 1
		.amdhsa_user_sgpr_dispatch_id 0
		.amdhsa_user_sgpr_kernarg_preload_length 0
		.amdhsa_user_sgpr_kernarg_preload_offset 0
		.amdhsa_user_sgpr_private_segment_size 0
		.amdhsa_uses_dynamic_stack 0
		.amdhsa_enable_private_segment 0
		.amdhsa_system_sgpr_workgroup_id_x 1
		.amdhsa_system_sgpr_workgroup_id_y 1
		.amdhsa_system_sgpr_workgroup_id_z 1
		.amdhsa_system_sgpr_workgroup_info 0
		.amdhsa_system_vgpr_workitem_id 0
		.amdhsa_next_free_vgpr 18
		.amdhsa_next_free_sgpr 36
		.amdhsa_accum_offset 20
		.amdhsa_reserve_vcc 1
		.amdhsa_float_round_mode_32 0
		.amdhsa_float_round_mode_16_64 0
		.amdhsa_float_denorm_mode_32 3
		.amdhsa_float_denorm_mode_16_64 3
		.amdhsa_dx10_clamp 1
		.amdhsa_ieee_mode 1
		.amdhsa_fp16_overflow 0
		.amdhsa_tg_split 0
		.amdhsa_exception_fp_ieee_invalid_op 0
		.amdhsa_exception_fp_denorm_src 0
		.amdhsa_exception_fp_ieee_div_zero 0
		.amdhsa_exception_fp_ieee_overflow 0
		.amdhsa_exception_fp_ieee_underflow 0
		.amdhsa_exception_fp_ieee_inexact 0
		.amdhsa_exception_int_div_zero 0
	.end_amdhsa_kernel
	.section	.text._ZL33flash_attn_stream_k_fixup_generalILi256ELi2ELi8EEvPfPK15HIP_vector_typeIfLj2EEiiiiS1_IjLj3EES5_S5_S5_,"axG",@progbits,_ZL33flash_attn_stream_k_fixup_generalILi256ELi2ELi8EEvPfPK15HIP_vector_typeIfLj2EEiiiiS1_IjLj3EES5_S5_S5_,comdat
.Lfunc_end8:
	.size	_ZL33flash_attn_stream_k_fixup_generalILi256ELi2ELi8EEvPfPK15HIP_vector_typeIfLj2EEiiiiS1_IjLj3EES5_S5_S5_, .Lfunc_end8-_ZL33flash_attn_stream_k_fixup_generalILi256ELi2ELi8EEvPfPK15HIP_vector_typeIfLj2EEiiiiS1_IjLj3EES5_S5_S5_
                                        ; -- End function
	.set _ZL33flash_attn_stream_k_fixup_generalILi256ELi2ELi8EEvPfPK15HIP_vector_typeIfLj2EEiiiiS1_IjLj3EES5_S5_S5_.num_vgpr, 18
	.set _ZL33flash_attn_stream_k_fixup_generalILi256ELi2ELi8EEvPfPK15HIP_vector_typeIfLj2EEiiiiS1_IjLj3EES5_S5_S5_.num_agpr, 0
	.set _ZL33flash_attn_stream_k_fixup_generalILi256ELi2ELi8EEvPfPK15HIP_vector_typeIfLj2EEiiiiS1_IjLj3EES5_S5_S5_.numbered_sgpr, 36
	.set _ZL33flash_attn_stream_k_fixup_generalILi256ELi2ELi8EEvPfPK15HIP_vector_typeIfLj2EEiiiiS1_IjLj3EES5_S5_S5_.num_named_barrier, 0
	.set _ZL33flash_attn_stream_k_fixup_generalILi256ELi2ELi8EEvPfPK15HIP_vector_typeIfLj2EEiiiiS1_IjLj3EES5_S5_S5_.private_seg_size, 0
	.set _ZL33flash_attn_stream_k_fixup_generalILi256ELi2ELi8EEvPfPK15HIP_vector_typeIfLj2EEiiiiS1_IjLj3EES5_S5_S5_.uses_vcc, 1
	.set _ZL33flash_attn_stream_k_fixup_generalILi256ELi2ELi8EEvPfPK15HIP_vector_typeIfLj2EEiiiiS1_IjLj3EES5_S5_S5_.uses_flat_scratch, 0
	.set _ZL33flash_attn_stream_k_fixup_generalILi256ELi2ELi8EEvPfPK15HIP_vector_typeIfLj2EEiiiiS1_IjLj3EES5_S5_S5_.has_dyn_sized_stack, 0
	.set _ZL33flash_attn_stream_k_fixup_generalILi256ELi2ELi8EEvPfPK15HIP_vector_typeIfLj2EEiiiiS1_IjLj3EES5_S5_S5_.has_recursion, 0
	.set _ZL33flash_attn_stream_k_fixup_generalILi256ELi2ELi8EEvPfPK15HIP_vector_typeIfLj2EEiiiiS1_IjLj3EES5_S5_S5_.has_indirect_call, 0
	.section	.AMDGPU.csdata,"",@progbits
; Kernel info:
; codeLenInByte = 2940
; TotalNumSgprs: 42
; NumVgprs: 18
; NumAgprs: 0
; TotalNumVgprs: 18
; ScratchSize: 0
; MemoryBound: 0
; FloatMode: 240
; IeeeMode: 1
; LDSByteSize: 0 bytes/workgroup (compile time only)
; SGPRBlocks: 5
; VGPRBlocks: 2
; NumSGPRsForWavesPerEU: 42
; NumVGPRsForWavesPerEU: 18
; AccumOffset: 20
; Occupancy: 8
; WaveLimiterHint : 0
; COMPUTE_PGM_RSRC2:SCRATCH_EN: 0
; COMPUTE_PGM_RSRC2:USER_SGPR: 2
; COMPUTE_PGM_RSRC2:TRAP_HANDLER: 0
; COMPUTE_PGM_RSRC2:TGID_X_EN: 1
; COMPUTE_PGM_RSRC2:TGID_Y_EN: 1
; COMPUTE_PGM_RSRC2:TGID_Z_EN: 1
; COMPUTE_PGM_RSRC2:TIDIG_COMP_CNT: 0
; COMPUTE_PGM_RSRC3_GFX90A:ACCUM_OFFSET: 4
; COMPUTE_PGM_RSRC3_GFX90A:TG_SPLIT: 0
	.section	.text._ZL15flash_attn_tileILi256ELi256ELi1ELi8ELb0EEvPKcS1_S1_S1_S1_PKiPfP15HIP_vector_typeIfLj2EEffffjfiS5_IjLj3EEiiiiiiiiiiiliiliiiiil,"axG",@progbits,_ZL15flash_attn_tileILi256ELi256ELi1ELi8ELb0EEvPKcS1_S1_S1_S1_PKiPfP15HIP_vector_typeIfLj2EEffffjfiS5_IjLj3EEiiiiiiiiiiiliiliiiiil,comdat
	.globl	_ZL15flash_attn_tileILi256ELi256ELi1ELi8ELb0EEvPKcS1_S1_S1_S1_PKiPfP15HIP_vector_typeIfLj2EEffffjfiS5_IjLj3EEiiiiiiiiiiiliiliiiiil ; -- Begin function _ZL15flash_attn_tileILi256ELi256ELi1ELi8ELb0EEvPKcS1_S1_S1_S1_PKiPfP15HIP_vector_typeIfLj2EEffffjfiS5_IjLj3EEiiiiiiiiiiiliiliiiiil
	.p2align	8
	.type	_ZL15flash_attn_tileILi256ELi256ELi1ELi8ELb0EEvPKcS1_S1_S1_S1_PKiPfP15HIP_vector_typeIfLj2EEffffjfiS5_IjLj3EEiiiiiiiiiiiliiliiiiil,@function
_ZL15flash_attn_tileILi256ELi256ELi1ELi8ELb0EEvPKcS1_S1_S1_S1_PKiPfP15HIP_vector_typeIfLj2EEffffjfiS5_IjLj3EEiiiiiiiiiiiliiliiiiil: ; @_ZL15flash_attn_tileILi256ELi256ELi1ELi8ELb0EEvPKcS1_S1_S1_S1_PKiPfP15HIP_vector_typeIfLj2EEffffjfiS5_IjLj3EEiiiiiiiiiiiliiliiiiil
; %bb.0:
	s_load_dwordx4 s[20:23], s[0:1], 0x5c
	s_load_dwordx2 s[28:29], s[0:1], 0x80
	s_load_dwordx2 s[34:35], s[0:1], 0xb8
	s_mov_b64 s[30:31], 0
	s_waitcnt lgkmcnt(0)
	s_ashr_i32 s5, s23, 31
	s_lshr_b32 s5, s5, 29
	s_add_i32 s5, s23, s5
	s_ashr_i32 s5, s5, 3
	v_cvt_f32_u32_e32 v1, s5
	s_sub_i32 s6, 0, s5
	v_rcp_iflag_f32_e32 v1, v1
	s_nop 0
	v_mul_f32_e32 v1, 0x4f7ffffe, v1
	v_cvt_u32_f32_e32 v1, v1
	s_nop 0
	v_readfirstlane_b32 s7, v1
	s_mul_i32 s6, s6, s7
	s_mul_hi_u32 s6, s7, s6
	s_add_i32 s7, s7, s6
	s_mul_hi_u32 s6, s4, s7
	s_mul_i32 s7, s6, s5
	s_sub_i32 s7, s4, s7
	s_add_i32 s8, s6, 1
	s_sub_i32 s9, s7, s5
	s_cmp_ge_u32 s7, s5
	s_cselect_b32 s6, s8, s6
	s_cselect_b32 s7, s9, s7
	s_add_i32 s8, s6, 1
	s_cmp_ge_u32 s7, s5
	s_cselect_b32 s33, s8, s6
	s_abs_i32 s5, s29
	v_cvt_f32_u32_e32 v1, s5
	s_lshl_b32 s4, s4, 3
	s_mul_i32 s8, s33, s23
	s_xor_b32 s6, s23, s29
	v_rcp_iflag_f32_e32 v1, v1
	s_sub_i32 s9, 0, s5
	s_sub_i32 s29, s4, s8
	s_abs_i32 s7, s23
	v_mul_f32_e32 v1, 0x4f7ffffe, v1
	v_cvt_u32_f32_e32 v1, v1
	s_ashr_i32 s6, s6, 31
	v_readfirstlane_b32 s4, v1
	s_mul_i32 s9, s9, s4
	s_mul_hi_u32 s8, s4, s9
	s_add_i32 s4, s4, s8
	s_mul_hi_u32 s4, s7, s4
	s_mul_i32 s8, s4, s5
	s_sub_i32 s7, s7, s8
	s_add_i32 s9, s4, 1
	s_sub_i32 s8, s7, s5
	s_cmp_ge_u32 s7, s5
	s_cselect_b32 s4, s9, s4
	s_cselect_b32 s7, s8, s7
	s_add_i32 s8, s4, 1
	s_cmp_ge_u32 s7, s5
	s_cselect_b32 s4, s8, s4
	s_xor_b32 s4, s4, s6
	s_sub_i32 s37, s4, s6
	s_abs_i32 s36, s37
	v_cvt_f32_u32_e32 v1, s36
	s_load_dwordx16 s[4:19], s[0:1], 0x0
	v_rcp_iflag_f32_e32 v1, v1
	s_waitcnt lgkmcnt(0)
	s_cmp_eq_u64 s[10:11], 0
	v_mul_f32_e32 v1, 0x4f7ffffe, v1
	v_cvt_u32_f32_e32 v1, v1
	s_nop 0
	v_readfirstlane_b32 s38, v1
	s_cbranch_scc1 .LBB9_2
; %bb.1:
	s_abs_i32 s26, s34
	v_cvt_f32_u32_e32 v1, s26
	s_sub_i32 s31, 0, s26
	s_abs_i32 s30, s33
	s_ashr_i32 s27, s33, 31
	v_rcp_iflag_f32_e32 v1, v1
	s_load_dwordx2 s[24:25], s[0:1], 0xc8
	v_mul_f32_e32 v1, 0x4f7ffffe, v1
	v_cvt_u32_f32_e32 v1, v1
	s_nop 0
	v_readfirstlane_b32 s34, v1
	s_mul_i32 s31, s31, s34
	s_mul_hi_u32 s31, s34, s31
	s_add_i32 s34, s34, s31
	s_mul_hi_u32 s31, s30, s34
	s_mul_i32 s31, s31, s26
	s_sub_i32 s30, s30, s31
	s_sub_i32 s31, s30, s26
	s_cmp_ge_u32 s30, s26
	s_cselect_b32 s30, s31, s30
	s_sub_i32 s31, s30, s26
	s_cmp_ge_u32 s30, s26
	s_cselect_b32 s26, s31, s30
	s_xor_b32 s26, s26, s27
	s_sub_i32 s26, s26, s27
	s_ashr_i32 s27, s26, 31
	s_waitcnt lgkmcnt(0)
	s_mul_hi_u32 s30, s24, s26
	s_mul_i32 s27, s24, s27
	s_mul_i32 s25, s25, s26
	s_add_i32 s27, s30, s27
	s_add_i32 s27, s27, s25
	s_mul_i32 s24, s24, s26
	s_add_u32 s30, s10, s24
	s_addc_u32 s31, s11, s27
.LBB9_2:
	s_load_dwordx4 s[24:27], s[0:1], 0x70
	v_bfe_u32 v43, v0, 10, 3
	v_lshrrev_b32_e32 v1, 10, v0
	v_bfe_u32 v1, v1, 3, 7
	s_waitcnt lgkmcnt(0)
	s_mul_i32 s10, s33, s26
	s_ashr_i32 s26, s10, 31
	s_mul_i32 s11, s29, s25
	s_add_u32 s4, s4, s10
	s_addc_u32 s5, s5, s26
	s_ashr_i32 s10, s11, 31
	s_add_u32 s4, s4, s11
	s_addc_u32 s5, s5, s10
	s_ashr_i32 s11, s25, 31
	s_mov_b32 s10, s25
	s_lshr_b64 s[26:27], s[10:11], 2
	s_lshr_b32 s25, s11, 2
	v_mad_u64_u32 v[4:5], s[10:11], s26, v43, 0
	v_mov_b32_e32 v2, v5
	v_mad_u64_u32 v[2:3], s[10:11], s25, v43, v[2:3]
	v_add_u32_e32 v3, s2, v1
	v_mul_hi_u32 v1, s20, v3
	v_add_u32_e32 v1, v3, v1
	v_lshrrev_b32_e32 v1, s21, v1
	v_mul_lo_u32 v1, v1, s22
	s_ashr_i32 s25, s24, 31
	v_sub_u32_e32 v12, v3, v1
	s_lshr_b64 s[10:11], s[24:25], 2
	v_mad_u64_u32 v[6:7], s[10:11], s10, v12, 0
	v_mov_b32_e32 v5, v2
	v_mov_b32_e32 v2, v7
	s_lshr_b32 s10, s25, 2
	v_mad_u64_u32 v[8:9], s[10:11], s10, v12, v[2:3]
	v_mov_b32_e32 v7, v8
	v_and_b32_e32 v2, 0x3ff, v0
	v_lshl_add_u64 v[4:5], v[4:5], 2, s[4:5]
	v_mov_b32_e32 v9, 0
	v_lshl_add_u64 v[4:5], v[6:7], 2, v[4:5]
	v_lshlrev_b32_e32 v8, 4, v2
	v_lshl_add_u64 v[14:15], v[4:5], 0, v[8:9]
	global_load_dwordx4 v[4:7], v[14:15], off
	global_load_dwordx4 v[8:11], v[14:15], off offset:512
	s_load_dword s4, s[0:1], 0x40
	v_bfe_u32 v0, v0, 10, 10
	v_lshlrev_b32_e32 v15, 9, v0
	v_lshlrev_b32_e32 v44, 3, v2
	v_add_u32_e32 v45, 0x4400, v15
	v_add_u32_e32 v1, v45, v44
	s_cmp_eq_u64 s[14:15], 0
	s_waitcnt vmcnt(1) lgkmcnt(0)
	v_fma_mixlo_f16 v4, s4, v4, 0
	v_fma_mixlo_f16 v5, s4, v5, 0
	;; [unrolled: 1-line block ×4, first 2 shown]
	s_waitcnt vmcnt(0)
	v_fma_mixlo_f16 v8, s4, v8, 0
	v_fma_mixlo_f16 v9, s4, v9, 0
	;; [unrolled: 1-line block ×4, first 2 shown]
	v_lshlrev_b32_e32 v5, 16, v5
	v_and_b32_e32 v4, 0xffff, v4
	v_lshlrev_b32_e32 v7, 16, v7
	v_and_b32_e32 v6, 0xffff, v6
	v_lshlrev_b32_e32 v9, 16, v9
	v_and_b32_e32 v8, 0xffff, v8
	v_lshlrev_b32_e32 v11, 16, v11
	v_and_b32_e32 v10, 0xffff, v10
	v_or_b32_e32 v4, v5, v4
	v_or3_b32 v5, v7, v6, 0
	v_or_b32_e32 v6, v9, v8
	v_or3_b32 v7, v11, v10, 0
	v_or3_b32 v4, 0, 0, v4
	;; [unrolled: 1-line block ×3, first 2 shown]
	ds_write2_b64 v1, v[4:5], v[6:7] offset1:32
	s_waitcnt lgkmcnt(0)
	s_barrier
	s_cbranch_scc1 .LBB9_4
; %bb.3:
	s_load_dword s4, s[0:1], 0xd0
	s_mov_b32 s5, 0
	s_waitcnt lgkmcnt(0)
	s_mul_i32 s4, s4, s33
	s_add_i32 s4, s4, s2
	s_lshl_b64 s[4:5], s[4:5], 2
	s_add_u32 s4, s14, s4
	s_addc_u32 s5, s15, s5
	s_load_dword s28, s[4:5], 0x0
.LBB9_4:
	s_lshl_b32 s2, s3, 6
	v_lshlrev_b32_e32 v42, 2, v2
	s_waitcnt lgkmcnt(0)
	s_cmp_lt_i32 s2, s28
	v_mbcnt_lo_u32_b32 v16, -1, 0
	s_cbranch_scc1 .LBB9_7
; %bb.5:
	v_mbcnt_hi_u32_b32 v13, -1, v16
	v_and_b32_e32 v1, 0x60, v13
	v_add_u32_e32 v46, 32, v1
	v_xor_b32_e32 v51, 16, v13
	v_xor_b32_e32 v50, 8, v13
	;; [unrolled: 1-line block ×5, first 2 shown]
	s_cbranch_execz .LBB9_8
; %bb.6:
	v_mov_b32_e32 v74, 0
	v_mov_b32_e32 v25, 0
	;; [unrolled: 1-line block ×6, first 2 shown]
	s_branch .LBB9_10
.LBB9_7:
                                        ; implicit-def: $vgpr13
                                        ; implicit-def: $vgpr46
                                        ; implicit-def: $vgpr51
                                        ; implicit-def: $vgpr50
                                        ; implicit-def: $vgpr49
                                        ; implicit-def: $vgpr47
                                        ; implicit-def: $vgpr48
.LBB9_8:
	s_sub_i32 s4, 0, s36
	s_mul_i32 s4, s4, s38
	s_mul_hi_u32 s4, s38, s4
	s_add_i32 s38, s38, s4
	s_load_dwordx2 s[4:5], s[0:1], 0x8c
	s_load_dwordx4 s[24:27], s[0:1], 0x98
	s_abs_i32 s14, s29
	s_mul_hi_u32 s15, s14, s38
	s_ashr_i32 s34, s29, 31
	s_waitcnt lgkmcnt(0)
	s_ashr_i32 s11, s4, 2
	s_ashr_i32 s4, s33, 31
	;; [unrolled: 1-line block ×4, first 2 shown]
	s_mul_hi_u32 s35, s24, s33
	s_mul_i32 s38, s24, s4
	s_add_i32 s35, s35, s38
	s_mul_i32 s25, s25, s33
	s_ashr_i32 s37, s37, 31
	s_add_i32 s35, s35, s25
	s_mul_i32 s24, s24, s33
	s_add_u32 s6, s6, s24
	s_mul_i32 s25, s15, s36
	s_addc_u32 s7, s7, s35
	s_sub_i32 s14, s14, s25
	s_xor_b32 s24, s34, s37
	s_add_i32 s25, s15, 1
	s_sub_i32 s34, s14, s36
	s_cmp_ge_u32 s14, s36
	s_cselect_b32 s15, s25, s15
	s_cselect_b32 s14, s34, s14
	s_add_i32 s25, s15, 1
	s_cmp_ge_u32 s14, s36
	s_load_dwordx2 s[20:21], s[0:1], 0xa8
	s_cselect_b32 s14, s25, s15
	s_xor_b32 s14, s14, s24
	s_sub_i32 s24, s14, s24
	s_mul_i32 s5, s24, s5
	s_ashr_i32 s15, s5, 31
	s_add_u32 s14, s6, s5
	s_waitcnt lgkmcnt(0)
	s_mul_hi_u32 s5, s20, s33
	s_mul_i32 s4, s20, s4
	s_addc_u32 s15, s7, s15
	s_add_i32 s4, s5, s4
	s_mul_i32 s5, s21, s33
	s_add_i32 s4, s4, s5
	s_mul_i32 s5, s20, s33
	s_add_u32 s5, s8, s5
	s_mul_i32 s24, s24, s27
	s_addc_u32 s4, s9, s4
	s_ashr_i32 s6, s24, 31
	s_add_u32 s20, s5, s24
	v_lshrrev_b32_e32 v1, 4, v2
	v_and_b32_e32 v18, 60, v42
	s_addc_u32 s21, s4, s6
	v_lshl_add_u32 v4, v0, 1, v1
	v_lshlrev_b32_e32 v5, 2, v18
	s_movk_i32 s4, 0x110
	v_mad_u32_u24 v52, v4, s4, v5
	v_mul_lo_u32 v4, s11, v4
	s_lshl_b32 s4, s11, 4
	v_add_u32_e32 v6, s4, v4
	v_add_u32_e32 v8, s4, v6
	;; [unrolled: 1-line block ×3, first 2 shown]
	v_mad_u64_u32 v[12:13], s[4:5], v12, s26, v[2:3]
	v_mul_lo_u32 v20, s10, v0
	s_lshl_b32 s4, s10, 3
	v_add_u32_e32 v22, s4, v20
	v_mov_b32_e32 v13, 0x5400
	v_add_u32_e32 v26, s4, v22
	v_lshl_add_u32 v57, v0, 7, v13
	v_lshlrev_b32_e32 v14, 2, v42
	v_add_u32_e32 v28, s4, v26
	v_mbcnt_hi_u32_b32 v13, -1, v16
	v_mov_b32_e32 v1, 0
	v_add_u32_e32 v59, v15, v14
	v_ashrrev_i32_e32 v21, 31, v20
	v_lshl_add_u32 v0, v0, 9, v14
	v_ashrrev_i32_e32 v23, 31, v22
	v_ashrrev_i32_e32 v27, 31, v26
	;; [unrolled: 1-line block ×3, first 2 shown]
	s_add_u32 s8, s0, 0xd0
	v_and_b32_e32 v15, 0x60, v13
	v_ashrrev_i32_e32 v5, 31, v4
	v_add_u32_e32 v53, 0x1100, v52
	v_ashrrev_i32_e32 v7, 31, v6
	v_add_u32_e32 v54, 0x2200, v52
	v_ashrrev_i32_e32 v9, 31, v8
	v_add_u32_e32 v55, 0x3300, v52
	v_ashrrev_i32_e32 v11, 31, v10
	v_mul_u32_u24_e32 v56, 0x110, v2
	v_lshl_add_u32 v58, v2, 1, v57
	v_add_u32_e32 v60, 0x1000, v0
	v_add_u32_e32 v61, 0x2000, v0
	;; [unrolled: 1-line block ×3, first 2 shown]
	s_addc_u32 s9, s1, 0
	v_mov_b32_e32 v24, 0xfeffffff
	v_lshlrev_b32_e32 v0, 2, v18
	v_add_u32_e32 v46, 32, v15
	v_xor_b32_e32 v51, 16, v13
	v_xor_b32_e32 v50, 8, v13
	;; [unrolled: 1-line block ×5, first 2 shown]
	s_mov_b32 s24, 0x3fb8aa3b
	s_mov_b32 s25, 0xc2ce8ed0
	;; [unrolled: 1-line block ×3, first 2 shown]
	v_mov_b32_e32 v63, 0x7f800000
	s_mov_b32 s27, 0x10001
	v_lshlrev_b64 v[16:17], 2, v[20:21]
	v_mov_b32_e32 v15, v1
	v_lshlrev_b64 v[18:19], 2, v[22:23]
	v_lshlrev_b64 v[20:21], 2, v[26:27]
	;; [unrolled: 1-line block ×3, first 2 shown]
	v_add_u32_e32 v64, 0x800, v44
	v_add_u32_e32 v65, 0x1000, v44
	;; [unrolled: 1-line block ×7, first 2 shown]
	v_mov_b32_e32 v71, v1
	v_mov_b32_e32 v72, v1
	;; [unrolled: 1-line block ×5, first 2 shown]
.LBB9_9:                                ; =>This Inner Loop Header: Depth=1
	v_cmp_lt_i32_e32 vcc, v51, v46
	s_mul_hi_i32 s5, s2, s11
	s_mul_i32 s4, s2, s11
	v_cndmask_b32_e32 v26, v13, v51, vcc
	v_cmp_lt_i32_e32 vcc, v50, v46
	s_lshl_b64 s[4:5], s[4:5], 2
	s_add_u32 s4, s14, s4
	v_cndmask_b32_e32 v27, v13, v50, vcc
	v_cmp_lt_i32_e32 vcc, v49, v46
	s_addc_u32 s5, s15, s5
	v_lshlrev_b32_e32 v83, 2, v26
	v_cndmask_b32_e32 v28, v13, v49, vcc
	v_cmp_lt_i32_e32 vcc, v47, v46
	v_lshlrev_b32_e32 v82, 2, v27
	v_lshl_add_u64 v[26:27], v[4:5], 2, s[4:5]
	v_cndmask_b32_e32 v29, v13, v47, vcc
	v_cmp_lt_i32_e32 vcc, v48, v46
	v_lshlrev_b32_e32 v81, 2, v28
	v_lshlrev_b32_e32 v80, 2, v29
	v_cndmask_b32_e32 v30, v13, v48, vcc
	v_lshlrev_b32_e32 v79, 2, v30
	v_lshl_add_u64 v[28:29], v[6:7], 2, s[4:5]
	v_lshl_add_u64 v[30:31], v[8:9], 2, s[4:5]
	;; [unrolled: 1-line block ×7, first 2 shown]
	global_load_dwordx4 v[26:29], v[38:39], off
	global_load_dwordx4 v[30:33], v[40:41], off
	;; [unrolled: 1-line block ×4, first 2 shown]
	v_mov_b32_e32 v75, 0
	v_mov_b32_e32 v76, 0
	;; [unrolled: 1-line block ×3, first 2 shown]
	v_add_u32_e32 v24, s2, v12
	v_mov_b32_e32 v78, v25
	v_ashrrev_i32_e32 v25, 31, v24
	v_lshl_add_u64 v[24:25], v[24:25], 1, s[30:31]
	s_mul_hi_i32 s7, s2, s10
	s_mul_i32 s6, s2, s10
	s_lshl_b64 s[6:7], s[6:7], 2
	s_add_u32 s4, s20, s6
	s_addc_u32 s5, s21, s7
	s_or_b32 s6, s2, 32
	v_lshl_add_u64 v[92:93], s[4:5], 0, v[16:17]
	v_lshl_add_u64 v[94:95], s[4:5], 0, v[18:19]
	;; [unrolled: 1-line block ×3, first 2 shown]
	s_waitcnt vmcnt(3)
	ds_write_b128 v52, v[26:29]
	s_waitcnt vmcnt(2)
	ds_write_b128 v53, v[30:33]
	;; [unrolled: 2-line block ×4, first 2 shown]
	s_waitcnt lgkmcnt(0)
	s_barrier
	ds_read_b128 v[26:29], v56
	ds_read_b128 v[30:33], v45
	ds_read_b128 v[84:87], v56 offset:8704
	s_waitcnt lgkmcnt(1)
	;;#ASMSTART
	v_dot2_f32_f16 v75, v26, v30, v75
	;;#ASMEND
	s_nop 0
	;;#ASMSTART
	v_dot2_f32_f16 v75, v27, v31, v75
	;;#ASMEND
	s_nop 0
	;;#ASMSTART
	v_dot2_f32_f16 v75, v28, v32, v75
	;;#ASMEND
	s_nop 0
	;;#ASMSTART
	v_dot2_f32_f16 v75, v29, v33, v75
	;;#ASMEND
	s_waitcnt lgkmcnt(0)
	;;#ASMSTART
	v_dot2_f32_f16 v76, v84, v30, v76
	;;#ASMEND
	s_nop 0
	;;#ASMSTART
	v_dot2_f32_f16 v76, v85, v31, v76
	;;#ASMEND
	s_nop 0
	;;#ASMSTART
	v_dot2_f32_f16 v76, v86, v32, v76
	;;#ASMEND
	s_nop 0
	;;#ASMSTART
	v_dot2_f32_f16 v76, v87, v33, v76
	;;#ASMEND
	ds_read_b128 v[26:29], v56 offset:16
	ds_read_b128 v[30:33], v45 offset:16
	ds_read_b128 v[84:87], v56 offset:8720
	s_waitcnt lgkmcnt(1)
	;;#ASMSTART
	v_dot2_f32_f16 v75, v26, v30, v75
	;;#ASMEND
	s_nop 0
	;;#ASMSTART
	v_dot2_f32_f16 v75, v27, v31, v75
	;;#ASMEND
	s_nop 0
	;;#ASMSTART
	v_dot2_f32_f16 v75, v28, v32, v75
	;;#ASMEND
	s_nop 0
	;;#ASMSTART
	v_dot2_f32_f16 v75, v29, v33, v75
	;;#ASMEND
	s_waitcnt lgkmcnt(0)
	;;#ASMSTART
	v_dot2_f32_f16 v76, v84, v30, v76
	;;#ASMEND
	s_nop 0
	;;#ASMSTART
	v_dot2_f32_f16 v76, v85, v31, v76
	;;#ASMEND
	s_nop 0
	;;#ASMSTART
	v_dot2_f32_f16 v76, v86, v32, v76
	;;#ASMEND
	s_nop 0
	;;#ASMSTART
	v_dot2_f32_f16 v76, v87, v33, v76
	;;#ASMEND
	ds_read_b128 v[26:29], v56 offset:32
	ds_read_b128 v[30:33], v45 offset:32
	ds_read_b128 v[84:87], v56 offset:8736
	s_waitcnt lgkmcnt(1)
	;;#ASMSTART
	v_dot2_f32_f16 v75, v26, v30, v75
	;;#ASMEND
	s_nop 0
	;;#ASMSTART
	v_dot2_f32_f16 v75, v27, v31, v75
	;;#ASMEND
	s_nop 0
	;;#ASMSTART
	v_dot2_f32_f16 v75, v28, v32, v75
	;;#ASMEND
	s_nop 0
	;;#ASMSTART
	v_dot2_f32_f16 v75, v29, v33, v75
	;;#ASMEND
	s_waitcnt lgkmcnt(0)
	;;#ASMSTART
	v_dot2_f32_f16 v76, v84, v30, v76
	;;#ASMEND
	s_nop 0
	;;#ASMSTART
	v_dot2_f32_f16 v76, v85, v31, v76
	;;#ASMEND
	s_nop 0
	;;#ASMSTART
	v_dot2_f32_f16 v76, v86, v32, v76
	;;#ASMEND
	s_nop 0
	;;#ASMSTART
	v_dot2_f32_f16 v76, v87, v33, v76
	;;#ASMEND
	ds_read_b128 v[26:29], v56 offset:48
	ds_read_b128 v[30:33], v45 offset:48
	ds_read_b128 v[84:87], v56 offset:8752
	s_waitcnt lgkmcnt(1)
	;;#ASMSTART
	v_dot2_f32_f16 v75, v26, v30, v75
	;;#ASMEND
	s_nop 0
	;;#ASMSTART
	v_dot2_f32_f16 v75, v27, v31, v75
	;;#ASMEND
	s_nop 0
	;;#ASMSTART
	v_dot2_f32_f16 v75, v28, v32, v75
	;;#ASMEND
	s_nop 0
	;;#ASMSTART
	v_dot2_f32_f16 v75, v29, v33, v75
	;;#ASMEND
	s_waitcnt lgkmcnt(0)
	;;#ASMSTART
	v_dot2_f32_f16 v76, v84, v30, v76
	;;#ASMEND
	s_nop 0
	;;#ASMSTART
	v_dot2_f32_f16 v76, v85, v31, v76
	;;#ASMEND
	s_nop 0
	;;#ASMSTART
	v_dot2_f32_f16 v76, v86, v32, v76
	;;#ASMEND
	s_nop 0
	;;#ASMSTART
	v_dot2_f32_f16 v76, v87, v33, v76
	;;#ASMEND
	ds_read_b128 v[26:29], v56 offset:64
	ds_read_b128 v[30:33], v45 offset:64
	ds_read_b128 v[84:87], v56 offset:8768
	s_waitcnt lgkmcnt(1)
	;;#ASMSTART
	v_dot2_f32_f16 v75, v26, v30, v75
	;;#ASMEND
	s_nop 0
	;;#ASMSTART
	v_dot2_f32_f16 v75, v27, v31, v75
	;;#ASMEND
	s_nop 0
	;;#ASMSTART
	v_dot2_f32_f16 v75, v28, v32, v75
	;;#ASMEND
	s_nop 0
	;;#ASMSTART
	v_dot2_f32_f16 v75, v29, v33, v75
	;;#ASMEND
	s_waitcnt lgkmcnt(0)
	;;#ASMSTART
	v_dot2_f32_f16 v76, v84, v30, v76
	;;#ASMEND
	s_nop 0
	;;#ASMSTART
	v_dot2_f32_f16 v76, v85, v31, v76
	;;#ASMEND
	s_nop 0
	;;#ASMSTART
	v_dot2_f32_f16 v76, v86, v32, v76
	;;#ASMEND
	s_nop 0
	;;#ASMSTART
	v_dot2_f32_f16 v76, v87, v33, v76
	;;#ASMEND
	ds_read_b128 v[26:29], v56 offset:80
	ds_read_b128 v[30:33], v45 offset:80
	ds_read_b128 v[84:87], v56 offset:8784
	s_waitcnt lgkmcnt(1)
	;;#ASMSTART
	v_dot2_f32_f16 v75, v26, v30, v75
	;;#ASMEND
	s_nop 0
	;;#ASMSTART
	v_dot2_f32_f16 v75, v27, v31, v75
	;;#ASMEND
	s_nop 0
	;;#ASMSTART
	v_dot2_f32_f16 v75, v28, v32, v75
	;;#ASMEND
	s_nop 0
	;;#ASMSTART
	v_dot2_f32_f16 v75, v29, v33, v75
	;;#ASMEND
	s_waitcnt lgkmcnt(0)
	;;#ASMSTART
	v_dot2_f32_f16 v76, v84, v30, v76
	;;#ASMEND
	s_nop 0
	;;#ASMSTART
	v_dot2_f32_f16 v76, v85, v31, v76
	;;#ASMEND
	s_nop 0
	;;#ASMSTART
	v_dot2_f32_f16 v76, v86, v32, v76
	;;#ASMEND
	s_nop 0
	;;#ASMSTART
	v_dot2_f32_f16 v76, v87, v33, v76
	;;#ASMEND
	ds_read_b128 v[26:29], v56 offset:96
	ds_read_b128 v[30:33], v45 offset:96
	ds_read_b128 v[84:87], v56 offset:8800
	s_waitcnt lgkmcnt(1)
	;;#ASMSTART
	v_dot2_f32_f16 v75, v26, v30, v75
	;;#ASMEND
	s_nop 0
	;;#ASMSTART
	v_dot2_f32_f16 v75, v27, v31, v75
	;;#ASMEND
	s_nop 0
	;;#ASMSTART
	v_dot2_f32_f16 v75, v28, v32, v75
	;;#ASMEND
	s_nop 0
	;;#ASMSTART
	v_dot2_f32_f16 v75, v29, v33, v75
	;;#ASMEND
	s_waitcnt lgkmcnt(0)
	;;#ASMSTART
	v_dot2_f32_f16 v76, v84, v30, v76
	;;#ASMEND
	s_nop 0
	;;#ASMSTART
	v_dot2_f32_f16 v76, v85, v31, v76
	;;#ASMEND
	s_nop 0
	;;#ASMSTART
	v_dot2_f32_f16 v76, v86, v32, v76
	;;#ASMEND
	s_nop 0
	;;#ASMSTART
	v_dot2_f32_f16 v76, v87, v33, v76
	;;#ASMEND
	ds_read_b128 v[26:29], v56 offset:112
	ds_read_b128 v[30:33], v45 offset:112
	ds_read_b128 v[84:87], v56 offset:8816
	s_waitcnt lgkmcnt(1)
	;;#ASMSTART
	v_dot2_f32_f16 v75, v26, v30, v75
	;;#ASMEND
	s_nop 0
	;;#ASMSTART
	v_dot2_f32_f16 v75, v27, v31, v75
	;;#ASMEND
	s_nop 0
	;;#ASMSTART
	v_dot2_f32_f16 v75, v28, v32, v75
	;;#ASMEND
	s_nop 0
	;;#ASMSTART
	v_dot2_f32_f16 v75, v29, v33, v75
	;;#ASMEND
	s_waitcnt lgkmcnt(0)
	;;#ASMSTART
	v_dot2_f32_f16 v76, v84, v30, v76
	;;#ASMEND
	s_nop 0
	;;#ASMSTART
	v_dot2_f32_f16 v76, v85, v31, v76
	;;#ASMEND
	s_nop 0
	;;#ASMSTART
	v_dot2_f32_f16 v76, v86, v32, v76
	;;#ASMEND
	s_nop 0
	;;#ASMSTART
	v_dot2_f32_f16 v76, v87, v33, v76
	;;#ASMEND
	ds_read_b128 v[26:29], v56 offset:128
	ds_read_b128 v[30:33], v45 offset:128
	ds_read_b128 v[84:87], v56 offset:8832
	s_waitcnt lgkmcnt(1)
	;;#ASMSTART
	v_dot2_f32_f16 v75, v26, v30, v75
	;;#ASMEND
	s_nop 0
	;;#ASMSTART
	v_dot2_f32_f16 v75, v27, v31, v75
	;;#ASMEND
	s_nop 0
	;;#ASMSTART
	v_dot2_f32_f16 v75, v28, v32, v75
	;;#ASMEND
	s_nop 0
	;;#ASMSTART
	v_dot2_f32_f16 v75, v29, v33, v75
	;;#ASMEND
	s_waitcnt lgkmcnt(0)
	;;#ASMSTART
	v_dot2_f32_f16 v76, v84, v30, v76
	;;#ASMEND
	s_nop 0
	;;#ASMSTART
	v_dot2_f32_f16 v76, v85, v31, v76
	;;#ASMEND
	s_nop 0
	;;#ASMSTART
	v_dot2_f32_f16 v76, v86, v32, v76
	;;#ASMEND
	s_nop 0
	;;#ASMSTART
	v_dot2_f32_f16 v76, v87, v33, v76
	;;#ASMEND
	ds_read_b128 v[26:29], v56 offset:144
	ds_read_b128 v[30:33], v45 offset:144
	ds_read_b128 v[84:87], v56 offset:8848
	s_waitcnt lgkmcnt(1)
	;;#ASMSTART
	v_dot2_f32_f16 v75, v26, v30, v75
	;;#ASMEND
	s_nop 0
	;;#ASMSTART
	v_dot2_f32_f16 v75, v27, v31, v75
	;;#ASMEND
	s_nop 0
	;;#ASMSTART
	v_dot2_f32_f16 v75, v28, v32, v75
	;;#ASMEND
	s_nop 0
	;;#ASMSTART
	v_dot2_f32_f16 v75, v29, v33, v75
	;;#ASMEND
	s_waitcnt lgkmcnt(0)
	;;#ASMSTART
	v_dot2_f32_f16 v76, v84, v30, v76
	;;#ASMEND
	s_nop 0
	;;#ASMSTART
	v_dot2_f32_f16 v76, v85, v31, v76
	;;#ASMEND
	s_nop 0
	;;#ASMSTART
	v_dot2_f32_f16 v76, v86, v32, v76
	;;#ASMEND
	s_nop 0
	;;#ASMSTART
	v_dot2_f32_f16 v76, v87, v33, v76
	;;#ASMEND
	ds_read_b128 v[26:29], v56 offset:160
	ds_read_b128 v[30:33], v45 offset:160
	ds_read_b128 v[84:87], v56 offset:8864
	s_waitcnt lgkmcnt(1)
	;;#ASMSTART
	v_dot2_f32_f16 v75, v26, v30, v75
	;;#ASMEND
	s_nop 0
	;;#ASMSTART
	v_dot2_f32_f16 v75, v27, v31, v75
	;;#ASMEND
	s_nop 0
	;;#ASMSTART
	v_dot2_f32_f16 v75, v28, v32, v75
	;;#ASMEND
	s_nop 0
	;;#ASMSTART
	v_dot2_f32_f16 v75, v29, v33, v75
	;;#ASMEND
	s_waitcnt lgkmcnt(0)
	;;#ASMSTART
	v_dot2_f32_f16 v76, v84, v30, v76
	;;#ASMEND
	s_nop 0
	;;#ASMSTART
	v_dot2_f32_f16 v76, v85, v31, v76
	;;#ASMEND
	s_nop 0
	;;#ASMSTART
	v_dot2_f32_f16 v76, v86, v32, v76
	;;#ASMEND
	s_nop 0
	;;#ASMSTART
	v_dot2_f32_f16 v76, v87, v33, v76
	;;#ASMEND
	ds_read_b128 v[26:29], v56 offset:176
	ds_read_b128 v[30:33], v45 offset:176
	ds_read_b128 v[84:87], v56 offset:8880
	s_waitcnt lgkmcnt(1)
	;;#ASMSTART
	v_dot2_f32_f16 v75, v26, v30, v75
	;;#ASMEND
	s_nop 0
	;;#ASMSTART
	v_dot2_f32_f16 v75, v27, v31, v75
	;;#ASMEND
	s_nop 0
	;;#ASMSTART
	v_dot2_f32_f16 v75, v28, v32, v75
	;;#ASMEND
	s_nop 0
	;;#ASMSTART
	v_dot2_f32_f16 v75, v29, v33, v75
	;;#ASMEND
	s_waitcnt lgkmcnt(0)
	;;#ASMSTART
	v_dot2_f32_f16 v76, v84, v30, v76
	;;#ASMEND
	s_nop 0
	;;#ASMSTART
	v_dot2_f32_f16 v76, v85, v31, v76
	;;#ASMEND
	s_nop 0
	;;#ASMSTART
	v_dot2_f32_f16 v76, v86, v32, v76
	;;#ASMEND
	s_nop 0
	;;#ASMSTART
	v_dot2_f32_f16 v76, v87, v33, v76
	;;#ASMEND
	ds_read_b128 v[26:29], v56 offset:192
	ds_read_b128 v[30:33], v45 offset:192
	ds_read_b128 v[84:87], v56 offset:8896
	s_waitcnt lgkmcnt(1)
	;;#ASMSTART
	v_dot2_f32_f16 v75, v26, v30, v75
	;;#ASMEND
	s_nop 0
	;;#ASMSTART
	v_dot2_f32_f16 v75, v27, v31, v75
	;;#ASMEND
	s_nop 0
	;;#ASMSTART
	v_dot2_f32_f16 v75, v28, v32, v75
	;;#ASMEND
	s_nop 0
	;;#ASMSTART
	v_dot2_f32_f16 v75, v29, v33, v75
	;;#ASMEND
	s_waitcnt lgkmcnt(0)
	;;#ASMSTART
	v_dot2_f32_f16 v76, v84, v30, v76
	;;#ASMEND
	s_nop 0
	;;#ASMSTART
	v_dot2_f32_f16 v76, v85, v31, v76
	;;#ASMEND
	s_nop 0
	;;#ASMSTART
	v_dot2_f32_f16 v76, v86, v32, v76
	;;#ASMEND
	s_nop 0
	;;#ASMSTART
	v_dot2_f32_f16 v76, v87, v33, v76
	;;#ASMEND
	ds_read_b128 v[26:29], v56 offset:208
	ds_read_b128 v[30:33], v45 offset:208
	ds_read_b128 v[84:87], v56 offset:8912
	s_waitcnt lgkmcnt(1)
	;;#ASMSTART
	v_dot2_f32_f16 v75, v26, v30, v75
	;;#ASMEND
	s_nop 0
	;;#ASMSTART
	v_dot2_f32_f16 v75, v27, v31, v75
	;;#ASMEND
	s_nop 0
	;;#ASMSTART
	v_dot2_f32_f16 v75, v28, v32, v75
	;;#ASMEND
	s_nop 0
	;;#ASMSTART
	v_dot2_f32_f16 v75, v29, v33, v75
	;;#ASMEND
	s_waitcnt lgkmcnt(0)
	;;#ASMSTART
	v_dot2_f32_f16 v76, v84, v30, v76
	;;#ASMEND
	s_nop 0
	;;#ASMSTART
	v_dot2_f32_f16 v76, v85, v31, v76
	;;#ASMEND
	s_nop 0
	;;#ASMSTART
	v_dot2_f32_f16 v76, v86, v32, v76
	;;#ASMEND
	s_nop 0
	;;#ASMSTART
	v_dot2_f32_f16 v76, v87, v33, v76
	;;#ASMEND
	ds_read_b128 v[26:29], v56 offset:224
	ds_read_b128 v[30:33], v45 offset:224
	ds_read_b128 v[84:87], v56 offset:8928
	s_waitcnt lgkmcnt(1)
	;;#ASMSTART
	v_dot2_f32_f16 v75, v26, v30, v75
	;;#ASMEND
	s_nop 0
	;;#ASMSTART
	v_dot2_f32_f16 v75, v27, v31, v75
	;;#ASMEND
	s_nop 0
	;; [unrolled: 4-line block ×3, first 2 shown]
	;;#ASMSTART
	v_dot2_f32_f16 v75, v29, v33, v75
	;;#ASMEND
	s_waitcnt lgkmcnt(0)
	;;#ASMSTART
	v_dot2_f32_f16 v76, v84, v30, v76
	;;#ASMEND
	s_nop 0
	;;#ASMSTART
	v_dot2_f32_f16 v76, v85, v31, v76
	;;#ASMEND
	v_lshl_add_u64 v[30:31], s[4:5], 0, v[22:23]
	;;#ASMSTART
	v_dot2_f32_f16 v76, v86, v32, v76
	;;#ASMEND
	s_mul_hi_i32 s5, s6, s10
	;;#ASMSTART
	v_dot2_f32_f16 v76, v87, v33, v76
	;;#ASMEND
	ds_read_b128 v[26:29], v56 offset:240
	ds_read_b128 v[84:87], v45 offset:240
	;; [unrolled: 1-line block ×3, first 2 shown]
	s_waitcnt lgkmcnt(1)
	;;#ASMSTART
	v_dot2_f32_f16 v75, v26, v84, v75
	;;#ASMEND
	s_nop 0
	;;#ASMSTART
	v_dot2_f32_f16 v75, v27, v85, v75
	;;#ASMEND
	s_mul_i32 s4, s6, s10
	;;#ASMSTART
	v_dot2_f32_f16 v75, v28, v86, v75
	;;#ASMEND
	s_lshl_b64 s[4:5], s[4:5], 2
	;;#ASMSTART
	v_dot2_f32_f16 v75, v29, v87, v75
	;;#ASMEND
	s_waitcnt lgkmcnt(0)
	;;#ASMSTART
	v_dot2_f32_f16 v76, v88, v84, v76
	;;#ASMEND
	s_add_u32 s4, s20, s4
	;;#ASMSTART
	v_dot2_f32_f16 v76, v89, v85, v76
	;;#ASMEND
	s_addc_u32 s5, s21, s5
	;;#ASMSTART
	v_dot2_f32_f16 v76, v90, v86, v76
	;;#ASMEND
	v_lshl_add_u64 v[26:27], v[92:93], 0, v[14:15]
	;;#ASMSTART
	v_dot2_f32_f16 v76, v91, v87, v76
	;;#ASMEND
	s_barrier
	global_load_dwordx4 v[84:87], v[38:39], off offset:256
	global_load_dwordx4 v[88:91], v[40:41], off offset:256
	v_lshl_add_u64 v[28:29], v[94:95], 0, v[14:15]
	v_lshl_add_u64 v[32:33], v[96:97], 0, v[14:15]
	;; [unrolled: 1-line block ×6, first 2 shown]
	s_waitcnt vmcnt(1)
	ds_write_b128 v52, v[84:87]
	global_load_dwordx4 v[38:41], v[34:35], off offset:256
	global_load_dwordx4 v[84:87], v[36:37], off offset:256
	s_waitcnt vmcnt(2)
	ds_write_b128 v53, v[88:91]
	s_waitcnt vmcnt(1)
	ds_write_b128 v54, v[38:41]
	;; [unrolled: 2-line block ×3, first 2 shown]
	s_waitcnt lgkmcnt(0)
	s_barrier
	ds_read_b128 v[34:37], v56
	ds_read_b128 v[38:41], v45 offset:256
	ds_read_b128 v[84:87], v56 offset:8704
	s_waitcnt lgkmcnt(1)
	;;#ASMSTART
	v_dot2_f32_f16 v75, v34, v38, v75
	;;#ASMEND
	s_nop 0
	;;#ASMSTART
	v_dot2_f32_f16 v75, v35, v39, v75
	;;#ASMEND
	s_nop 0
	;;#ASMSTART
	v_dot2_f32_f16 v75, v36, v40, v75
	;;#ASMEND
	s_nop 0
	;;#ASMSTART
	v_dot2_f32_f16 v75, v37, v41, v75
	;;#ASMEND
	s_waitcnt lgkmcnt(0)
	;;#ASMSTART
	v_dot2_f32_f16 v76, v84, v38, v76
	;;#ASMEND
	s_nop 0
	;;#ASMSTART
	v_dot2_f32_f16 v76, v85, v39, v76
	;;#ASMEND
	s_nop 0
	;;#ASMSTART
	v_dot2_f32_f16 v76, v86, v40, v76
	;;#ASMEND
	s_nop 0
	;;#ASMSTART
	v_dot2_f32_f16 v76, v87, v41, v76
	;;#ASMEND
	ds_read_b128 v[34:37], v56 offset:16
	ds_read_b128 v[38:41], v45 offset:272
	ds_read_b128 v[84:87], v56 offset:8720
	s_waitcnt lgkmcnt(1)
	;;#ASMSTART
	v_dot2_f32_f16 v75, v34, v38, v75
	;;#ASMEND
	s_nop 0
	;;#ASMSTART
	v_dot2_f32_f16 v75, v35, v39, v75
	;;#ASMEND
	s_nop 0
	;;#ASMSTART
	v_dot2_f32_f16 v75, v36, v40, v75
	;;#ASMEND
	s_nop 0
	;;#ASMSTART
	v_dot2_f32_f16 v75, v37, v41, v75
	;;#ASMEND
	s_waitcnt lgkmcnt(0)
	;;#ASMSTART
	v_dot2_f32_f16 v76, v84, v38, v76
	;;#ASMEND
	s_nop 0
	;;#ASMSTART
	v_dot2_f32_f16 v76, v85, v39, v76
	;;#ASMEND
	s_nop 0
	;;#ASMSTART
	v_dot2_f32_f16 v76, v86, v40, v76
	;;#ASMEND
	s_nop 0
	;;#ASMSTART
	v_dot2_f32_f16 v76, v87, v41, v76
	;;#ASMEND
	ds_read_b128 v[34:37], v56 offset:32
	;; [unrolled: 35-line block ×14, first 2 shown]
	ds_read_b128 v[38:41], v45 offset:480
	ds_read_b128 v[84:87], v56 offset:8928
	s_waitcnt lgkmcnt(1)
	;;#ASMSTART
	v_dot2_f32_f16 v75, v34, v38, v75
	;;#ASMEND
	s_nop 0
	;;#ASMSTART
	v_dot2_f32_f16 v75, v35, v39, v75
	;;#ASMEND
	s_nop 0
	;; [unrolled: 4-line block ×3, first 2 shown]
	;;#ASMSTART
	v_dot2_f32_f16 v75, v37, v41, v75
	;;#ASMEND
	s_waitcnt lgkmcnt(0)
	;;#ASMSTART
	v_dot2_f32_f16 v76, v84, v38, v76
	;;#ASMEND
	s_nop 0
	;;#ASMSTART
	v_dot2_f32_f16 v76, v85, v39, v76
	;;#ASMEND
	v_lshl_add_u64 v[38:39], v[96:97], 0, v[14:15]
	;;#ASMSTART
	v_dot2_f32_f16 v76, v86, v40, v76
	;;#ASMEND
	s_nop 0
	;;#ASMSTART
	v_dot2_f32_f16 v76, v87, v41, v76
	;;#ASMEND
	ds_read_b128 v[34:37], v56 offset:240
	ds_read_b128 v[84:87], v45 offset:496
	;; [unrolled: 1-line block ×3, first 2 shown]
	s_waitcnt lgkmcnt(1)
	;;#ASMSTART
	v_dot2_f32_f16 v75, v34, v84, v75
	;;#ASMEND
	s_nop 0
	;;#ASMSTART
	v_dot2_f32_f16 v75, v35, v85, v75
	;;#ASMEND
	v_lshl_add_u64 v[40:41], v[92:93], 0, v[14:15]
	;;#ASMSTART
	v_dot2_f32_f16 v75, v36, v86, v75
	;;#ASMEND
	v_lshl_add_u64 v[34:35], s[4:5], 0, v[22:23]
	;;#ASMSTART
	v_dot2_f32_f16 v75, v37, v87, v75
	;;#ASMEND
	s_waitcnt lgkmcnt(0)
	;;#ASMSTART
	v_dot2_f32_f16 v76, v88, v84, v76
	;;#ASMEND
	v_lshl_add_u64 v[36:37], v[94:95], 0, v[14:15]
	;;#ASMSTART
	v_dot2_f32_f16 v76, v89, v85, v76
	;;#ASMEND
	v_lshl_add_u64 v[34:35], v[34:35], 0, v[14:15]
	;;#ASMSTART
	v_dot2_f32_f16 v76, v90, v86, v76
	;;#ASMEND
	s_nop 0
	;;#ASMSTART
	v_dot2_f32_f16 v76, v91, v87, v76
	;;#ASMEND
	global_load_ushort v100, v[24:25], off
	global_load_ushort v101, v[24:25], off offset:64
	s_barrier
	global_load_dwordx4 v[84:87], v[26:27], off
	global_load_dwordx4 v[88:91], v[28:29], off
	;; [unrolled: 1-line block ×4, first 2 shown]
	s_waitcnt vmcnt(5)
	v_cvt_f32_f16_e32 v24, v100
	s_waitcnt vmcnt(4)
	v_cvt_f32_f16_e32 v25, v101
	v_add_f32_e32 v26, v75, v24
	v_add_f32_e32 v25, v76, v25
	;; [unrolled: 1-line block ×4, first 2 shown]
	v_max3_f32 v24, v77, v24, v27
	ds_bpermute_b32 v27, v83, v24
	s_waitcnt lgkmcnt(0)
	v_max_f32_e32 v27, v27, v27
	v_max_f32_e32 v24, v24, v27
	ds_bpermute_b32 v27, v82, v24
	s_waitcnt lgkmcnt(0)
	v_max_f32_e32 v27, v27, v27
	v_max_f32_e32 v24, v24, v27
	;; [unrolled: 4-line block ×5, first 2 shown]
	v_sub_f32_e32 v26, v26, v24
	v_mul_f32_e32 v28, 0x3fb8aa3b, v26
	v_sub_f32_e32 v25, v25, v24
	v_sub_f32_e32 v27, v77, v24
	v_fma_f32 v31, v26, s24, -v28
	v_rndne_f32_e32 v33, v28
	v_mul_f32_e32 v29, 0x3fb8aa3b, v25
	v_mul_f32_e32 v30, 0x3fb8aa3b, v27
	v_fmac_f32_e32 v31, 0x32a5705f, v26
	v_sub_f32_e32 v28, v28, v33
	v_fma_f32 v32, v25, s24, -v29
	v_rndne_f32_e32 v75, v29
	v_fma_f32 v76, v27, s24, -v30
	v_add_f32_e32 v28, v28, v31
	v_rndne_f32_e32 v31, v30
	v_fmac_f32_e32 v32, 0x32a5705f, v25
	v_sub_f32_e32 v29, v29, v75
	v_fmac_f32_e32 v76, 0x32a5705f, v27
	v_sub_f32_e32 v30, v30, v31
	v_add_f32_e32 v29, v29, v32
	v_add_f32_e32 v30, v30, v76
	v_cvt_i32_f32_e32 v33, v33
	v_cvt_i32_f32_e32 v75, v75
	v_cvt_i32_f32_e32 v31, v31
	v_exp_f32_e32 v28, v28
	v_exp_f32_e32 v29, v29
	;; [unrolled: 1-line block ×3, first 2 shown]
	v_cmp_ngt_f32_e32 vcc, s25, v26
	v_ldexp_f32 v28, v28, v33
	v_ldexp_f32 v29, v29, v75
	;; [unrolled: 1-line block ×3, first 2 shown]
	v_cmp_ngt_f32_e64 s[4:5], s25, v27
	v_cmp_ngt_f32_e64 s[6:7], s25, v25
	s_nop 1
	v_cndmask_b32_e64 v29, 0, v29, s[6:7]
	v_cmp_nlt_f32_e64 s[6:7], s26, v25
	v_cndmask_b32_e32 v25, 0, v28, vcc
	v_cndmask_b32_e64 v28, 0, v30, s[4:5]
	v_cmp_nlt_f32_e64 s[4:5], s26, v26
	v_cmp_nlt_f32_e32 vcc, s26, v27
	v_cndmask_b32_e64 v26, v63, v29, s[6:7]
	v_cndmask_b32_e64 v25, v63, v25, s[4:5]
	v_cndmask_b32_e32 v27, v63, v28, vcc
	v_cvt_f16_f32_e32 v28, v25
	v_cvt_f16_f32_e32 v29, v26
	;; [unrolled: 1-line block ×3, first 2 shown]
	v_add_f32_e32 v25, v25, v26
	v_fmac_f32_e32 v25, v78, v27
	ds_write_b16 v58, v28
	ds_write_b16 v58, v29 offset:64
	s_waitcnt vmcnt(3)
	ds_write_b128 v59, v[84:87]
	s_waitcnt vmcnt(2)
	ds_write_b128 v60, v[88:91]
	;; [unrolled: 2-line block ×4, first 2 shown]
	s_waitcnt lgkmcnt(0)
	s_barrier
	ds_read_b128 v[26:29], v57
	ds_read2_b64 v[30:33], v44 offset1:32
	v_mul_u32_u24_e32 v75, 0x10001, v75
	v_pk_mul_f16 v72, v72, v75
	v_pk_mul_f16 v71, v71, v75
	s_waitcnt lgkmcnt(1)
	v_mul_u32_u24_sdwa v92, v26, s27 dst_sel:DWORD dst_unused:UNUSED_PAD src0_sel:WORD_0 src1_sel:DWORD
	ds_read2_b64 v[76:79], v44 offset0:64 offset1:96
	ds_read2_b64 v[80:83], v44 offset0:128 offset1:160
	;; [unrolled: 1-line block ×3, first 2 shown]
	ds_read_b128 v[88:91], v57 offset:16
	s_waitcnt lgkmcnt(4)
	v_pk_fma_f16 v72, v32, v92, v72
	v_pk_fma_f16 v71, v33, v92, v71
	v_pk_mul_f16 v93, v30, v92
	v_pk_mul_f16 v92, v31, v92
	ds_read2_b64 v[30:33], v64 offset1:32
	v_pk_fma_f16 v74, v74, v75, v93
	v_mul_u32_u24_sdwa v26, v26, s27 dst_sel:DWORD dst_unused:UNUSED_PAD src0_sel:WORD_1 src1_sel:DWORD
	v_pk_fma_f16 v73, v73, v75, v92
	s_waitcnt lgkmcnt(4)
	v_pk_fma_f16 v78, v78, v26, v72
	v_pk_fma_f16 v71, v79, v26, v71
	v_pk_fma_f16 v76, v76, v26, v74
	v_pk_fma_f16 v26, v77, v26, v73
	ds_read2_b64 v[72:75], v64 offset0:64 offset1:96
	v_mul_u32_u24_sdwa v77, v27, s27 dst_sel:DWORD dst_unused:UNUSED_PAD src0_sel:WORD_0 src1_sel:DWORD
	s_waitcnt lgkmcnt(4)
	v_pk_fma_f16 v82, v82, v77, v78
	v_pk_fma_f16 v71, v83, v77, v71
	v_pk_fma_f16 v80, v80, v77, v76
	v_pk_fma_f16 v26, v81, v77, v26
	ds_read2_b64 v[76:79], v64 offset0:128 offset1:160
	v_mul_u32_u24_sdwa v27, v27, s27 dst_sel:DWORD dst_unused:UNUSED_PAD src0_sel:WORD_1 src1_sel:DWORD
	s_waitcnt lgkmcnt(4)
	v_pk_fma_f16 v86, v86, v27, v82
	v_pk_fma_f16 v71, v87, v27, v71
	;; [unrolled: 1-line block ×4, first 2 shown]
	ds_read2_b64 v[80:83], v64 offset0:192 offset1:224
	v_mul_u32_u24_sdwa v27, v28, s27 dst_sel:DWORD dst_unused:UNUSED_PAD src0_sel:WORD_0 src1_sel:DWORD
	s_waitcnt lgkmcnt(3)
	v_pk_fma_f16 v85, v32, v27, v86
	v_pk_fma_f16 v71, v33, v27, v71
	v_pk_fma_f16 v84, v30, v27, v84
	v_pk_fma_f16 v86, v31, v27, v26
	ds_read2_b64 v[30:33], v65 offset1:32
	v_mul_u32_u24_sdwa v87, v28, s27 dst_sel:DWORD dst_unused:UNUSED_PAD src0_sel:WORD_1 src1_sel:DWORD
	v_mul_u32_u24_sdwa v92, v29, s27 dst_sel:DWORD dst_unused:UNUSED_PAD src0_sel:WORD_0 src1_sel:DWORD
	v_mul_u32_u24_sdwa v93, v29, s27 dst_sel:DWORD dst_unused:UNUSED_PAD src0_sel:WORD_1 src1_sel:DWORD
	ds_read2_b64 v[26:29], v65 offset0:64 offset1:96
	s_waitcnt lgkmcnt(4)
	v_pk_fma_f16 v85, v74, v87, v85
	v_pk_fma_f16 v71, v75, v87, v71
	v_pk_fma_f16 v84, v72, v87, v84
	v_pk_fma_f16 v86, v73, v87, v86
	ds_read2_b64 v[72:75], v65 offset0:128 offset1:160
	s_waitcnt lgkmcnt(4)
	v_pk_fma_f16 v85, v78, v92, v85
	v_pk_fma_f16 v71, v79, v92, v71
	v_pk_fma_f16 v84, v76, v92, v84
	v_pk_fma_f16 v86, v77, v92, v86
	;; [unrolled: 6-line block ×3, first 2 shown]
	ds_read2_b64 v[80:83], v66 offset1:32
	v_mul_u32_u24_sdwa v87, v88, s27 dst_sel:DWORD dst_unused:UNUSED_PAD src0_sel:WORD_0 src1_sel:DWORD
	s_waitcnt lgkmcnt(4)
	v_pk_fma_f16 v85, v32, v87, v85
	v_pk_fma_f16 v71, v33, v87, v71
	;; [unrolled: 1-line block ×4, first 2 shown]
	v_mul_u32_u24_sdwa v87, v88, s27 dst_sel:DWORD dst_unused:UNUSED_PAD src0_sel:WORD_1 src1_sel:DWORD
	ds_read2_b64 v[30:33], v66 offset0:64 offset1:96
	s_waitcnt lgkmcnt(4)
	v_pk_fma_f16 v85, v28, v87, v85
	v_pk_fma_f16 v71, v29, v87, v71
	;; [unrolled: 1-line block ×4, first 2 shown]
	v_mul_u32_u24_sdwa v87, v89, s27 dst_sel:DWORD dst_unused:UNUSED_PAD src0_sel:WORD_0 src1_sel:DWORD
	ds_read2_b64 v[26:29], v66 offset0:128 offset1:160
	s_waitcnt lgkmcnt(4)
	v_pk_fma_f16 v85, v74, v87, v85
	v_pk_fma_f16 v71, v75, v87, v71
	;; [unrolled: 1-line block ×4, first 2 shown]
	v_mul_u32_u24_sdwa v87, v89, s27 dst_sel:DWORD dst_unused:UNUSED_PAD src0_sel:WORD_1 src1_sel:DWORD
	ds_read2_b64 v[72:75], v66 offset0:192 offset1:224
	s_waitcnt lgkmcnt(4)
	v_pk_fma_f16 v85, v78, v87, v85
	v_pk_fma_f16 v71, v79, v87, v71
	v_pk_fma_f16 v84, v76, v87, v84
	v_pk_fma_f16 v86, v77, v87, v86
	ds_read_b128 v[76:79], v57 offset:32
	v_mul_u32_u24_sdwa v87, v90, s27 dst_sel:DWORD dst_unused:UNUSED_PAD src0_sel:WORD_0 src1_sel:DWORD
	s_waitcnt lgkmcnt(4)
	v_pk_fma_f16 v88, v82, v87, v85
	v_pk_fma_f16 v71, v83, v87, v71
	;; [unrolled: 1-line block ×4, first 2 shown]
	ds_read2_b64 v[80:83], v67 offset1:32
	v_mul_u32_u24_sdwa v90, v90, s27 dst_sel:DWORD dst_unused:UNUSED_PAD src0_sel:WORD_1 src1_sel:DWORD
	v_mul_u32_u24_sdwa v93, v91, s27 dst_sel:DWORD dst_unused:UNUSED_PAD src0_sel:WORD_0 src1_sel:DWORD
	ds_read2_b64 v[84:87], v67 offset0:64 offset1:96
	s_waitcnt lgkmcnt(5)
	v_pk_fma_f16 v88, v32, v90, v88
	v_pk_fma_f16 v71, v33, v90, v71
	;; [unrolled: 1-line block ×4, first 2 shown]
	v_mul_u32_u24_sdwa v91, v91, s27 dst_sel:DWORD dst_unused:UNUSED_PAD src0_sel:WORD_1 src1_sel:DWORD
	ds_read2_b64 v[30:33], v67 offset0:128 offset1:160
	s_waitcnt lgkmcnt(5)
	v_pk_fma_f16 v88, v28, v93, v88
	v_pk_fma_f16 v71, v29, v93, v71
	;; [unrolled: 1-line block ×4, first 2 shown]
	ds_read2_b64 v[26:29], v67 offset0:192 offset1:224
	s_waitcnt lgkmcnt(5)
	v_pk_fma_f16 v88, v74, v91, v88
	v_pk_fma_f16 v71, v75, v91, v71
	v_pk_fma_f16 v89, v72, v91, v89
	v_pk_fma_f16 v90, v73, v91, v90
	ds_read_b128 v[72:75], v57 offset:48
	s_waitcnt lgkmcnt(5)
	v_mul_u32_u24_sdwa v91, v76, s27 dst_sel:DWORD dst_unused:UNUSED_PAD src0_sel:WORD_0 src1_sel:DWORD
	s_waitcnt lgkmcnt(4)
	v_pk_fma_f16 v88, v82, v91, v88
	v_pk_fma_f16 v71, v83, v91, v71
	;; [unrolled: 1-line block ×4, first 2 shown]
	ds_read2_b64 v[80:83], v68 offset1:32
	v_mul_u32_u24_sdwa v76, v76, s27 dst_sel:DWORD dst_unused:UNUSED_PAD src0_sel:WORD_1 src1_sel:DWORD
	s_waitcnt lgkmcnt(4)
	v_pk_fma_f16 v88, v86, v76, v88
	v_pk_fma_f16 v71, v87, v76, v71
	;; [unrolled: 1-line block ×4, first 2 shown]
	ds_read2_b64 v[84:87], v68 offset0:64 offset1:96
	v_mul_u32_u24_sdwa v90, v77, s27 dst_sel:DWORD dst_unused:UNUSED_PAD src0_sel:WORD_0 src1_sel:DWORD
	s_waitcnt lgkmcnt(4)
	v_pk_fma_f16 v88, v32, v90, v88
	v_pk_fma_f16 v71, v33, v90, v71
	;; [unrolled: 1-line block ×4, first 2 shown]
	ds_read2_b64 v[30:33], v68 offset0:128 offset1:160
	v_mul_u32_u24_sdwa v77, v77, s27 dst_sel:DWORD dst_unused:UNUSED_PAD src0_sel:WORD_1 src1_sel:DWORD
	s_waitcnt lgkmcnt(4)
	v_pk_fma_f16 v88, v28, v77, v88
	v_pk_fma_f16 v71, v29, v77, v71
	;; [unrolled: 1-line block ×4, first 2 shown]
	ds_read2_b64 v[26:29], v68 offset0:192 offset1:224
	v_mul_u32_u24_sdwa v77, v78, s27 dst_sel:DWORD dst_unused:UNUSED_PAD src0_sel:WORD_0 src1_sel:DWORD
	s_waitcnt lgkmcnt(3)
	v_pk_fma_f16 v88, v82, v77, v88
	v_pk_fma_f16 v71, v83, v77, v71
	;; [unrolled: 1-line block ×4, first 2 shown]
	ds_read2_b64 v[80:83], v69 offset1:32
	v_mul_u32_u24_sdwa v91, v78, s27 dst_sel:DWORD dst_unused:UNUSED_PAD src0_sel:WORD_1 src1_sel:DWORD
	v_mul_u32_u24_sdwa v92, v79, s27 dst_sel:DWORD dst_unused:UNUSED_PAD src0_sel:WORD_0 src1_sel:DWORD
	v_mul_u32_u24_sdwa v93, v79, s27 dst_sel:DWORD dst_unused:UNUSED_PAD src0_sel:WORD_1 src1_sel:DWORD
	ds_read2_b64 v[76:79], v69 offset0:64 offset1:96
	s_waitcnt lgkmcnt(4)
	v_pk_fma_f16 v88, v86, v91, v88
	v_pk_fma_f16 v71, v87, v91, v71
	v_pk_fma_f16 v89, v84, v91, v89
	v_pk_fma_f16 v90, v85, v91, v90
	ds_read2_b64 v[84:87], v69 offset0:128 offset1:160
	s_waitcnt lgkmcnt(4)
	v_pk_fma_f16 v88, v32, v92, v88
	v_pk_fma_f16 v71, v33, v92, v71
	v_pk_fma_f16 v89, v30, v92, v89
	v_pk_fma_f16 v90, v31, v92, v90
	;; [unrolled: 6-line block ×3, first 2 shown]
	v_mul_u32_u24_sdwa v91, v72, s27 dst_sel:DWORD dst_unused:UNUSED_PAD src0_sel:WORD_0 src1_sel:DWORD
	s_waitcnt lgkmcnt(3)
	v_pk_fma_f16 v88, v82, v91, v88
	v_pk_fma_f16 v71, v83, v91, v71
	;; [unrolled: 1-line block ×4, first 2 shown]
	v_mul_u32_u24_sdwa v72, v72, s27 dst_sel:DWORD dst_unused:UNUSED_PAD src0_sel:WORD_1 src1_sel:DWORD
	ds_read2_b64 v[26:29], v70 offset1:32
	s_waitcnt lgkmcnt(3)
	v_pk_fma_f16 v88, v78, v72, v88
	v_pk_fma_f16 v71, v79, v72, v71
	;; [unrolled: 1-line block ×4, first 2 shown]
	v_mul_u32_u24_sdwa v90, v73, s27 dst_sel:DWORD dst_unused:UNUSED_PAD src0_sel:WORD_0 src1_sel:DWORD
	ds_read2_b64 v[80:83], v70 offset0:64 offset1:96
	ds_read2_b64 v[76:79], v70 offset0:128 offset1:160
	s_waitcnt lgkmcnt(4)
	v_pk_fma_f16 v92, v86, v90, v88
	v_pk_fma_f16 v71, v87, v90, v71
	;; [unrolled: 1-line block ×4, first 2 shown]
	ds_read2_b64 v[84:87], v70 offset0:192 offset1:224
	s_waitcnt lgkmcnt(0)
	s_barrier
	global_load_dwordx4 v[88:91], v[40:41], off
	v_mul_u32_u24_sdwa v40, v73, s27 dst_sel:DWORD dst_unused:UNUSED_PAD src0_sel:WORD_1 src1_sel:DWORD
	v_pk_fma_f16 v41, v32, v40, v92
	v_pk_fma_f16 v71, v33, v40, v71
	;; [unrolled: 1-line block ×4, first 2 shown]
	global_load_dwordx4 v[30:33], v[36:37], off
	global_load_dwordx4 v[92:95], v[38:39], off
	v_mul_u32_u24_sdwa v36, v74, s27 dst_sel:DWORD dst_unused:UNUSED_PAD src0_sel:WORD_0 src1_sel:DWORD
	v_pk_fma_f16 v37, v28, v36, v41
	v_pk_fma_f16 v38, v29, v36, v71
	;; [unrolled: 1-line block ×4, first 2 shown]
	global_load_dwordx4 v[26:29], v[34:35], off
	v_mul_u32_u24_sdwa v34, v74, s27 dst_sel:DWORD dst_unused:UNUSED_PAD src0_sel:WORD_1 src1_sel:DWORD
	v_mul_u32_u24_sdwa v35, v75, s27 dst_sel:DWORD dst_unused:UNUSED_PAD src0_sel:WORD_0 src1_sel:DWORD
	v_pk_fma_f16 v37, v82, v34, v37
	v_pk_fma_f16 v38, v83, v34, v38
	v_pk_fma_f16 v39, v80, v34, v39
	v_pk_fma_f16 v34, v81, v34, v36
	v_mul_u32_u24_sdwa v40, v75, s27 dst_sel:DWORD dst_unused:UNUSED_PAD src0_sel:WORD_1 src1_sel:DWORD
	v_pk_fma_f16 v36, v78, v35, v37
	v_pk_fma_f16 v37, v79, v35, v38
	;; [unrolled: 1-line block ×8, first 2 shown]
	s_waitcnt vmcnt(3)
	ds_write_b128 v59, v[88:91]
	s_waitcnt vmcnt(2)
	ds_write_b128 v60, v[30:33]
	;; [unrolled: 2-line block ×4, first 2 shown]
	s_waitcnt lgkmcnt(0)
	s_barrier
	ds_read_b128 v[26:29], v57 offset:64
	ds_read2_b64 v[30:33], v44 offset1:32
	ds_read2_b64 v[34:37], v44 offset0:64 offset1:96
	ds_read2_b64 v[38:41], v44 offset0:128 offset1:160
	;; [unrolled: 1-line block ×3, first 2 shown]
	ds_read2_b64 v[76:79], v64 offset1:32
	ds_read2_b64 v[80:83], v64 offset0:64 offset1:96
	ds_read_b128 v[84:87], v57 offset:80
	s_waitcnt lgkmcnt(7)
	v_mul_u32_u24_sdwa v88, v26, s27 dst_sel:DWORD dst_unused:UNUSED_PAD src0_sel:WORD_0 src1_sel:DWORD
	s_waitcnt lgkmcnt(6)
	v_pk_fma_f16 v89, v30, v88, v97
	v_pk_fma_f16 v90, v31, v88, v98
	;; [unrolled: 1-line block ×4, first 2 shown]
	v_mul_u32_u24_sdwa v26, v26, s27 dst_sel:DWORD dst_unused:UNUSED_PAD src0_sel:WORD_1 src1_sel:DWORD
	ds_read2_b64 v[30:33], v64 offset0:128 offset1:160
	s_waitcnt lgkmcnt(6)
	v_pk_fma_f16 v89, v34, v26, v89
	v_pk_fma_f16 v90, v35, v26, v90
	;; [unrolled: 1-line block ×4, first 2 shown]
	v_mul_u32_u24_sdwa v88, v27, s27 dst_sel:DWORD dst_unused:UNUSED_PAD src0_sel:WORD_0 src1_sel:DWORD
	ds_read2_b64 v[34:37], v64 offset0:192 offset1:224
	s_waitcnt lgkmcnt(6)
	v_pk_fma_f16 v89, v38, v88, v89
	v_pk_fma_f16 v90, v39, v88, v90
	;; [unrolled: 1-line block ×4, first 2 shown]
	v_mul_u32_u24_sdwa v27, v27, s27 dst_sel:DWORD dst_unused:UNUSED_PAD src0_sel:WORD_1 src1_sel:DWORD
	ds_read2_b64 v[38:41], v65 offset1:32
	s_waitcnt lgkmcnt(6)
	v_pk_fma_f16 v88, v72, v27, v89
	v_pk_fma_f16 v89, v73, v27, v90
	;; [unrolled: 1-line block ×4, first 2 shown]
	v_mul_u32_u24_sdwa v27, v28, s27 dst_sel:DWORD dst_unused:UNUSED_PAD src0_sel:WORD_0 src1_sel:DWORD
	ds_read2_b64 v[72:75], v65 offset0:64 offset1:96
	s_waitcnt lgkmcnt(6)
	v_pk_fma_f16 v88, v76, v27, v88
	v_pk_fma_f16 v89, v77, v27, v89
	;; [unrolled: 1-line block ×4, first 2 shown]
	v_mul_u32_u24_sdwa v91, v28, s27 dst_sel:DWORD dst_unused:UNUSED_PAD src0_sel:WORD_1 src1_sel:DWORD
	ds_read2_b64 v[76:79], v65 offset0:128 offset1:160
	v_mul_u32_u24_sdwa v92, v29, s27 dst_sel:DWORD dst_unused:UNUSED_PAD src0_sel:WORD_0 src1_sel:DWORD
	s_waitcnt lgkmcnt(6)
	v_pk_fma_f16 v88, v80, v91, v88
	v_pk_fma_f16 v89, v81, v91, v89
	v_pk_fma_f16 v71, v82, v91, v71
	v_pk_fma_f16 v90, v83, v91, v90
	v_mul_u32_u24_sdwa v93, v29, s27 dst_sel:DWORD dst_unused:UNUSED_PAD src0_sel:WORD_1 src1_sel:DWORD
	ds_read2_b64 v[26:29], v65 offset0:192 offset1:224
	s_waitcnt lgkmcnt(5)
	v_pk_fma_f16 v88, v30, v92, v88
	v_pk_fma_f16 v89, v31, v92, v89
	;; [unrolled: 1-line block ×4, first 2 shown]
	ds_read2_b64 v[80:83], v66 offset1:32
	s_waitcnt lgkmcnt(5)
	v_pk_fma_f16 v88, v34, v93, v88
	v_pk_fma_f16 v89, v35, v93, v89
	;; [unrolled: 1-line block ×4, first 2 shown]
	v_mul_u32_u24_sdwa v91, v84, s27 dst_sel:DWORD dst_unused:UNUSED_PAD src0_sel:WORD_0 src1_sel:DWORD
	ds_read2_b64 v[30:33], v66 offset0:64 offset1:96
	s_waitcnt lgkmcnt(5)
	v_pk_fma_f16 v88, v38, v91, v88
	v_pk_fma_f16 v89, v39, v91, v89
	;; [unrolled: 1-line block ×4, first 2 shown]
	v_mul_u32_u24_sdwa v84, v84, s27 dst_sel:DWORD dst_unused:UNUSED_PAD src0_sel:WORD_1 src1_sel:DWORD
	ds_read2_b64 v[34:37], v66 offset0:128 offset1:160
	s_waitcnt lgkmcnt(5)
	v_pk_fma_f16 v88, v72, v84, v88
	v_pk_fma_f16 v89, v73, v84, v89
	;; [unrolled: 1-line block ×4, first 2 shown]
	v_mul_u32_u24_sdwa v90, v85, s27 dst_sel:DWORD dst_unused:UNUSED_PAD src0_sel:WORD_0 src1_sel:DWORD
	ds_read2_b64 v[38:41], v66 offset0:192 offset1:224
	ds_read_b128 v[72:75], v57 offset:96
	s_waitcnt lgkmcnt(6)
	v_pk_fma_f16 v88, v76, v90, v88
	v_pk_fma_f16 v89, v77, v90, v89
	;; [unrolled: 1-line block ×4, first 2 shown]
	v_mul_u32_u24_sdwa v85, v85, s27 dst_sel:DWORD dst_unused:UNUSED_PAD src0_sel:WORD_1 src1_sel:DWORD
	ds_read2_b64 v[76:79], v67 offset1:32
	s_waitcnt lgkmcnt(6)
	v_pk_fma_f16 v88, v26, v85, v88
	v_pk_fma_f16 v89, v27, v85, v89
	;; [unrolled: 1-line block ×4, first 2 shown]
	v_mul_u32_u24_sdwa v85, v86, s27 dst_sel:DWORD dst_unused:UNUSED_PAD src0_sel:WORD_0 src1_sel:DWORD
	ds_read2_b64 v[26:29], v67 offset0:64 offset1:96
	s_waitcnt lgkmcnt(6)
	v_pk_fma_f16 v88, v80, v85, v88
	v_pk_fma_f16 v89, v81, v85, v89
	;; [unrolled: 1-line block ×4, first 2 shown]
	v_mul_u32_u24_sdwa v91, v86, s27 dst_sel:DWORD dst_unused:UNUSED_PAD src0_sel:WORD_1 src1_sel:DWORD
	ds_read2_b64 v[80:83], v67 offset0:128 offset1:160
	v_mul_u32_u24_sdwa v92, v87, s27 dst_sel:DWORD dst_unused:UNUSED_PAD src0_sel:WORD_0 src1_sel:DWORD
	s_waitcnt lgkmcnt(6)
	v_pk_fma_f16 v88, v30, v91, v88
	v_pk_fma_f16 v89, v31, v91, v89
	v_pk_fma_f16 v71, v32, v91, v71
	v_pk_fma_f16 v90, v33, v91, v90
	v_mul_u32_u24_sdwa v93, v87, s27 dst_sel:DWORD dst_unused:UNUSED_PAD src0_sel:WORD_1 src1_sel:DWORD
	ds_read2_b64 v[84:87], v67 offset0:192 offset1:224
	s_waitcnt lgkmcnt(6)
	v_pk_fma_f16 v88, v34, v92, v88
	v_pk_fma_f16 v89, v35, v92, v89
	v_pk_fma_f16 v71, v36, v92, v71
	v_pk_fma_f16 v90, v37, v92, v90
	ds_read2_b64 v[30:33], v68 offset1:32
	s_waitcnt lgkmcnt(6)
	v_pk_fma_f16 v88, v38, v93, v88
	v_pk_fma_f16 v89, v39, v93, v89
	;; [unrolled: 1-line block ×4, first 2 shown]
	ds_read_b128 v[38:41], v57 offset:112
	s_waitcnt lgkmcnt(6)
	v_mul_u32_u24_sdwa v91, v72, s27 dst_sel:DWORD dst_unused:UNUSED_PAD src0_sel:WORD_0 src1_sel:DWORD
	ds_read2_b64 v[34:37], v68 offset0:64 offset1:96
	s_waitcnt lgkmcnt(6)
	v_pk_fma_f16 v88, v76, v91, v88
	v_pk_fma_f16 v89, v77, v91, v89
	;; [unrolled: 1-line block ×4, first 2 shown]
	v_mul_u32_u24_sdwa v72, v72, s27 dst_sel:DWORD dst_unused:UNUSED_PAD src0_sel:WORD_1 src1_sel:DWORD
	ds_read2_b64 v[76:79], v68 offset0:128 offset1:160
	s_waitcnt lgkmcnt(6)
	v_pk_fma_f16 v88, v26, v72, v88
	v_pk_fma_f16 v89, v27, v72, v89
	;; [unrolled: 1-line block ×4, first 2 shown]
	v_mul_u32_u24_sdwa v90, v73, s27 dst_sel:DWORD dst_unused:UNUSED_PAD src0_sel:WORD_0 src1_sel:DWORD
	ds_read2_b64 v[26:29], v68 offset0:192 offset1:224
	s_waitcnt lgkmcnt(6)
	v_pk_fma_f16 v88, v80, v90, v88
	v_pk_fma_f16 v89, v81, v90, v89
	;; [unrolled: 1-line block ×4, first 2 shown]
	v_mul_u32_u24_sdwa v73, v73, s27 dst_sel:DWORD dst_unused:UNUSED_PAD src0_sel:WORD_1 src1_sel:DWORD
	ds_read2_b64 v[80:83], v69 offset1:32
	s_waitcnt lgkmcnt(6)
	v_pk_fma_f16 v88, v84, v73, v88
	v_pk_fma_f16 v89, v85, v73, v89
	;; [unrolled: 1-line block ×4, first 2 shown]
	v_mul_u32_u24_sdwa v73, v74, s27 dst_sel:DWORD dst_unused:UNUSED_PAD src0_sel:WORD_0 src1_sel:DWORD
	ds_read2_b64 v[84:87], v69 offset0:64 offset1:96
	s_waitcnt lgkmcnt(6)
	v_pk_fma_f16 v88, v30, v73, v88
	v_pk_fma_f16 v89, v31, v73, v89
	;; [unrolled: 1-line block ×4, first 2 shown]
	v_mul_u32_u24_sdwa v91, v74, s27 dst_sel:DWORD dst_unused:UNUSED_PAD src0_sel:WORD_1 src1_sel:DWORD
	ds_read2_b64 v[30:33], v69 offset0:128 offset1:160
	v_mul_u32_u24_sdwa v92, v75, s27 dst_sel:DWORD dst_unused:UNUSED_PAD src0_sel:WORD_0 src1_sel:DWORD
	s_waitcnt lgkmcnt(5)
	v_pk_fma_f16 v88, v34, v91, v88
	v_pk_fma_f16 v89, v35, v91, v89
	;; [unrolled: 1-line block ×4, first 2 shown]
	v_mul_u32_u24_sdwa v93, v75, s27 dst_sel:DWORD dst_unused:UNUSED_PAD src0_sel:WORD_1 src1_sel:DWORD
	ds_read2_b64 v[72:75], v69 offset0:192 offset1:224
	s_waitcnt lgkmcnt(5)
	v_pk_fma_f16 v88, v76, v92, v88
	v_pk_fma_f16 v89, v77, v92, v89
	;; [unrolled: 1-line block ×4, first 2 shown]
	ds_read2_b64 v[34:37], v70 offset1:32
	s_waitcnt lgkmcnt(5)
	v_pk_fma_f16 v88, v26, v93, v88
	v_pk_fma_f16 v89, v27, v93, v89
	;; [unrolled: 1-line block ×4, first 2 shown]
	v_mul_u32_u24_sdwa v91, v38, s27 dst_sel:DWORD dst_unused:UNUSED_PAD src0_sel:WORD_0 src1_sel:DWORD
	ds_read2_b64 v[76:79], v70 offset0:64 offset1:96
	ds_read2_b64 v[26:29], v70 offset0:128 offset1:160
	v_mul_u32_u24_sdwa v92, v38, s27 dst_sel:DWORD dst_unused:UNUSED_PAD src0_sel:WORD_1 src1_sel:DWORD
	v_mul_u32_u24_sdwa v93, v39, s27 dst_sel:DWORD dst_unused:UNUSED_PAD src0_sel:WORD_0 src1_sel:DWORD
	s_waitcnt lgkmcnt(6)
	v_pk_fma_f16 v80, v80, v91, v88
	v_pk_fma_f16 v81, v81, v91, v89
	;; [unrolled: 1-line block ×4, first 2 shown]
	v_mul_u32_u24_sdwa v83, v39, s27 dst_sel:DWORD dst_unused:UNUSED_PAD src0_sel:WORD_1 src1_sel:DWORD
	v_mul_u32_u24_sdwa v88, v40, s27 dst_sel:DWORD dst_unused:UNUSED_PAD src0_sel:WORD_0 src1_sel:DWORD
	v_mul_u32_u24_sdwa v89, v40, s27 dst_sel:DWORD dst_unused:UNUSED_PAD src0_sel:WORD_1 src1_sel:DWORD
	v_mul_u32_u24_sdwa v90, v41, s27 dst_sel:DWORD dst_unused:UNUSED_PAD src0_sel:WORD_0 src1_sel:DWORD
	v_mul_u32_u24_sdwa v91, v41, s27 dst_sel:DWORD dst_unused:UNUSED_PAD src0_sel:WORD_1 src1_sel:DWORD
	ds_read2_b64 v[38:41], v70 offset0:192 offset1:224
	s_waitcnt lgkmcnt(0)
	s_barrier
	s_load_dword s4, s[8:9], 0x4
	v_pk_fma_f16 v80, v84, v92, v80
	v_pk_fma_f16 v81, v85, v92, v81
	;; [unrolled: 1-line block ×16, first 2 shown]
	s_waitcnt lgkmcnt(0)
	s_lshl_b32 s4, s4, 6
	v_pk_fma_f16 v30, v76, v89, v30
	v_pk_fma_f16 v31, v77, v89, v31
	;; [unrolled: 1-line block ×4, first 2 shown]
	s_add_i32 s2, s4, s2
	v_pk_fma_f16 v26, v26, v90, v30
	v_pk_fma_f16 v27, v27, v90, v31
	;; [unrolled: 1-line block ×4, first 2 shown]
	s_cmp_ge_i32 s2, s28
	v_pk_fma_f16 v74, v38, v91, v26
	v_pk_fma_f16 v73, v39, v91, v27
	;; [unrolled: 1-line block ×4, first 2 shown]
	s_cbranch_scc0 .LBB9_9
.LBB9_10:
	v_cmp_lt_i32_e32 vcc, v51, v46
	s_cmp_lg_u64 s[12:13], 0
	s_cselect_b64 s[4:5], -1, 0
	v_cndmask_b32_e32 v0, v13, v51, vcc
	v_lshlrev_b32_e32 v0, 2, v0
	ds_bpermute_b32 v0, v0, v25
	v_cmp_lt_i32_e32 vcc, v50, v46
	s_cmp_eq_u32 s3, 0
	s_cselect_b64 s[6:7], -1, 0
	v_cndmask_b32_e32 v1, v13, v50, vcc
	v_lshlrev_b32_e32 v1, 2, v1
	s_waitcnt lgkmcnt(0)
	v_add_f32_e32 v0, v25, v0
	ds_bpermute_b32 v1, v1, v0
	v_cmp_lt_i32_e32 vcc, v49, v46
	s_and_b64 s[4:5], s[6:7], s[4:5]
	s_waitcnt lgkmcnt(0)
	v_add_f32_e32 v0, v0, v1
	v_cndmask_b32_e32 v4, v13, v49, vcc
	v_lshlrev_b32_e32 v4, 2, v4
	ds_bpermute_b32 v1, v4, v0
	v_cmp_lt_i32_e32 vcc, v47, v46
	s_waitcnt lgkmcnt(0)
	v_add_f32_e32 v1, v0, v1
	v_cndmask_b32_e32 v4, v13, v47, vcc
	v_lshlrev_b32_e32 v4, 2, v4
	ds_bpermute_b32 v4, v4, v1
	v_cmp_lt_i32_e32 vcc, v48, v46
	v_add_u32_e32 v0, s29, v43
	s_waitcnt lgkmcnt(0)
	v_add_f32_e32 v1, v1, v4
	v_cndmask_b32_e32 v5, v13, v48, vcc
	v_lshlrev_b32_e32 v5, 2, v5
	ds_bpermute_b32 v4, v5, v1
	s_and_b64 vcc, exec, s[4:5]
	s_waitcnt lgkmcnt(0)
	v_add_f32_e32 v25, v1, v4
	s_cbranch_vccz .LBB9_12
; %bb.11:
	v_ashrrev_i32_e32 v1, 31, v0
	v_lshl_add_u64 v[4:5], v[0:1], 2, s[12:13]
	global_load_dword v1, v[4:5], off
	v_max_f32_e32 v4, v24, v24
	s_mov_b32 s2, 0x3fb8aa3b
	s_mov_b32 s4, 0xc2ce8ed0
	s_waitcnt vmcnt(0)
	v_max_f32_e32 v5, v1, v1
	v_max_f32_e32 v4, v4, v5
	v_sub_f32_e32 v5, v24, v4
	v_sub_f32_e32 v1, v1, v4
	v_mul_f32_e32 v6, 0x3fb8aa3b, v5
	v_mul_f32_e32 v7, 0x3fb8aa3b, v1
	v_fma_f32 v8, v5, s2, -v6
	v_rndne_f32_e32 v9, v6
	v_fma_f32 v10, v1, s2, -v7
	v_rndne_f32_e32 v11, v7
	v_fmac_f32_e32 v8, 0x32a5705f, v5
	v_sub_f32_e32 v6, v6, v9
	v_fmac_f32_e32 v10, 0x32a5705f, v1
	v_sub_f32_e32 v7, v7, v11
	v_add_f32_e32 v6, v6, v8
	v_cvt_i32_f32_e32 v9, v9
	v_add_f32_e32 v7, v7, v10
	v_exp_f32_e32 v6, v6
	v_cvt_i32_f32_e32 v11, v11
	v_exp_f32_e32 v7, v7
	v_cmp_ngt_f32_e32 vcc, s4, v5
	v_ldexp_f32 v6, v6, v9
	s_mov_b32 s2, 0x42b17218
	v_ldexp_f32 v7, v7, v11
	v_cndmask_b32_e32 v6, 0, v6, vcc
	v_cmp_ngt_f32_e32 vcc, s4, v1
	v_mov_b32_e32 v8, 0x7f800000
	s_nop 0
	v_cndmask_b32_e32 v7, 0, v7, vcc
	v_cmp_nlt_f32_e32 vcc, s2, v5
	s_nop 1
	v_cndmask_b32_e32 v6, v8, v6, vcc
	v_cvt_f16_f32_e32 v9, v6
	v_cmp_nlt_f32_e32 vcc, s2, v1
	v_mul_u32_u24_e32 v1, 0x10001, v9
	s_nop 0
	v_cndmask_b32_e32 v5, v8, v7, vcc
	v_fmac_f32_e32 v5, v25, v6
	v_pk_mul_f16 v74, v74, v1
	v_pk_mul_f16 v73, v73, v1
	;; [unrolled: 1-line block ×4, first 2 shown]
	v_mov_b64_e32 v[24:25], v[4:5]
	s_branch .LBB9_13
.LBB9_12:
	v_mov_b32_e32 v5, v25
.LBB9_13:
	s_load_dword s2, s[0:1], 0xd4
	v_div_scale_f32 v1, s[0:1], v5, v5, 1.0
	v_rcp_f32_e32 v4, v1
	s_mul_i32 s33, s33, s22
	s_waitcnt lgkmcnt(0)
	s_cmp_lg_u32 s2, 1
	s_cselect_b64 s[0:1], -1, 0
	v_fma_f32 v6, -v1, v4, 1.0
	v_fmac_f32_e32 v4, v6, v4
	v_div_scale_f32 v6, vcc, 1.0, v5, 1.0
	v_mul_f32_e32 v7, v6, v4
	v_fma_f32 v8, -v1, v7, v6
	v_fmac_f32_e32 v7, v8, v4
	v_fma_f32 v1, -v1, v7, v6
	v_div_fmas_f32 v1, v1, v4, v7
	v_div_fixup_f32 v1, v1, v5, 1.0
	v_cndmask_b32_e64 v6, v1, 1.0, s[0:1]
	v_add_u32_e32 v1, s33, v3
	v_mad_u64_u32 v[0:1], s[4:5], v1, s23, v[0:1]
	v_cmp_eq_u32_e32 vcc, 0, v2
	v_cvt_f32_f16_sdwa v3, v74 dst_sel:DWORD dst_unused:UNUSED_PAD src0_sel:WORD_1
	v_cvt_f32_f16_e32 v2, v74
	v_cvt_f32_f16_sdwa v5, v73 dst_sel:DWORD dst_unused:UNUSED_PAD src0_sel:WORD_1
	v_cvt_f32_f16_e32 v4, v73
	v_mul_lo_u32 v0, s2, v0
	v_add_u32_e32 v0, s3, v0
	v_lshl_add_u32 v8, v0, 8, v42
	v_mov_b32_e32 v9, 0
	v_lshl_add_u64 v[10:11], v[8:9], 2, s[16:17]
	v_pk_mul_f32 v[2:3], v[6:7], v[2:3] op_sel_hi:[0,1]
	v_pk_mul_f32 v[4:5], v[6:7], v[4:5] op_sel_hi:[0,1]
	global_store_dwordx4 v[10:11], v[2:5], off
	v_add_u32_e32 v8, 0x80, v8
	v_lshl_add_u64 v[8:9], v[8:9], 2, s[16:17]
	v_cvt_f32_f16_sdwa v3, v72 dst_sel:DWORD dst_unused:UNUSED_PAD src0_sel:WORD_1
	v_cvt_f32_f16_e32 v2, v72
	v_cvt_f32_f16_sdwa v5, v71 dst_sel:DWORD dst_unused:UNUSED_PAD src0_sel:WORD_1
	v_cvt_f32_f16_e32 v4, v71
	s_and_b64 s[0:1], vcc, s[0:1]
	v_pk_mul_f32 v[2:3], v[6:7], v[2:3] op_sel_hi:[0,1]
	v_pk_mul_f32 v[4:5], v[6:7], v[4:5] op_sel_hi:[0,1]
	global_store_dwordx4 v[8:9], v[2:5], off
	s_and_saveexec_b64 s[2:3], s[0:1]
	s_cbranch_execz .LBB9_15
; %bb.14:
	v_mov_b32_e32 v2, s18
	v_mov_b32_e32 v3, s19
	v_ashrrev_i32_e32 v1, 31, v0
	v_lshl_add_u64 v[0:1], v[0:1], 3, v[2:3]
	global_store_dwordx2 v[0:1], v[24:25], off
.LBB9_15:
	s_endpgm
	.section	.rodata,"a",@progbits
	.p2align	6, 0x0
	.amdhsa_kernel _ZL15flash_attn_tileILi256ELi256ELi1ELi8ELb0EEvPKcS1_S1_S1_S1_PKiPfP15HIP_vector_typeIfLj2EEffffjfiS5_IjLj3EEiiiiiiiiiiiliiliiiiil
		.amdhsa_group_segment_fixed_size 22528
		.amdhsa_private_segment_fixed_size 0
		.amdhsa_kernarg_size 464
		.amdhsa_user_sgpr_count 2
		.amdhsa_user_sgpr_dispatch_ptr 0
		.amdhsa_user_sgpr_queue_ptr 0
		.amdhsa_user_sgpr_kernarg_segment_ptr 1
		.amdhsa_user_sgpr_dispatch_id 0
		.amdhsa_user_sgpr_kernarg_preload_length 0
		.amdhsa_user_sgpr_kernarg_preload_offset 0
		.amdhsa_user_sgpr_private_segment_size 0
		.amdhsa_uses_dynamic_stack 0
		.amdhsa_enable_private_segment 0
		.amdhsa_system_sgpr_workgroup_id_x 1
		.amdhsa_system_sgpr_workgroup_id_y 1
		.amdhsa_system_sgpr_workgroup_id_z 1
		.amdhsa_system_sgpr_workgroup_info 0
		.amdhsa_system_vgpr_workitem_id 1
		.amdhsa_next_free_vgpr 102
		.amdhsa_next_free_sgpr 75
		.amdhsa_accum_offset 104
		.amdhsa_reserve_vcc 1
		.amdhsa_float_round_mode_32 0
		.amdhsa_float_round_mode_16_64 0
		.amdhsa_float_denorm_mode_32 3
		.amdhsa_float_denorm_mode_16_64 3
		.amdhsa_dx10_clamp 1
		.amdhsa_ieee_mode 1
		.amdhsa_fp16_overflow 0
		.amdhsa_tg_split 0
		.amdhsa_exception_fp_ieee_invalid_op 0
		.amdhsa_exception_fp_denorm_src 0
		.amdhsa_exception_fp_ieee_div_zero 0
		.amdhsa_exception_fp_ieee_overflow 0
		.amdhsa_exception_fp_ieee_underflow 0
		.amdhsa_exception_fp_ieee_inexact 0
		.amdhsa_exception_int_div_zero 0
	.end_amdhsa_kernel
	.section	.text._ZL15flash_attn_tileILi256ELi256ELi1ELi8ELb0EEvPKcS1_S1_S1_S1_PKiPfP15HIP_vector_typeIfLj2EEffffjfiS5_IjLj3EEiiiiiiiiiiiliiliiiiil,"axG",@progbits,_ZL15flash_attn_tileILi256ELi256ELi1ELi8ELb0EEvPKcS1_S1_S1_S1_PKiPfP15HIP_vector_typeIfLj2EEffffjfiS5_IjLj3EEiiiiiiiiiiiliiliiiiil,comdat
.Lfunc_end9:
	.size	_ZL15flash_attn_tileILi256ELi256ELi1ELi8ELb0EEvPKcS1_S1_S1_S1_PKiPfP15HIP_vector_typeIfLj2EEffffjfiS5_IjLj3EEiiiiiiiiiiiliiliiiiil, .Lfunc_end9-_ZL15flash_attn_tileILi256ELi256ELi1ELi8ELb0EEvPKcS1_S1_S1_S1_PKiPfP15HIP_vector_typeIfLj2EEffffjfiS5_IjLj3EEiiiiiiiiiiiliiliiiiil
                                        ; -- End function
	.set _ZL15flash_attn_tileILi256ELi256ELi1ELi8ELb0EEvPKcS1_S1_S1_S1_PKiPfP15HIP_vector_typeIfLj2EEffffjfiS5_IjLj3EEiiiiiiiiiiiliiliiiiil.num_vgpr, 102
	.set _ZL15flash_attn_tileILi256ELi256ELi1ELi8ELb0EEvPKcS1_S1_S1_S1_PKiPfP15HIP_vector_typeIfLj2EEffffjfiS5_IjLj3EEiiiiiiiiiiiliiliiiiil.num_agpr, 0
	.set _ZL15flash_attn_tileILi256ELi256ELi1ELi8ELb0EEvPKcS1_S1_S1_S1_PKiPfP15HIP_vector_typeIfLj2EEffffjfiS5_IjLj3EEiiiiiiiiiiiliiliiiiil.numbered_sgpr, 39
	.set _ZL15flash_attn_tileILi256ELi256ELi1ELi8ELb0EEvPKcS1_S1_S1_S1_PKiPfP15HIP_vector_typeIfLj2EEffffjfiS5_IjLj3EEiiiiiiiiiiiliiliiiiil.num_named_barrier, 0
	.set _ZL15flash_attn_tileILi256ELi256ELi1ELi8ELb0EEvPKcS1_S1_S1_S1_PKiPfP15HIP_vector_typeIfLj2EEffffjfiS5_IjLj3EEiiiiiiiiiiiliiliiiiil.private_seg_size, 0
	.set _ZL15flash_attn_tileILi256ELi256ELi1ELi8ELb0EEvPKcS1_S1_S1_S1_PKiPfP15HIP_vector_typeIfLj2EEffffjfiS5_IjLj3EEiiiiiiiiiiiliiliiiiil.uses_vcc, 1
	.set _ZL15flash_attn_tileILi256ELi256ELi1ELi8ELb0EEvPKcS1_S1_S1_S1_PKiPfP15HIP_vector_typeIfLj2EEffffjfiS5_IjLj3EEiiiiiiiiiiiliiliiiiil.uses_flat_scratch, 0
	.set _ZL15flash_attn_tileILi256ELi256ELi1ELi8ELb0EEvPKcS1_S1_S1_S1_PKiPfP15HIP_vector_typeIfLj2EEffffjfiS5_IjLj3EEiiiiiiiiiiiliiliiiiil.has_dyn_sized_stack, 0
	.set _ZL15flash_attn_tileILi256ELi256ELi1ELi8ELb0EEvPKcS1_S1_S1_S1_PKiPfP15HIP_vector_typeIfLj2EEffffjfiS5_IjLj3EEiiiiiiiiiiiliiliiiiil.has_recursion, 0
	.set _ZL15flash_attn_tileILi256ELi256ELi1ELi8ELb0EEvPKcS1_S1_S1_S1_PKiPfP15HIP_vector_typeIfLj2EEffffjfiS5_IjLj3EEiiiiiiiiiiiliiliiiiil.has_indirect_call, 0
	.section	.AMDGPU.csdata,"",@progbits
; Kernel info:
; codeLenInByte = 12928
; TotalNumSgprs: 45
; NumVgprs: 102
; NumAgprs: 0
; TotalNumVgprs: 102
; ScratchSize: 0
; MemoryBound: 0
; FloatMode: 240
; IeeeMode: 1
; LDSByteSize: 22528 bytes/workgroup (compile time only)
; SGPRBlocks: 10
; VGPRBlocks: 12
; NumSGPRsForWavesPerEU: 81
; NumVGPRsForWavesPerEU: 102
; AccumOffset: 104
; Occupancy: 4
; WaveLimiterHint : 1
; COMPUTE_PGM_RSRC2:SCRATCH_EN: 0
; COMPUTE_PGM_RSRC2:USER_SGPR: 2
; COMPUTE_PGM_RSRC2:TRAP_HANDLER: 0
; COMPUTE_PGM_RSRC2:TGID_X_EN: 1
; COMPUTE_PGM_RSRC2:TGID_Y_EN: 1
; COMPUTE_PGM_RSRC2:TGID_Z_EN: 1
; COMPUTE_PGM_RSRC2:TIDIG_COMP_CNT: 1
; COMPUTE_PGM_RSRC3_GFX90A:ACCUM_OFFSET: 25
; COMPUTE_PGM_RSRC3_GFX90A:TG_SPLIT: 0
	.section	.text._ZL25flash_attn_mask_to_KV_maxILi1EEvPK7__half2Piiii,"axG",@progbits,_ZL25flash_attn_mask_to_KV_maxILi1EEvPK7__half2Piiii,comdat
	.globl	_ZL25flash_attn_mask_to_KV_maxILi1EEvPK7__half2Piiii ; -- Begin function _ZL25flash_attn_mask_to_KV_maxILi1EEvPK7__half2Piiii
	.p2align	8
	.type	_ZL25flash_attn_mask_to_KV_maxILi1EEvPK7__half2Piiii,@function
_ZL25flash_attn_mask_to_KV_maxILi1EEvPK7__half2Piiii: ; @_ZL25flash_attn_mask_to_KV_maxILi1EEvPK7__half2Piiii
; %bb.0:
	s_load_dwordx4 s[4:7], s[0:1], 0x0
	v_cmp_gt_u32_e32 vcc, 32, v0
	s_and_saveexec_b64 s[8:9], vcc
; %bb.1:
	v_lshlrev_b32_e32 v1, 2, v0
	v_mov_b32_e32 v2, 1
	ds_write_b32 v1, v2
; %bb.2:
	s_or_b64 exec, exec, s[8:9]
	s_load_dwordx4 s[16:19], s[0:1], 0x10
	s_load_dword s14, s[0:1], 0x20
	v_and_b32_e32 v2, 31, v0
	v_lshlrev_b32_e32 v4, 2, v2
	v_lshrrev_b32_e32 v1, 3, v0
	s_waitcnt lgkmcnt(0)
	s_mul_i32 s0, s18, s3
	s_mul_i32 s1, s17, s2
	s_add_i32 s0, s0, s1
	s_ashr_i32 s1, s0, 31
	s_lshl_b64 s[0:1], s[0:1], 2
	s_add_u32 s8, s4, s0
	s_addc_u32 s9, s5, s1
	v_cmp_eq_u32_e64 s[0:1], 0, v2
	v_mbcnt_lo_u32_b32 v2, -1, 0
	v_mbcnt_hi_u32_b32 v5, -1, v2
	v_and_b32_e32 v2, 0x60, v5
	s_lshl_b32 s15, s16, 8
	s_mov_b64 s[10:11], 0
	v_mov_b32_e32 v3, 0
	s_movk_i32 s16, 0x204
	v_add_u32_e32 v6, 32, v2
	v_xor_b32_e32 v7, 16, v5
	v_xor_b32_e32 v8, 8, v5
	;; [unrolled: 1-line block ×5, first 2 shown]
	s_barrier
                                        ; implicit-def: $sgpr4_sgpr5
	s_branch .LBB10_5
.LBB10_3:                               ;   in Loop: Header=BB10_5 Depth=1
	s_or_b64 exec, exec, s[12:13]
	s_waitcnt lgkmcnt(0)
	s_barrier
	ds_read_b32 v16, v4
	s_waitcnt lgkmcnt(0)
	s_barrier
	ds_bpermute_b32 v2, v2, v16
	v_cmp_ne_u32_e32 vcc, 0, v16
	s_waitcnt lgkmcnt(0)
	v_cmp_ne_u32_e64 s[4:5], 0, v2
	s_and_b64 s[4:5], vcc, s[4:5]
	s_nop 0
	v_cndmask_b32_e64 v2, 0, 1, s[4:5]
	ds_bpermute_b32 v2, v12, v2
	s_waitcnt lgkmcnt(0)
	v_cmp_ne_u32_e32 vcc, 0, v2
	s_and_b64 s[4:5], vcc, s[4:5]
	v_cndmask_b32_e64 v2, 0, 1, s[4:5]
	ds_bpermute_b32 v2, v13, v2
	s_waitcnt lgkmcnt(0)
	v_cmp_ne_u32_e32 vcc, 0, v2
	s_and_b64 s[4:5], vcc, s[4:5]
	;; [unrolled: 5-line block ×3, first 2 shown]
	v_cndmask_b32_e64 v2, 0, 1, s[4:5]
	ds_bpermute_b32 v2, v15, v2
	s_xor_b64 s[4:5], s[4:5], -1
	s_waitcnt lgkmcnt(0)
	v_cmp_eq_u32_e32 vcc, 0, v2
	s_or_b64 s[4:5], vcc, s[4:5]
.LBB10_4:                               ;   in Loop: Header=BB10_5 Depth=1
	s_and_b64 s[12:13], exec, s[4:5]
	s_or_b64 s[10:11], s[12:13], s[10:11]
	v_mov_b32_e32 v2, s15
	s_mov_b32 s15, s17
	s_andn2_b64 exec, exec, s[10:11]
	s_cbranch_execz .LBB10_10
.LBB10_5:                               ; =>This Inner Loop Header: Depth=1
	s_add_i32 s17, s15, 0xffffff00
	s_or_b64 s[4:5], s[4:5], exec
	s_cmp_lt_i32 s17, 0
	s_cbranch_scc1 .LBB10_4
; %bb.6:                                ;   in Loop: Header=BB10_5 Depth=1
	s_lshr_b32 s4, s17, 1
	v_add_u32_e32 v2, s4, v0
	v_lshl_add_u64 v[12:13], v[2:3], 2, s[8:9]
	global_load_dword v2, v[12:13], off
	v_mov_b32_e32 v12, 0
	s_waitcnt vmcnt(0)
	v_cmp_class_f16_e64 s[12:13], v2, s16
	s_and_saveexec_b64 s[4:5], s[12:13]
; %bb.7:                                ;   in Loop: Header=BB10_5 Depth=1
	v_cmp_class_f16_sdwa s[12:13], v2, s16 src0_sel:WORD_1 src1_sel:DWORD
	s_nop 1
	v_cndmask_b32_e64 v12, 0, 1, s[12:13]
; %bb.8:                                ;   in Loop: Header=BB10_5 Depth=1
	s_or_b64 exec, exec, s[4:5]
	v_cmp_lt_i32_e32 vcc, v7, v6
	s_nop 1
	v_cndmask_b32_e32 v2, v5, v7, vcc
	v_lshlrev_b32_e32 v2, 2, v2
	ds_bpermute_b32 v13, v2, v12
	v_cmp_ne_u32_e32 vcc, 0, v12
	s_waitcnt lgkmcnt(0)
	v_cmp_ne_u32_e64 s[4:5], 0, v13
	s_and_b64 s[4:5], vcc, s[4:5]
	v_cmp_lt_i32_e32 vcc, v8, v6
	v_cndmask_b32_e64 v13, 0, 1, s[4:5]
	s_nop 0
	v_cndmask_b32_e32 v12, v5, v8, vcc
	v_lshlrev_b32_e32 v12, 2, v12
	ds_bpermute_b32 v13, v12, v13
	s_waitcnt lgkmcnt(0)
	v_cmp_ne_u32_e32 vcc, 0, v13
	s_and_b64 s[4:5], vcc, s[4:5]
	v_cmp_lt_i32_e32 vcc, v9, v6
	v_cndmask_b32_e64 v14, 0, 1, s[4:5]
	s_nop 0
	v_cndmask_b32_e32 v13, v5, v9, vcc
	v_lshlrev_b32_e32 v13, 2, v13
	ds_bpermute_b32 v14, v13, v14
	s_waitcnt lgkmcnt(0)
	v_cmp_ne_u32_e32 vcc, 0, v14
	;; [unrolled: 9-line block ×3, first 2 shown]
	s_and_b64 s[4:5], vcc, s[4:5]
	v_cmp_lt_i32_e32 vcc, v11, v6
	v_cndmask_b32_e64 v16, 0, 1, s[4:5]
	s_nop 0
	v_cndmask_b32_e32 v15, v5, v11, vcc
	v_lshlrev_b32_e32 v15, 2, v15
	ds_bpermute_b32 v16, v15, v16
	s_and_saveexec_b64 s[12:13], s[0:1]
	s_cbranch_execz .LBB10_3
; %bb.9:                                ;   in Loop: Header=BB10_5 Depth=1
	s_waitcnt lgkmcnt(0)
	v_cmp_ne_u32_e32 vcc, 0, v16
	s_and_b64 s[4:5], vcc, s[4:5]
	v_cndmask_b32_e64 v16, 0, 1, s[4:5]
	ds_write_b32 v1, v16
	s_branch .LBB10_3
.LBB10_10:
	s_or_b64 exec, exec, s[10:11]
	v_cmp_eq_u32_e32 vcc, 0, v0
	s_and_saveexec_b64 s[0:1], vcc
	s_cbranch_execz .LBB10_12
; %bb.11:
	s_mul_i32 s0, s14, s3
	s_add_i32 s0, s0, s2
	s_ashr_i32 s1, s0, 31
	s_lshl_b64 s[0:1], s[0:1], 2
	s_add_u32 s0, s6, s0
	s_addc_u32 s1, s7, s1
	v_mov_b32_e32 v0, 0
	global_store_dword v0, v2, s[0:1]
.LBB10_12:
	s_endpgm
	.section	.rodata,"a",@progbits
	.p2align	6, 0x0
	.amdhsa_kernel _ZL25flash_attn_mask_to_KV_maxILi1EEvPK7__half2Piiii
		.amdhsa_group_segment_fixed_size 128
		.amdhsa_private_segment_fixed_size 0
		.amdhsa_kernarg_size 288
		.amdhsa_user_sgpr_count 2
		.amdhsa_user_sgpr_dispatch_ptr 0
		.amdhsa_user_sgpr_queue_ptr 0
		.amdhsa_user_sgpr_kernarg_segment_ptr 1
		.amdhsa_user_sgpr_dispatch_id 0
		.amdhsa_user_sgpr_kernarg_preload_length 0
		.amdhsa_user_sgpr_kernarg_preload_offset 0
		.amdhsa_user_sgpr_private_segment_size 0
		.amdhsa_uses_dynamic_stack 0
		.amdhsa_enable_private_segment 0
		.amdhsa_system_sgpr_workgroup_id_x 1
		.amdhsa_system_sgpr_workgroup_id_y 1
		.amdhsa_system_sgpr_workgroup_id_z 0
		.amdhsa_system_sgpr_workgroup_info 0
		.amdhsa_system_vgpr_workitem_id 0
		.amdhsa_next_free_vgpr 17
		.amdhsa_next_free_sgpr 20
		.amdhsa_accum_offset 20
		.amdhsa_reserve_vcc 1
		.amdhsa_float_round_mode_32 0
		.amdhsa_float_round_mode_16_64 0
		.amdhsa_float_denorm_mode_32 3
		.amdhsa_float_denorm_mode_16_64 3
		.amdhsa_dx10_clamp 1
		.amdhsa_ieee_mode 1
		.amdhsa_fp16_overflow 0
		.amdhsa_tg_split 0
		.amdhsa_exception_fp_ieee_invalid_op 0
		.amdhsa_exception_fp_denorm_src 0
		.amdhsa_exception_fp_ieee_div_zero 0
		.amdhsa_exception_fp_ieee_overflow 0
		.amdhsa_exception_fp_ieee_underflow 0
		.amdhsa_exception_fp_ieee_inexact 0
		.amdhsa_exception_int_div_zero 0
	.end_amdhsa_kernel
	.section	.text._ZL25flash_attn_mask_to_KV_maxILi1EEvPK7__half2Piiii,"axG",@progbits,_ZL25flash_attn_mask_to_KV_maxILi1EEvPK7__half2Piiii,comdat
.Lfunc_end10:
	.size	_ZL25flash_attn_mask_to_KV_maxILi1EEvPK7__half2Piiii, .Lfunc_end10-_ZL25flash_attn_mask_to_KV_maxILi1EEvPK7__half2Piiii
                                        ; -- End function
	.set _ZL25flash_attn_mask_to_KV_maxILi1EEvPK7__half2Piiii.num_vgpr, 17
	.set _ZL25flash_attn_mask_to_KV_maxILi1EEvPK7__half2Piiii.num_agpr, 0
	.set _ZL25flash_attn_mask_to_KV_maxILi1EEvPK7__half2Piiii.numbered_sgpr, 20
	.set _ZL25flash_attn_mask_to_KV_maxILi1EEvPK7__half2Piiii.num_named_barrier, 0
	.set _ZL25flash_attn_mask_to_KV_maxILi1EEvPK7__half2Piiii.private_seg_size, 0
	.set _ZL25flash_attn_mask_to_KV_maxILi1EEvPK7__half2Piiii.uses_vcc, 1
	.set _ZL25flash_attn_mask_to_KV_maxILi1EEvPK7__half2Piiii.uses_flat_scratch, 0
	.set _ZL25flash_attn_mask_to_KV_maxILi1EEvPK7__half2Piiii.has_dyn_sized_stack, 0
	.set _ZL25flash_attn_mask_to_KV_maxILi1EEvPK7__half2Piiii.has_recursion, 0
	.set _ZL25flash_attn_mask_to_KV_maxILi1EEvPK7__half2Piiii.has_indirect_call, 0
	.section	.AMDGPU.csdata,"",@progbits
; Kernel info:
; codeLenInByte = 768
; TotalNumSgprs: 26
; NumVgprs: 17
; NumAgprs: 0
; TotalNumVgprs: 17
; ScratchSize: 0
; MemoryBound: 0
; FloatMode: 240
; IeeeMode: 1
; LDSByteSize: 128 bytes/workgroup (compile time only)
; SGPRBlocks: 3
; VGPRBlocks: 2
; NumSGPRsForWavesPerEU: 26
; NumVGPRsForWavesPerEU: 17
; AccumOffset: 20
; Occupancy: 8
; WaveLimiterHint : 0
; COMPUTE_PGM_RSRC2:SCRATCH_EN: 0
; COMPUTE_PGM_RSRC2:USER_SGPR: 2
; COMPUTE_PGM_RSRC2:TRAP_HANDLER: 0
; COMPUTE_PGM_RSRC2:TGID_X_EN: 1
; COMPUTE_PGM_RSRC2:TGID_Y_EN: 1
; COMPUTE_PGM_RSRC2:TGID_Z_EN: 0
; COMPUTE_PGM_RSRC2:TIDIG_COMP_CNT: 0
; COMPUTE_PGM_RSRC3_GFX90A:ACCUM_OFFSET: 4
; COMPUTE_PGM_RSRC3_GFX90A:TG_SPLIT: 0
	.section	.text._ZL33flash_attn_stream_k_fixup_uniformILi256ELi1ELi8EEvPfPK15HIP_vector_typeIfLj2EEiiiiiiS1_IjLj3EES5_S5_,"axG",@progbits,_ZL33flash_attn_stream_k_fixup_uniformILi256ELi1ELi8EEvPfPK15HIP_vector_typeIfLj2EEiiiiiiS1_IjLj3EES5_S5_,comdat
	.globl	_ZL33flash_attn_stream_k_fixup_uniformILi256ELi1ELi8EEvPfPK15HIP_vector_typeIfLj2EEiiiiiiS1_IjLj3EES5_S5_ ; -- Begin function _ZL33flash_attn_stream_k_fixup_uniformILi256ELi1ELi8EEvPfPK15HIP_vector_typeIfLj2EEiiiiiiS1_IjLj3EES5_S5_
	.p2align	8
	.type	_ZL33flash_attn_stream_k_fixup_uniformILi256ELi1ELi8EEvPfPK15HIP_vector_typeIfLj2EEiiiiiiS1_IjLj3EES5_S5_,@function
_ZL33flash_attn_stream_k_fixup_uniformILi256ELi1ELi8EEvPfPK15HIP_vector_typeIfLj2EEiiiiiiS1_IjLj3EES5_S5_: ; @_ZL33flash_attn_stream_k_fixup_uniformILi256ELi1ELi8EEvPfPK15HIP_vector_typeIfLj2EEiiiiiiS1_IjLj3EES5_S5_
; %bb.0:
	s_load_dwordx8 s[8:15], s[0:1], 0x1c
	s_load_dwordx2 s[6:7], s[0:1], 0x10
	s_load_dwordx4 s[16:19], s[0:1], 0x3c
	s_waitcnt lgkmcnt(0)
	s_mul_hi_u32 s5, s11, s2
	s_add_i32 s5, s2, s5
	s_lshr_b32 s5, s5, s12
	s_mul_i32 s11, s5, s13
	s_sub_i32 s12, s2, s11
	s_mul_hi_u32 s11, s12, s14
	s_add_i32 s11, s12, s11
	s_lshr_b32 s11, s11, s15
	s_mul_i32 s13, s11, s16
	s_sub_i32 s12, s12, s13
	;; [unrolled: 5-line block ×3, first 2 shown]
	s_lshl_b32 s16, s13, 3
	s_add_i32 s17, s17, s3
	s_cmp_lt_i32 s17, s6
	s_cselect_b64 s[12:13], -1, 0
	s_add_i32 s16, s16, s4
	s_cmp_lt_i32 s16, s9
	s_cselect_b64 s[14:15], -1, 0
	s_and_b64 s[12:13], s[12:13], s[14:15]
	s_andn2_b64 vcc, exec, s[12:13]
	s_cbranch_vccnz .LBB11_6
; %bb.1:
	s_load_dwordx4 s[12:15], s[0:1], 0x0
	s_mul_i32 s5, s5, s6
	s_mul_i32 s11, s11, s9
	s_add_i32 s0, s17, s5
	s_mul_i32 s0, s0, s7
	s_add_i32 s1, s16, s11
	s_add_i32 s1, s1, s0
	v_lshl_or_b32 v4, s1, 8, v0
	s_waitcnt lgkmcnt(0)
	v_mov_b32_e32 v2, s12
	v_mov_b32_e32 v3, s13
	v_ashrrev_i32_e32 v5, 31, v4
	v_lshl_add_u64 v[2:3], v[4:5], 2, v[2:3]
	global_load_dword v5, v[2:3], off
	s_mul_i32 s9, s10, s2
	s_add_i32 s5, s9, s10
	s_add_i32 s0, s3, s5
	s_lshl_b32 s0, s0, 3
	s_add_i32 s0, s0, s4
	s_add_i32 s0, s0, -8
	s_ashr_i32 s1, s0, 31
	s_lshl_b64 s[0:1], s[0:1], 3
	s_add_u32 s0, s14, s0
	s_addc_u32 s1, s15, s1
	s_load_dword s12, s[0:1], 0x4
	s_add_i32 s6, s5, -2
	s_cmp_lt_i32 s6, s9
	s_cbranch_scc1 .LBB11_4
; %bb.2:
	s_lshl_b32 s6, s8, 5
	s_ashr_i32 s7, s6, 31
	s_lshl_b64 s[6:7], s[6:7], 2
	s_add_u32 s6, s14, s6
	s_addc_u32 s7, s15, s7
	s_load_dword s0, s[0:1], 0x0
	s_add_i32 s2, s2, 1
	s_lshl_b32 s1, s4, 8
	s_add_i32 s8, s3, s8
	s_mul_i32 s2, s10, s2
	s_lshl_b32 s3, s3, 11
	s_add_i32 s8, s8, s5
	s_lshl_b32 s2, s2, 11
	s_add_i32 s1, s1, s3
	s_add_i32 s11, s5, -1
	s_lshl_b32 s5, s8, 3
	s_add_i32 s1, s1, s2
	s_add_i32 s4, s4, s5
	v_or_b32_e32 v0, s1, v0
	s_add_i32 s4, s4, -16
	v_add_u32_e32 v0, 0xfffff000, v0
	s_waitcnt lgkmcnt(0)
	v_mov_b32_e32 v7, s0
	v_mov_b32_e32 v4, s12
	s_mov_b32 s2, 0x3fb8aa3b
	s_mov_b32 s3, 0xc2ce8ed0
	;; [unrolled: 1-line block ×3, first 2 shown]
	v_mov_b32_e32 v6, 0x7f800000
	s_mov_b32 s10, 0xc1a00000
.LBB11_3:                               ; =>This Inner Loop Header: Depth=1
	v_ashrrev_i32_e32 v1, 31, v0
	v_lshl_add_u64 v[8:9], v[0:1], 2, s[6:7]
	global_load_dword v9, v[8:9], off
	s_ashr_i32 s5, s4, 31
	s_lshl_b64 s[0:1], s[4:5], 3
	s_add_u32 s0, s14, s0
	s_addc_u32 s1, s15, s1
	s_load_dwordx2 s[0:1], s[0:1], 0x0
	v_max_f32_e32 v1, v7, v7
	s_add_i32 s11, s11, -1
	s_add_i32 s4, s4, -8
	v_add_u32_e32 v0, 0xfffff800, v0
	s_waitcnt lgkmcnt(0)
	v_max_f32_e64 v10, s0, s0
	v_max_f32_e32 v1, v1, v10
	v_sub_f32_e32 v11, s0, v1
	v_sub_f32_e32 v10, v7, v1
	v_mul_f32_e32 v12, 0x3fb8aa3b, v11
	v_mov_b32_e32 v7, v1
	v_mul_f32_e32 v1, 0x3fb8aa3b, v10
	v_fma_f32 v15, v11, s2, -v12
	v_rndne_f32_e32 v16, v12
	v_fma_f32 v13, v10, s2, -v1
	v_rndne_f32_e32 v14, v1
	v_fmac_f32_e32 v15, 0x32a5705f, v11
	v_sub_f32_e32 v12, v12, v16
	v_fmac_f32_e32 v13, 0x32a5705f, v10
	v_sub_f32_e32 v1, v1, v14
	v_add_f32_e32 v12, v12, v15
	v_cvt_i32_f32_e32 v16, v16
	v_add_f32_e32 v1, v1, v13
	v_exp_f32_e32 v12, v12
	v_cvt_i32_f32_e32 v14, v14
	v_exp_f32_e32 v1, v1
	v_cmp_ngt_f32_e32 vcc, s3, v11
	v_ldexp_f32 v12, v12, v16
	v_mov_b32_e32 v8, s1
	v_ldexp_f32 v1, v1, v14
	v_cmp_ngt_f32_e64 s[0:1], s3, v10
	v_cndmask_b32_e32 v12, 0, v12, vcc
	v_cmp_nlt_f32_e32 vcc, s8, v11
	v_cndmask_b32_e64 v1, 0, v1, s[0:1]
	v_cmp_nlt_f32_e64 s[0:1], s8, v10
	v_cndmask_b32_e32 v12, v6, v12, vcc
	v_cmp_le_f32_e32 vcc, s10, v11
	v_cndmask_b32_e64 v1, v6, v1, s[0:1]
	v_cmp_le_f32_e64 s[0:1], s10, v10
	v_cndmask_b32_e32 v12, 0, v12, vcc
	s_cmp_le_i32 s11, s9
	v_cndmask_b32_e64 v10, 0, v1, s[0:1]
	s_waitcnt vmcnt(0)
	v_pk_mul_f32 v[8:9], v[8:9], v[12:13] op_sel_hi:[1,0]
	s_nop 0
	v_pk_fma_f32 v[4:5], v[4:5], v[10:11], v[8:9] op_sel_hi:[1,0,1]
	s_cbranch_scc0 .LBB11_3
	s_branch .LBB11_5
.LBB11_4:
	s_waitcnt lgkmcnt(0)
	v_mov_b32_e32 v4, s12
.LBB11_5:
	s_waitcnt vmcnt(0)
	v_div_scale_f32 v0, s[0:1], v4, v4, v5
	v_rcp_f32_e32 v1, v0
	v_div_scale_f32 v6, vcc, v5, v4, v5
	v_fma_f32 v7, -v0, v1, 1.0
	v_fmac_f32_e32 v1, v7, v1
	v_mul_f32_e32 v7, v6, v1
	v_fma_f32 v8, -v0, v7, v6
	v_fmac_f32_e32 v7, v8, v1
	v_fma_f32 v0, -v0, v7, v6
	v_div_fmas_f32 v0, v0, v1, v7
	v_div_fixup_f32 v0, v0, v4, v5
	global_store_dword v[2:3], v0, off
.LBB11_6:
	s_endpgm
	.section	.rodata,"a",@progbits
	.p2align	6, 0x0
	.amdhsa_kernel _ZL33flash_attn_stream_k_fixup_uniformILi256ELi1ELi8EEvPfPK15HIP_vector_typeIfLj2EEiiiiiiS1_IjLj3EES5_S5_
		.amdhsa_group_segment_fixed_size 0
		.amdhsa_private_segment_fixed_size 0
		.amdhsa_kernarg_size 76
		.amdhsa_user_sgpr_count 2
		.amdhsa_user_sgpr_dispatch_ptr 0
		.amdhsa_user_sgpr_queue_ptr 0
		.amdhsa_user_sgpr_kernarg_segment_ptr 1
		.amdhsa_user_sgpr_dispatch_id 0
		.amdhsa_user_sgpr_kernarg_preload_length 0
		.amdhsa_user_sgpr_kernarg_preload_offset 0
		.amdhsa_user_sgpr_private_segment_size 0
		.amdhsa_uses_dynamic_stack 0
		.amdhsa_enable_private_segment 0
		.amdhsa_system_sgpr_workgroup_id_x 1
		.amdhsa_system_sgpr_workgroup_id_y 1
		.amdhsa_system_sgpr_workgroup_id_z 1
		.amdhsa_system_sgpr_workgroup_info 0
		.amdhsa_system_vgpr_workitem_id 0
		.amdhsa_next_free_vgpr 17
		.amdhsa_next_free_sgpr 20
		.amdhsa_accum_offset 20
		.amdhsa_reserve_vcc 1
		.amdhsa_float_round_mode_32 0
		.amdhsa_float_round_mode_16_64 0
		.amdhsa_float_denorm_mode_32 3
		.amdhsa_float_denorm_mode_16_64 3
		.amdhsa_dx10_clamp 1
		.amdhsa_ieee_mode 1
		.amdhsa_fp16_overflow 0
		.amdhsa_tg_split 0
		.amdhsa_exception_fp_ieee_invalid_op 0
		.amdhsa_exception_fp_denorm_src 0
		.amdhsa_exception_fp_ieee_div_zero 0
		.amdhsa_exception_fp_ieee_overflow 0
		.amdhsa_exception_fp_ieee_underflow 0
		.amdhsa_exception_fp_ieee_inexact 0
		.amdhsa_exception_int_div_zero 0
	.end_amdhsa_kernel
	.section	.text._ZL33flash_attn_stream_k_fixup_uniformILi256ELi1ELi8EEvPfPK15HIP_vector_typeIfLj2EEiiiiiiS1_IjLj3EES5_S5_,"axG",@progbits,_ZL33flash_attn_stream_k_fixup_uniformILi256ELi1ELi8EEvPfPK15HIP_vector_typeIfLj2EEiiiiiiS1_IjLj3EES5_S5_,comdat
.Lfunc_end11:
	.size	_ZL33flash_attn_stream_k_fixup_uniformILi256ELi1ELi8EEvPfPK15HIP_vector_typeIfLj2EEiiiiiiS1_IjLj3EES5_S5_, .Lfunc_end11-_ZL33flash_attn_stream_k_fixup_uniformILi256ELi1ELi8EEvPfPK15HIP_vector_typeIfLj2EEiiiiiiS1_IjLj3EES5_S5_
                                        ; -- End function
	.set _ZL33flash_attn_stream_k_fixup_uniformILi256ELi1ELi8EEvPfPK15HIP_vector_typeIfLj2EEiiiiiiS1_IjLj3EES5_S5_.num_vgpr, 17
	.set _ZL33flash_attn_stream_k_fixup_uniformILi256ELi1ELi8EEvPfPK15HIP_vector_typeIfLj2EEiiiiiiS1_IjLj3EES5_S5_.num_agpr, 0
	.set _ZL33flash_attn_stream_k_fixup_uniformILi256ELi1ELi8EEvPfPK15HIP_vector_typeIfLj2EEiiiiiiS1_IjLj3EES5_S5_.numbered_sgpr, 20
	.set _ZL33flash_attn_stream_k_fixup_uniformILi256ELi1ELi8EEvPfPK15HIP_vector_typeIfLj2EEiiiiiiS1_IjLj3EES5_S5_.num_named_barrier, 0
	.set _ZL33flash_attn_stream_k_fixup_uniformILi256ELi1ELi8EEvPfPK15HIP_vector_typeIfLj2EEiiiiiiS1_IjLj3EES5_S5_.private_seg_size, 0
	.set _ZL33flash_attn_stream_k_fixup_uniformILi256ELi1ELi8EEvPfPK15HIP_vector_typeIfLj2EEiiiiiiS1_IjLj3EES5_S5_.uses_vcc, 1
	.set _ZL33flash_attn_stream_k_fixup_uniformILi256ELi1ELi8EEvPfPK15HIP_vector_typeIfLj2EEiiiiiiS1_IjLj3EES5_S5_.uses_flat_scratch, 0
	.set _ZL33flash_attn_stream_k_fixup_uniformILi256ELi1ELi8EEvPfPK15HIP_vector_typeIfLj2EEiiiiiiS1_IjLj3EES5_S5_.has_dyn_sized_stack, 0
	.set _ZL33flash_attn_stream_k_fixup_uniformILi256ELi1ELi8EEvPfPK15HIP_vector_typeIfLj2EEiiiiiiS1_IjLj3EES5_S5_.has_recursion, 0
	.set _ZL33flash_attn_stream_k_fixup_uniformILi256ELi1ELi8EEvPfPK15HIP_vector_typeIfLj2EEiiiiiiS1_IjLj3EES5_S5_.has_indirect_call, 0
	.section	.AMDGPU.csdata,"",@progbits
; Kernel info:
; codeLenInByte = 808
; TotalNumSgprs: 26
; NumVgprs: 17
; NumAgprs: 0
; TotalNumVgprs: 17
; ScratchSize: 0
; MemoryBound: 0
; FloatMode: 240
; IeeeMode: 1
; LDSByteSize: 0 bytes/workgroup (compile time only)
; SGPRBlocks: 3
; VGPRBlocks: 2
; NumSGPRsForWavesPerEU: 26
; NumVGPRsForWavesPerEU: 17
; AccumOffset: 20
; Occupancy: 8
; WaveLimiterHint : 0
; COMPUTE_PGM_RSRC2:SCRATCH_EN: 0
; COMPUTE_PGM_RSRC2:USER_SGPR: 2
; COMPUTE_PGM_RSRC2:TRAP_HANDLER: 0
; COMPUTE_PGM_RSRC2:TGID_X_EN: 1
; COMPUTE_PGM_RSRC2:TGID_Y_EN: 1
; COMPUTE_PGM_RSRC2:TGID_Z_EN: 1
; COMPUTE_PGM_RSRC2:TIDIG_COMP_CNT: 0
; COMPUTE_PGM_RSRC3_GFX90A:ACCUM_OFFSET: 4
; COMPUTE_PGM_RSRC3_GFX90A:TG_SPLIT: 0
	.section	.text._ZL33flash_attn_stream_k_fixup_generalILi256ELi1ELi8EEvPfPK15HIP_vector_typeIfLj2EEiiiiS1_IjLj3EES5_S5_S5_,"axG",@progbits,_ZL33flash_attn_stream_k_fixup_generalILi256ELi1ELi8EEvPfPK15HIP_vector_typeIfLj2EEiiiiS1_IjLj3EES5_S5_S5_,comdat
	.globl	_ZL33flash_attn_stream_k_fixup_generalILi256ELi1ELi8EEvPfPK15HIP_vector_typeIfLj2EEiiiiS1_IjLj3EES5_S5_S5_ ; -- Begin function _ZL33flash_attn_stream_k_fixup_generalILi256ELi1ELi8EEvPfPK15HIP_vector_typeIfLj2EEiiiiS1_IjLj3EES5_S5_S5_
	.p2align	8
	.type	_ZL33flash_attn_stream_k_fixup_generalILi256ELi1ELi8EEvPfPK15HIP_vector_typeIfLj2EEiiiiS1_IjLj3EES5_S5_S5_,@function
_ZL33flash_attn_stream_k_fixup_generalILi256ELi1ELi8EEvPfPK15HIP_vector_typeIfLj2EEiiiiS1_IjLj3EES5_S5_S5_: ; @_ZL33flash_attn_stream_k_fixup_generalILi256ELi1ELi8EEvPfPK15HIP_vector_typeIfLj2EEiiiiS1_IjLj3EES5_S5_S5_
; %bb.0:
	s_load_dwordx4 s[8:11], s[0:1], 0x10
	s_load_dword s5, s[0:1], 0x50
	s_mov_b32 s12, 0
	s_waitcnt lgkmcnt(0)
	s_mul_hi_i32 s13, s11, s2
	s_cmp_lg_u64 s[12:13], 0
	s_mul_i32 s18, s11, s2
	s_cbranch_scc0 .LBB12_20
; %bb.1:
	s_add_u32 s6, s5, 0
	s_addc_u32 s7, 0, 0
	s_xor_b64 s[6:7], s[6:7], 0
	v_cvt_f32_u32_e32 v1, s6
	v_cvt_f32_u32_e32 v2, s7
	s_sub_u32 s12, 0, s6
	s_subb_u32 s19, 0, s7
	v_fmamk_f32 v1, v2, 0x4f800000, v1
	v_rcp_f32_e32 v1, v1
	s_nop 0
	v_mul_f32_e32 v1, 0x5f7ffffc, v1
	v_mul_f32_e32 v2, 0x2f800000, v1
	v_trunc_f32_e32 v2, v2
	v_fmamk_f32 v1, v2, 0xcf800000, v1
	v_cvt_u32_f32_e32 v2, v2
	v_cvt_u32_f32_e32 v1, v1
	v_readfirstlane_b32 s20, v2
	v_readfirstlane_b32 s14, v1
	s_mul_i32 s15, s12, s20
	s_mul_hi_u32 s22, s12, s14
	s_mul_i32 s21, s19, s14
	s_add_i32 s15, s22, s15
	s_add_i32 s15, s15, s21
	s_mul_i32 s23, s12, s14
	s_mul_i32 s22, s14, s15
	s_mul_hi_u32 s24, s14, s23
	s_mul_hi_u32 s21, s14, s15
	s_add_u32 s22, s24, s22
	s_addc_u32 s21, 0, s21
	s_mul_hi_u32 s25, s20, s23
	s_mul_i32 s23, s20, s23
	s_add_u32 s22, s22, s23
	s_mul_hi_u32 s24, s20, s15
	s_addc_u32 s21, s21, s25
	s_addc_u32 s22, s24, 0
	s_mul_i32 s15, s20, s15
	s_add_u32 s15, s21, s15
	s_addc_u32 s21, 0, s22
	s_add_u32 s22, s14, s15
	s_cselect_b64 s[14:15], -1, 0
	s_cmp_lg_u64 s[14:15], 0
	s_addc_u32 s20, s20, s21
	s_mul_i32 s14, s12, s20
	s_mul_hi_u32 s15, s12, s22
	s_add_i32 s14, s15, s14
	s_mul_i32 s19, s19, s22
	s_add_i32 s14, s14, s19
	s_mul_i32 s12, s12, s22
	s_mul_hi_u32 s19, s20, s12
	s_mul_i32 s21, s20, s12
	s_mul_i32 s24, s22, s14
	s_mul_hi_u32 s12, s22, s12
	s_mul_hi_u32 s23, s22, s14
	s_add_u32 s12, s12, s24
	s_addc_u32 s23, 0, s23
	s_add_u32 s12, s12, s21
	s_mul_hi_u32 s15, s20, s14
	s_addc_u32 s12, s23, s19
	s_addc_u32 s15, s15, 0
	s_mul_i32 s14, s20, s14
	s_add_u32 s12, s12, s14
	s_addc_u32 s19, 0, s15
	s_add_u32 s21, s22, s12
	s_cselect_b64 s[14:15], -1, 0
	s_cmp_lg_u64 s[14:15], 0
	s_addc_u32 s19, s20, s19
	s_ashr_i32 s14, s13, 31
	s_add_u32 s12, s18, s14
	s_mov_b32 s15, s14
	s_addc_u32 s13, s13, s14
	s_xor_b64 s[12:13], s[12:13], s[14:15]
	s_mul_i32 s22, s12, s19
	s_mul_hi_u32 s23, s12, s21
	s_mul_hi_u32 s20, s12, s19
	s_add_u32 s22, s23, s22
	s_addc_u32 s20, 0, s20
	s_mul_hi_u32 s24, s13, s21
	s_mul_i32 s21, s13, s21
	s_add_u32 s21, s22, s21
	s_mul_hi_u32 s23, s13, s19
	s_addc_u32 s20, s20, s24
	s_addc_u32 s21, s23, 0
	s_mul_i32 s19, s13, s19
	s_add_u32 s19, s20, s19
	s_addc_u32 s24, 0, s21
	s_mul_i32 s20, s6, s24
	s_mul_hi_u32 s21, s6, s19
	s_add_i32 s20, s21, s20
	s_mul_i32 s21, s7, s19
	s_add_i32 s25, s20, s21
	s_sub_i32 s22, s13, s25
	s_mul_i32 s20, s6, s19
	s_sub_u32 s12, s12, s20
	s_cselect_b64 s[20:21], -1, 0
	s_cmp_lg_u64 s[20:21], 0
	s_subb_u32 s26, s22, s7
	s_sub_u32 s27, s12, s6
	s_cselect_b64 s[22:23], -1, 0
	s_cmp_lg_u64 s[22:23], 0
	s_subb_u32 s22, s26, 0
	s_cmp_ge_u32 s22, s7
	s_cselect_b32 s23, -1, 0
	s_cmp_ge_u32 s27, s6
	s_cselect_b32 s26, -1, 0
	s_cmp_eq_u32 s22, s7
	s_cselect_b32 s22, s26, s23
	s_add_u32 s23, s19, 1
	s_addc_u32 s26, s24, 0
	s_add_u32 s27, s19, 2
	s_addc_u32 s28, s24, 0
	s_cmp_lg_u32 s22, 0
	s_cselect_b32 s22, s27, s23
	s_cselect_b32 s23, s28, s26
	s_cmp_lg_u64 s[20:21], 0
	s_subb_u32 s13, s13, s25
	s_cmp_ge_u32 s13, s7
	s_cselect_b32 s20, -1, 0
	s_cmp_ge_u32 s12, s6
	s_cselect_b32 s6, -1, 0
	s_cmp_eq_u32 s13, s7
	s_cselect_b32 s6, s6, s20
	s_cmp_lg_u32 s6, 0
	s_cselect_b32 s7, s23, s24
	s_cselect_b32 s6, s22, s19
	s_xor_b64 s[12:13], s[14:15], 0
	s_xor_b64 s[6:7], s[6:7], s[12:13]
	s_sub_u32 s6, s6, s12
	s_load_dwordx4 s[12:15], s[0:1], 0x44
	s_cbranch_execnz .LBB12_3
.LBB12_2:
	v_cvt_f32_u32_e32 v1, s5
	s_sub_i32 s6, 0, s5
	v_rcp_iflag_f32_e32 v1, v1
	s_nop 0
	v_mul_f32_e32 v1, 0x4f7ffffe, v1
	v_cvt_u32_f32_e32 v1, v1
	s_nop 0
	v_readfirstlane_b32 s7, v1
	s_mul_i32 s6, s6, s7
	s_mul_hi_u32 s6, s7, s6
	s_add_i32 s7, s7, s6
	s_mul_hi_u32 s6, s18, s7
	s_waitcnt lgkmcnt(0)
	s_mul_i32 s15, s6, s5
	s_sub_i32 s15, s18, s15
	s_add_i32 s7, s6, 1
	s_sub_i32 s16, s15, s5
	s_cmp_ge_u32 s15, s5
	s_cselect_b32 s6, s7, s6
	s_cselect_b32 s15, s16, s15
	s_add_i32 s7, s6, 1
	s_cmp_ge_u32 s15, s5
	s_cselect_b32 s6, s7, s6
.LBB12_3:
	s_add_i32 s7, s2, 1
	s_mul_hi_i32 s21, s11, s7
	s_mov_b32 s20, 0
	s_cmp_lg_u64 s[20:21], 0
	s_mul_i32 s7, s11, s7
	s_cbranch_scc0 .LBB12_21
; %bb.4:
	s_add_u32 s16, s5, 0
	s_addc_u32 s17, 0, 0
	s_xor_b64 s[18:19], s[16:17], 0
	v_cvt_f32_u32_e32 v1, s18
	v_cvt_f32_u32_e32 v2, s19
	s_waitcnt lgkmcnt(0)
	s_sub_u32 s15, 0, s18
	s_subb_u32 s20, 0, s19
	v_fmamk_f32 v1, v2, 0x4f800000, v1
	v_rcp_f32_e32 v1, v1
	s_nop 0
	v_mul_f32_e32 v1, 0x5f7ffffc, v1
	v_mul_f32_e32 v2, 0x2f800000, v1
	v_trunc_f32_e32 v2, v2
	v_fmamk_f32 v1, v2, 0xcf800000, v1
	v_cvt_u32_f32_e32 v2, v2
	v_cvt_u32_f32_e32 v1, v1
	v_readfirstlane_b32 s24, v2
	v_readfirstlane_b32 s22, v1
	s_mul_i32 s23, s15, s24
	s_mul_hi_u32 s26, s15, s22
	s_mul_i32 s25, s20, s22
	s_add_i32 s23, s26, s23
	s_add_i32 s23, s23, s25
	s_mul_i32 s27, s15, s22
	s_mul_i32 s26, s22, s23
	s_mul_hi_u32 s28, s22, s27
	s_mul_hi_u32 s25, s22, s23
	s_add_u32 s26, s28, s26
	s_addc_u32 s25, 0, s25
	s_mul_hi_u32 s29, s24, s27
	s_mul_i32 s27, s24, s27
	s_add_u32 s26, s26, s27
	s_mul_hi_u32 s28, s24, s23
	s_addc_u32 s25, s25, s29
	s_addc_u32 s26, s28, 0
	s_mul_i32 s23, s24, s23
	s_add_u32 s23, s25, s23
	s_addc_u32 s25, 0, s26
	s_add_u32 s26, s22, s23
	s_cselect_b64 s[22:23], -1, 0
	s_cmp_lg_u64 s[22:23], 0
	s_addc_u32 s24, s24, s25
	s_mul_i32 s22, s15, s24
	s_mul_hi_u32 s23, s15, s26
	s_add_i32 s22, s23, s22
	s_mul_i32 s20, s20, s26
	s_add_i32 s22, s22, s20
	s_mul_i32 s15, s15, s26
	s_mul_hi_u32 s23, s24, s15
	s_mul_i32 s25, s24, s15
	s_mul_i32 s28, s26, s22
	s_mul_hi_u32 s15, s26, s15
	s_mul_hi_u32 s27, s26, s22
	s_add_u32 s15, s15, s28
	s_addc_u32 s27, 0, s27
	s_add_u32 s15, s15, s25
	s_mul_hi_u32 s20, s24, s22
	s_addc_u32 s15, s27, s23
	s_addc_u32 s20, s20, 0
	s_mul_i32 s22, s24, s22
	s_add_u32 s15, s15, s22
	s_addc_u32 s20, 0, s20
	s_add_u32 s15, s26, s15
	s_cselect_b64 s[22:23], -1, 0
	s_cmp_lg_u64 s[22:23], 0
	s_addc_u32 s24, s24, s20
	s_ashr_i32 s22, s21, 31
	s_add_u32 s20, s7, s22
	s_mov_b32 s23, s22
	s_addc_u32 s21, s21, s22
	s_xor_b64 s[20:21], s[20:21], s[22:23]
	s_mul_i32 s26, s20, s24
	s_mul_hi_u32 s27, s20, s15
	s_mul_hi_u32 s25, s20, s24
	s_add_u32 s26, s27, s26
	s_addc_u32 s25, 0, s25
	s_mul_hi_u32 s28, s21, s15
	s_mul_i32 s15, s21, s15
	s_add_u32 s15, s26, s15
	s_mul_hi_u32 s27, s21, s24
	s_addc_u32 s15, s25, s28
	s_addc_u32 s25, s27, 0
	s_mul_i32 s24, s21, s24
	s_add_u32 s15, s15, s24
	s_addc_u32 s28, 0, s25
	s_mul_i32 s24, s18, s28
	s_mul_hi_u32 s25, s18, s15
	s_add_i32 s24, s25, s24
	s_mul_i32 s25, s19, s15
	s_add_i32 s29, s24, s25
	s_sub_i32 s26, s21, s29
	s_mul_i32 s24, s18, s15
	s_sub_u32 s20, s20, s24
	s_cselect_b64 s[24:25], -1, 0
	s_cmp_lg_u64 s[24:25], 0
	s_subb_u32 s30, s26, s19
	s_sub_u32 s31, s20, s18
	s_cselect_b64 s[26:27], -1, 0
	s_cmp_lg_u64 s[26:27], 0
	s_subb_u32 s26, s30, 0
	s_cmp_ge_u32 s26, s19
	s_cselect_b32 s27, -1, 0
	s_cmp_ge_u32 s31, s18
	s_cselect_b32 s30, -1, 0
	s_cmp_eq_u32 s26, s19
	s_cselect_b32 s26, s30, s27
	s_add_u32 s27, s15, 1
	s_addc_u32 s30, s28, 0
	s_add_u32 s31, s15, 2
	s_addc_u32 s33, s28, 0
	s_cmp_lg_u32 s26, 0
	s_cselect_b32 s26, s31, s27
	s_cselect_b32 s27, s33, s30
	s_cmp_lg_u64 s[24:25], 0
	s_subb_u32 s21, s21, s29
	s_cmp_ge_u32 s21, s19
	s_cselect_b32 s24, -1, 0
	s_cmp_ge_u32 s20, s18
	s_cselect_b32 s18, -1, 0
	s_cmp_eq_u32 s21, s19
	s_cselect_b32 s18, s18, s24
	s_cmp_lg_u32 s18, 0
	s_cselect_b32 s19, s27, s28
	s_cselect_b32 s18, s26, s15
	s_xor_b64 s[20:21], s[22:23], 0
	s_xor_b64 s[18:19], s[18:19], s[20:21]
	s_sub_u32 s18, s18, s20
	s_cbranch_execnz .LBB12_6
.LBB12_5:
	v_cvt_f32_u32_e32 v1, s5
	s_waitcnt lgkmcnt(0)
	s_sub_i32 s15, 0, s5
	v_rcp_iflag_f32_e32 v1, v1
	s_nop 0
	v_mul_f32_e32 v1, 0x4f7ffffe, v1
	v_cvt_u32_f32_e32 v1, v1
	s_nop 0
	v_readfirstlane_b32 s16, v1
	s_mul_i32 s15, s15, s16
	s_mul_hi_u32 s15, s16, s15
	s_add_i32 s16, s16, s15
	s_mul_hi_u32 s15, s7, s16
	s_mul_i32 s17, s15, s5
	s_sub_i32 s7, s7, s17
	s_add_i32 s16, s15, 1
	s_sub_i32 s17, s7, s5
	s_cmp_ge_u32 s7, s5
	s_cselect_b32 s15, s16, s15
	s_cselect_b32 s7, s17, s7
	s_add_i32 s16, s15, 1
	s_cmp_ge_u32 s7, s5
	s_cselect_b32 s18, s16, s15
.LBB12_6:
	s_cmp_eq_u32 s6, s18
	s_waitcnt lgkmcnt(0)
	s_mul_hi_u32 s7, s6, s12
	s_cselect_b64 s[16:17], -1, 0
	s_add_i32 s7, s7, s6
	s_lshr_b32 s7, s7, s13
	s_mul_i32 s15, s7, s14
	s_cmp_eq_u32 s15, s6
	s_mul_hi_u32 s15, s18, s12
	s_cselect_b64 s[20:21], -1, 0
	s_add_i32 s15, s15, s18
	s_lshr_b32 s15, s15, s13
	s_cmp_eq_u32 s7, s15
	s_mul_i32 s15, s15, s14
	s_cselect_b64 s[22:23], -1, 0
	s_cmp_lg_u32 s15, s18
	s_cselect_b64 s[18:19], -1, 0
	s_and_b64 s[18:19], s[22:23], s[18:19]
	s_or_b64 s[16:17], s[16:17], s[20:21]
	s_or_b64 s[16:17], s[16:17], s[18:19]
	s_and_b64 vcc, exec, s[16:17]
	s_cbranch_vccnz .LBB12_23
; %bb.7:
	s_load_dwordx8 s[16:23], s[0:1], 0x20
	s_load_dword s24, s[0:1], 0x40
	s_waitcnt lgkmcnt(0)
	s_mul_hi_u32 s15, s6, s16
	s_add_i32 s15, s15, s6
	s_lshr_b32 s15, s15, s17
	s_mul_i32 s16, s15, s18
	s_sub_i32 s16, s6, s16
	s_mul_hi_u32 s17, s16, s19
	s_add_i32 s17, s16, s17
	s_lshr_b32 s20, s17, s20
	s_mul_i32 s17, s20, s21
	s_sub_i32 s16, s16, s17
	;; [unrolled: 5-line block ×3, first 2 shown]
	s_lshl_b32 s22, s17, 3
	s_mul_hi_u32 s17, s16, s12
	s_add_i32 s16, s16, s17
	s_lshr_b32 s21, s16, s13
	s_add_i32 s21, s21, s3
	s_cmp_lt_i32 s21, s8
	s_cselect_b64 s[16:17], -1, 0
	s_add_i32 s22, s22, s4
	s_cmp_lt_i32 s22, s10
	s_cselect_b64 s[18:19], -1, 0
	s_and_b64 s[16:17], s[16:17], s[18:19]
	s_andn2_b64 vcc, exec, s[16:17]
	s_cbranch_vccnz .LBB12_23
; %bb.8:
	s_load_dwordx4 s[16:19], s[0:1], 0x0
	s_mov_b32 s0, 0
	s_lshl_b32 s24, s5, 5
	s_mov_b32 s25, s0
	s_mul_i32 s15, s15, s8
	s_waitcnt lgkmcnt(0)
	v_mov_b32_e32 v2, s16
	v_mov_b32_e32 v3, s17
	s_lshl_b64 s[16:17], s[24:25], 2
	s_add_u32 s16, s18, s16
	s_addc_u32 s17, s19, s17
	s_mul_i32 s20, s20, s10
	s_add_i32 s1, s21, s15
	s_mul_i32 s1, s1, s9
	s_add_i32 s8, s22, s20
	s_add_i32 s8, s8, s1
	v_lshl_or_b32 v4, s8, 8, v0
	v_ashrrev_i32_e32 v5, 31, v4
	v_lshl_add_u64 v[2:3], v[4:5], 2, v[2:3]
	global_load_dword v1, v[2:3], off
	s_add_i32 s1, s3, s2
	v_cvt_f32_u32_e32 v4, s5
	s_lshl_b32 s1, s1, 3
	s_add_i32 s8, s1, s4
	s_ashr_i32 s9, s8, 31
	s_lshl_b64 s[8:9], s[8:9], 3
	v_rcp_iflag_f32_e32 v4, v4
	s_add_u32 s8, s18, s8
	s_addc_u32 s9, s19, s9
	s_load_dwordx2 s[8:9], s[8:9], 0x0
	v_mul_f32_e32 v4, 0x4f7ffffe, v4
	v_cvt_u32_f32_e32 v7, v4
	s_add_i32 s25, s2, -1
	v_lshl_or_b32 v6, s4, 8, v0
	s_waitcnt lgkmcnt(0)
	v_mov_b32_e32 v0, s9
	v_mov_b32_e32 v9, s8
	s_mov_b32 s2, 0x3fb8aa3b
	s_mov_b32 s10, 0xc2ce8ed0
	;; [unrolled: 1-line block ×4, first 2 shown]
	v_mov_b32_e32 v8, 0x7f800000
	s_mul_hi_i32 s1, s25, s11
	s_cmp_lg_u64 s[0:1], 0
	s_mul_i32 s22, s25, s11
	s_cbranch_scc0 .LBB12_19
.LBB12_9:
	s_add_u32 s8, s5, 0
	s_addc_u32 s9, 0, 0
	s_xor_b64 s[8:9], s[8:9], 0
	v_cvt_f32_u32_e32 v4, s8
	v_cvt_f32_u32_e32 v5, s9
	s_sub_u32 s23, 0, s8
	s_subb_u32 s26, 0, s9
	v_fmac_f32_e32 v4, 0x4f800000, v5
	v_rcp_f32_e32 v4, v4
	s_nop 0
	v_mul_f32_e32 v4, 0x5f7ffffc, v4
	v_mul_f32_e32 v5, 0x2f800000, v4
	v_trunc_f32_e32 v5, v5
	v_fmac_f32_e32 v4, 0xcf800000, v5
	v_cvt_u32_f32_e32 v5, v5
	v_cvt_u32_f32_e32 v4, v4
	v_readfirstlane_b32 s27, v5
	v_readfirstlane_b32 s20, v4
	s_mul_i32 s21, s23, s27
	s_mul_hi_u32 s29, s23, s20
	s_mul_i32 s28, s26, s20
	s_add_i32 s21, s29, s21
	s_mul_i32 s30, s23, s20
	s_add_i32 s21, s21, s28
	s_mul_i32 s29, s20, s21
	s_mul_hi_u32 s31, s20, s30
	s_mul_hi_u32 s28, s20, s21
	s_add_u32 s29, s31, s29
	s_addc_u32 s28, 0, s28
	s_mul_hi_u32 s33, s27, s30
	s_mul_i32 s30, s27, s30
	s_add_u32 s29, s29, s30
	s_mul_hi_u32 s31, s27, s21
	s_addc_u32 s28, s28, s33
	s_addc_u32 s29, s31, 0
	s_mul_i32 s21, s27, s21
	s_add_u32 s21, s28, s21
	s_addc_u32 s28, 0, s29
	s_add_u32 s29, s20, s21
	s_cselect_b64 s[20:21], -1, 0
	s_cmp_lg_u64 s[20:21], 0
	s_addc_u32 s27, s27, s28
	s_mul_i32 s20, s23, s27
	s_mul_hi_u32 s21, s23, s29
	s_add_i32 s20, s21, s20
	s_mul_i32 s26, s26, s29
	s_add_i32 s20, s20, s26
	s_mul_i32 s23, s23, s29
	s_mul_hi_u32 s26, s27, s23
	s_mul_i32 s28, s27, s23
	s_mul_i32 s31, s29, s20
	s_mul_hi_u32 s23, s29, s23
	s_mul_hi_u32 s30, s29, s20
	s_add_u32 s23, s23, s31
	s_addc_u32 s30, 0, s30
	s_add_u32 s23, s23, s28
	s_mul_hi_u32 s21, s27, s20
	s_addc_u32 s23, s30, s26
	s_addc_u32 s21, s21, 0
	s_mul_i32 s20, s27, s20
	s_add_u32 s20, s23, s20
	s_addc_u32 s23, 0, s21
	s_add_u32 s28, s29, s20
	s_cselect_b64 s[20:21], -1, 0
	s_cmp_lg_u64 s[20:21], 0
	s_addc_u32 s23, s27, s23
	s_ashr_i32 s20, s1, 31
	s_add_u32 s26, s22, s20
	s_mov_b32 s21, s20
	s_addc_u32 s27, s1, s20
	s_xor_b64 s[26:27], s[26:27], s[20:21]
	s_mul_i32 s29, s26, s23
	s_mul_hi_u32 s30, s26, s28
	s_mul_hi_u32 s1, s26, s23
	s_add_u32 s29, s30, s29
	s_addc_u32 s1, 0, s1
	s_mul_hi_u32 s31, s27, s28
	s_mul_i32 s28, s27, s28
	s_add_u32 s28, s29, s28
	s_mul_hi_u32 s30, s27, s23
	s_addc_u32 s1, s1, s31
	s_addc_u32 s28, s30, 0
	s_mul_i32 s23, s27, s23
	s_add_u32 s1, s1, s23
	s_addc_u32 s23, 0, s28
	s_mul_i32 s28, s8, s23
	s_mul_hi_u32 s29, s8, s1
	s_add_i32 s28, s29, s28
	s_mul_i32 s29, s9, s1
	s_add_i32 s33, s28, s29
	s_sub_i32 s30, s27, s33
	s_mul_i32 s28, s8, s1
	s_sub_u32 s26, s26, s28
	s_cselect_b64 s[28:29], -1, 0
	s_cmp_lg_u64 s[28:29], 0
	s_subb_u32 s34, s30, s9
	s_sub_u32 s35, s26, s8
	s_cselect_b64 s[30:31], -1, 0
	s_cmp_lg_u64 s[30:31], 0
	s_subb_u32 s30, s34, 0
	s_cmp_ge_u32 s30, s9
	s_cselect_b32 s31, -1, 0
	s_cmp_ge_u32 s35, s8
	s_cselect_b32 s34, -1, 0
	s_cmp_eq_u32 s30, s9
	s_cselect_b32 s30, s34, s31
	s_add_u32 s31, s1, 1
	s_addc_u32 s34, s23, 0
	s_add_u32 s35, s1, 2
	s_addc_u32 s36, s23, 0
	s_cmp_lg_u32 s30, 0
	s_cselect_b32 s30, s35, s31
	s_cselect_b32 s31, s36, s34
	s_cmp_lg_u64 s[28:29], 0
	s_subb_u32 s27, s27, s33
	s_cmp_ge_u32 s27, s9
	s_cselect_b32 s28, -1, 0
	s_cmp_ge_u32 s26, s8
	s_cselect_b32 s8, -1, 0
	s_cmp_eq_u32 s27, s9
	s_cselect_b32 s8, s8, s28
	s_cmp_lg_u32 s8, 0
	s_cselect_b32 s9, s31, s23
	s_cselect_b32 s8, s30, s1
	s_xor_b64 s[20:21], s[20:21], 0
	s_xor_b64 s[8:9], s[8:9], s[20:21]
	s_sub_u32 s20, s8, s20
	s_cbranch_execnz .LBB12_11
.LBB12_10:
	s_sub_i32 s1, 0, s5
	v_readfirstlane_b32 s8, v7
	s_mul_i32 s1, s1, s8
	s_mul_hi_u32 s1, s8, s1
	s_add_i32 s8, s8, s1
	s_mul_hi_u32 s1, s22, s8
	s_mul_i32 s9, s1, s5
	s_sub_i32 s9, s22, s9
	s_add_i32 s8, s1, 1
	s_sub_i32 s20, s9, s5
	s_cmp_ge_u32 s9, s5
	s_cselect_b32 s1, s8, s1
	s_cselect_b32 s9, s20, s9
	s_add_i32 s8, s1, 1
	s_cmp_ge_u32 s9, s5
	s_cselect_b32 s20, s8, s1
.LBB12_11:
	s_cmp_lg_u32 s6, s20
	s_cbranch_scc0 .LBB12_15
; %bb.12:
	s_add_i32 s21, s25, s3
	s_add_i32 s1, s21, s5
	s_lshl_b32 s1, s1, 3
	s_add_i32 s8, s1, s4
	s_mov_b32 s9, s0
	s_lshl_b64 s[8:9], s[8:9], 3
	s_add_u32 s22, s18, s8
	s_mul_hi_u32 s1, s20, s12
	s_addc_u32 s23, s19, s9
	s_add_i32 s1, s1, s20
	s_lshr_b32 s1, s1, s13
	s_mul_i32 s8, s1, s14
	s_cmp_eq_u32 s8, s20
	s_cselect_b64 s[8:9], -1, 0
	s_cmp_lt_u32 s1, s7
	s_cselect_b64 s[26:27], -1, 0
	s_or_b64 s[26:27], s[26:27], s[8:9]
	s_mov_b64 s[8:9], -1
	s_and_b64 vcc, exec, s[26:27]
	s_mov_b32 s1, s25
	s_mov_b32 s26, s6
	s_cbranch_vccnz .LBB12_14
; %bb.13:
	s_add_i32 s1, s25, -1
	s_mov_b64 s[8:9], 0
	s_mov_b32 s26, s20
.LBB12_14:
	v_lshl_add_u32 v4, s21, 11, v6
	v_ashrrev_i32_e32 v5, 31, v4
	v_lshl_add_u64 v[4:5], v[4:5], 2, s[16:17]
	global_load_dword v5, v[4:5], off
	s_load_dwordx2 s[20:21], s[22:23], 0x0
	v_max_f32_e32 v4, v9, v9
	s_waitcnt lgkmcnt(0)
	v_max_f32_e64 v10, s20, s20
	v_max_f32_e32 v10, v4, v10
	v_sub_f32_e32 v11, v9, v10
	v_sub_f32_e32 v13, s20, v10
	v_mul_f32_e32 v4, 0x3fb8aa3b, v11
	v_mul_f32_e32 v12, 0x3fb8aa3b, v13
	v_fma_f32 v14, v11, s2, -v4
	v_rndne_f32_e32 v15, v4
	v_fma_f32 v16, v13, s2, -v12
	v_rndne_f32_e32 v17, v12
	v_fmac_f32_e32 v14, 0x32a5705f, v11
	v_sub_f32_e32 v4, v4, v15
	v_fmac_f32_e32 v16, 0x32a5705f, v13
	v_sub_f32_e32 v12, v12, v17
	v_add_f32_e32 v4, v4, v14
	v_cvt_i32_f32_e32 v15, v15
	v_add_f32_e32 v12, v12, v16
	v_exp_f32_e32 v14, v4
	v_cvt_i32_f32_e32 v17, v17
	v_exp_f32_e32 v12, v12
	v_cmp_ngt_f32_e32 vcc, s10, v11
	v_ldexp_f32 v14, v14, v15
	v_mov_b32_e32 v4, s21
	v_ldexp_f32 v12, v12, v17
	v_cndmask_b32_e32 v14, 0, v14, vcc
	v_cmp_ngt_f32_e32 vcc, s10, v13
	s_nop 1
	v_cndmask_b32_e32 v12, 0, v12, vcc
	v_cmp_nlt_f32_e32 vcc, s15, v11
	s_nop 1
	v_cndmask_b32_e32 v14, v8, v14, vcc
	v_cmp_nlt_f32_e32 vcc, s15, v13
	s_nop 1
	v_cndmask_b32_e32 v15, v8, v12, vcc
	v_cmp_le_f32_e32 vcc, s24, v11
	s_nop 1
	v_cndmask_b32_e32 v12, 0, v14, vcc
	v_cmp_le_f32_e32 vcc, s24, v13
	s_nop 1
	v_cndmask_b32_e32 v14, 0, v15, vcc
	s_waitcnt vmcnt(0)
	v_pk_mul_f32 v[4:5], v[4:5], v[14:15] op_sel_hi:[1,0]
	s_nop 0
	v_pk_fma_f32 v[4:5], v[0:1], v[12:13], v[4:5] op_sel_hi:[1,0,1]
	s_cbranch_execz .LBB12_16
	s_branch .LBB12_17
.LBB12_15:
                                        ; implicit-def: $vgpr4_vgpr5
                                        ; implicit-def: $sgpr8_sgpr9
                                        ; implicit-def: $vgpr10
                                        ; implicit-def: $sgpr1
                                        ; implicit-def: $sgpr26
.LBB12_16:
	s_add_i32 s1, s25, -1
	s_mov_b64 s[8:9], 0
	s_mov_b32 s26, s6
	v_mov_b32_e32 v10, v9
	s_waitcnt vmcnt(0)
	v_mov_b64_e32 v[4:5], v[0:1]
.LBB12_17:
	s_andn2_b64 vcc, exec, s[8:9]
	s_cbranch_vccz .LBB12_22
; %bb.18:
	s_mov_b32 s6, s26
	s_mov_b32 s25, s1
	v_mov_b32_e32 v9, v10
	s_waitcnt vmcnt(0)
	v_mov_b64_e32 v[0:1], v[4:5]
	s_mul_hi_i32 s1, s25, s11
	s_cmp_lg_u64 s[0:1], 0
	s_mul_i32 s22, s25, s11
	s_cbranch_scc1 .LBB12_9
.LBB12_19:
                                        ; implicit-def: $sgpr20_sgpr21
	s_branch .LBB12_10
.LBB12_20:
                                        ; implicit-def: $sgpr6_sgpr7
	s_load_dwordx4 s[12:15], s[0:1], 0x44
	s_branch .LBB12_2
.LBB12_21:
                                        ; implicit-def: $sgpr18_sgpr19
	s_branch .LBB12_5
.LBB12_22:
	v_div_scale_f32 v0, s[0:1], v4, v4, v5
	s_waitcnt vmcnt(0)
	v_rcp_f32_e32 v1, v0
	v_div_scale_f32 v6, vcc, v5, v4, v5
	v_fma_f32 v7, -v0, v1, 1.0
	v_fmac_f32_e32 v1, v7, v1
	v_mul_f32_e32 v7, v6, v1
	v_fma_f32 v8, -v0, v7, v6
	v_fmac_f32_e32 v7, v8, v1
	v_fma_f32 v0, -v0, v7, v6
	v_div_fmas_f32 v0, v0, v1, v7
	v_div_fixup_f32 v0, v0, v4, v5
	global_store_dword v[2:3], v0, off
.LBB12_23:
	s_endpgm
	.section	.rodata,"a",@progbits
	.p2align	6, 0x0
	.amdhsa_kernel _ZL33flash_attn_stream_k_fixup_generalILi256ELi1ELi8EEvPfPK15HIP_vector_typeIfLj2EEiiiiS1_IjLj3EES5_S5_S5_
		.amdhsa_group_segment_fixed_size 0
		.amdhsa_private_segment_fixed_size 0
		.amdhsa_kernarg_size 336
		.amdhsa_user_sgpr_count 2
		.amdhsa_user_sgpr_dispatch_ptr 0
		.amdhsa_user_sgpr_queue_ptr 0
		.amdhsa_user_sgpr_kernarg_segment_ptr 1
		.amdhsa_user_sgpr_dispatch_id 0
		.amdhsa_user_sgpr_kernarg_preload_length 0
		.amdhsa_user_sgpr_kernarg_preload_offset 0
		.amdhsa_user_sgpr_private_segment_size 0
		.amdhsa_uses_dynamic_stack 0
		.amdhsa_enable_private_segment 0
		.amdhsa_system_sgpr_workgroup_id_x 1
		.amdhsa_system_sgpr_workgroup_id_y 1
		.amdhsa_system_sgpr_workgroup_id_z 1
		.amdhsa_system_sgpr_workgroup_info 0
		.amdhsa_system_vgpr_workitem_id 0
		.amdhsa_next_free_vgpr 18
		.amdhsa_next_free_sgpr 37
		.amdhsa_accum_offset 20
		.amdhsa_reserve_vcc 1
		.amdhsa_float_round_mode_32 0
		.amdhsa_float_round_mode_16_64 0
		.amdhsa_float_denorm_mode_32 3
		.amdhsa_float_denorm_mode_16_64 3
		.amdhsa_dx10_clamp 1
		.amdhsa_ieee_mode 1
		.amdhsa_fp16_overflow 0
		.amdhsa_tg_split 0
		.amdhsa_exception_fp_ieee_invalid_op 0
		.amdhsa_exception_fp_denorm_src 0
		.amdhsa_exception_fp_ieee_div_zero 0
		.amdhsa_exception_fp_ieee_overflow 0
		.amdhsa_exception_fp_ieee_underflow 0
		.amdhsa_exception_fp_ieee_inexact 0
		.amdhsa_exception_int_div_zero 0
	.end_amdhsa_kernel
	.section	.text._ZL33flash_attn_stream_k_fixup_generalILi256ELi1ELi8EEvPfPK15HIP_vector_typeIfLj2EEiiiiS1_IjLj3EES5_S5_S5_,"axG",@progbits,_ZL33flash_attn_stream_k_fixup_generalILi256ELi1ELi8EEvPfPK15HIP_vector_typeIfLj2EEiiiiS1_IjLj3EES5_S5_S5_,comdat
.Lfunc_end12:
	.size	_ZL33flash_attn_stream_k_fixup_generalILi256ELi1ELi8EEvPfPK15HIP_vector_typeIfLj2EEiiiiS1_IjLj3EES5_S5_S5_, .Lfunc_end12-_ZL33flash_attn_stream_k_fixup_generalILi256ELi1ELi8EEvPfPK15HIP_vector_typeIfLj2EEiiiiS1_IjLj3EES5_S5_S5_
                                        ; -- End function
	.set _ZL33flash_attn_stream_k_fixup_generalILi256ELi1ELi8EEvPfPK15HIP_vector_typeIfLj2EEiiiiS1_IjLj3EES5_S5_S5_.num_vgpr, 18
	.set _ZL33flash_attn_stream_k_fixup_generalILi256ELi1ELi8EEvPfPK15HIP_vector_typeIfLj2EEiiiiS1_IjLj3EES5_S5_S5_.num_agpr, 0
	.set _ZL33flash_attn_stream_k_fixup_generalILi256ELi1ELi8EEvPfPK15HIP_vector_typeIfLj2EEiiiiS1_IjLj3EES5_S5_S5_.numbered_sgpr, 37
	.set _ZL33flash_attn_stream_k_fixup_generalILi256ELi1ELi8EEvPfPK15HIP_vector_typeIfLj2EEiiiiS1_IjLj3EES5_S5_S5_.num_named_barrier, 0
	.set _ZL33flash_attn_stream_k_fixup_generalILi256ELi1ELi8EEvPfPK15HIP_vector_typeIfLj2EEiiiiS1_IjLj3EES5_S5_S5_.private_seg_size, 0
	.set _ZL33flash_attn_stream_k_fixup_generalILi256ELi1ELi8EEvPfPK15HIP_vector_typeIfLj2EEiiiiS1_IjLj3EES5_S5_S5_.uses_vcc, 1
	.set _ZL33flash_attn_stream_k_fixup_generalILi256ELi1ELi8EEvPfPK15HIP_vector_typeIfLj2EEiiiiS1_IjLj3EES5_S5_S5_.uses_flat_scratch, 0
	.set _ZL33flash_attn_stream_k_fixup_generalILi256ELi1ELi8EEvPfPK15HIP_vector_typeIfLj2EEiiiiS1_IjLj3EES5_S5_S5_.has_dyn_sized_stack, 0
	.set _ZL33flash_attn_stream_k_fixup_generalILi256ELi1ELi8EEvPfPK15HIP_vector_typeIfLj2EEiiiiS1_IjLj3EES5_S5_S5_.has_recursion, 0
	.set _ZL33flash_attn_stream_k_fixup_generalILi256ELi1ELi8EEvPfPK15HIP_vector_typeIfLj2EEiiiiS1_IjLj3EES5_S5_S5_.has_indirect_call, 0
	.section	.AMDGPU.csdata,"",@progbits
; Kernel info:
; codeLenInByte = 2924
; TotalNumSgprs: 43
; NumVgprs: 18
; NumAgprs: 0
; TotalNumVgprs: 18
; ScratchSize: 0
; MemoryBound: 0
; FloatMode: 240
; IeeeMode: 1
; LDSByteSize: 0 bytes/workgroup (compile time only)
; SGPRBlocks: 5
; VGPRBlocks: 2
; NumSGPRsForWavesPerEU: 43
; NumVGPRsForWavesPerEU: 18
; AccumOffset: 20
; Occupancy: 8
; WaveLimiterHint : 0
; COMPUTE_PGM_RSRC2:SCRATCH_EN: 0
; COMPUTE_PGM_RSRC2:USER_SGPR: 2
; COMPUTE_PGM_RSRC2:TRAP_HANDLER: 0
; COMPUTE_PGM_RSRC2:TGID_X_EN: 1
; COMPUTE_PGM_RSRC2:TGID_Y_EN: 1
; COMPUTE_PGM_RSRC2:TGID_Z_EN: 1
; COMPUTE_PGM_RSRC2:TIDIG_COMP_CNT: 0
; COMPUTE_PGM_RSRC3_GFX90A:ACCUM_OFFSET: 4
; COMPUTE_PGM_RSRC3_GFX90A:TG_SPLIT: 0
	.section	.text._ZL15flash_attn_tileILi256ELi256ELi8ELi4ELb0EEvPKcS1_S1_S1_S1_PKiPfP15HIP_vector_typeIfLj2EEffffjfiS5_IjLj3EEiiiiiiiiiiiliiliiiiil,"axG",@progbits,_ZL15flash_attn_tileILi256ELi256ELi8ELi4ELb0EEvPKcS1_S1_S1_S1_PKiPfP15HIP_vector_typeIfLj2EEffffjfiS5_IjLj3EEiiiiiiiiiiiliiliiiiil,comdat
	.globl	_ZL15flash_attn_tileILi256ELi256ELi8ELi4ELb0EEvPKcS1_S1_S1_S1_PKiPfP15HIP_vector_typeIfLj2EEffffjfiS5_IjLj3EEiiiiiiiiiiiliiliiiiil ; -- Begin function _ZL15flash_attn_tileILi256ELi256ELi8ELi4ELb0EEvPKcS1_S1_S1_S1_PKiPfP15HIP_vector_typeIfLj2EEffffjfiS5_IjLj3EEiiiiiiiiiiiliiliiiiil
	.p2align	8
	.type	_ZL15flash_attn_tileILi256ELi256ELi8ELi4ELb0EEvPKcS1_S1_S1_S1_PKiPfP15HIP_vector_typeIfLj2EEffffjfiS5_IjLj3EEiiiiiiiiiiiliiliiiiil,@function
_ZL15flash_attn_tileILi256ELi256ELi8ELi4ELb0EEvPKcS1_S1_S1_S1_PKiPfP15HIP_vector_typeIfLj2EEffffjfiS5_IjLj3EEiiiiiiiiiiiliiliiiiil: ; @_ZL15flash_attn_tileILi256ELi256ELi8ELi4ELb0EEvPKcS1_S1_S1_S1_PKiPfP15HIP_vector_typeIfLj2EEffffjfiS5_IjLj3EEiiiiiiiiiiiliiliiiiil
; %bb.0:
	s_load_dwordx4 s[28:31], s[0:1], 0x5c
	s_load_dwordx2 s[36:37], s[0:1], 0x80
	s_load_dwordx16 s[12:27], s[0:1], 0x0
	s_mov_b64 s[38:39], 0
	s_waitcnt lgkmcnt(0)
	s_ashr_i32 s5, s31, 31
	s_lshr_b32 s5, s5, 30
	s_add_i32 s5, s31, s5
	s_ashr_i32 s5, s5, 2
	v_cvt_f32_u32_e32 v1, s5
	s_sub_i32 s6, 0, s5
	v_rcp_iflag_f32_e32 v1, v1
	s_nop 0
	v_mul_f32_e32 v1, 0x4f7ffffe, v1
	v_cvt_u32_f32_e32 v1, v1
	s_nop 0
	v_readfirstlane_b32 s7, v1
	s_mul_i32 s6, s6, s7
	s_mul_hi_u32 s6, s7, s6
	s_add_i32 s7, s7, s6
	s_mul_hi_u32 s6, s4, s7
	s_mul_i32 s7, s6, s5
	s_sub_i32 s7, s4, s7
	s_add_i32 s8, s6, 1
	s_sub_i32 s9, s7, s5
	s_cmp_ge_u32 s7, s5
	s_cselect_b32 s6, s8, s6
	s_cselect_b32 s7, s9, s7
	s_add_i32 s8, s6, 1
	s_cmp_ge_u32 s7, s5
	s_cselect_b32 s33, s8, s6
	s_abs_i32 s5, s37
	v_cvt_f32_u32_e32 v1, s5
	s_lshl_b32 s4, s4, 2
	s_mul_i32 s8, s33, s31
	s_sub_i32 s9, 0, s5
	v_rcp_iflag_f32_e32 v1, v1
	s_sub_i32 s34, s4, s8
	s_abs_i32 s7, s31
	s_xor_b32 s6, s31, s37
	v_mul_f32_e32 v1, 0x4f7ffffe, v1
	v_cvt_u32_f32_e32 v1, v1
	s_ashr_i32 s6, s6, 31
	v_readfirstlane_b32 s4, v1
	s_mul_i32 s9, s9, s4
	s_mul_hi_u32 s8, s4, s9
	s_add_i32 s4, s4, s8
	s_mul_hi_u32 s4, s7, s4
	s_mul_i32 s8, s4, s5
	s_sub_i32 s7, s7, s8
	s_add_i32 s9, s4, 1
	s_sub_i32 s8, s7, s5
	s_cmp_ge_u32 s7, s5
	s_cselect_b32 s4, s9, s4
	s_cselect_b32 s7, s8, s7
	s_add_i32 s8, s4, 1
	s_cmp_ge_u32 s7, s5
	s_cselect_b32 s4, s8, s4
	s_xor_b32 s4, s4, s6
	s_sub_i32 s11, s4, s6
	s_abs_i32 s10, s11
	v_cvt_f32_u32_e32 v1, s10
	s_load_dwordx2 s[8:9], s[0:1], 0xb8
	s_cmp_eq_u64 s[18:19], 0
	v_rcp_iflag_f32_e32 v1, v1
	s_nop 0
	v_mul_f32_e32 v1, 0x4f7ffffe, v1
	v_cvt_u32_f32_e32 v1, v1
	s_nop 0
	v_readfirstlane_b32 s35, v1
	s_cbranch_scc1 .LBB13_2
; %bb.1:
	s_waitcnt lgkmcnt(0)
	s_abs_i32 s6, s8
	v_cvt_f32_u32_e32 v1, s6
	s_sub_i32 s37, 0, s6
	s_abs_i32 s8, s33
	s_ashr_i32 s7, s33, 31
	v_rcp_iflag_f32_e32 v1, v1
	s_load_dwordx2 s[4:5], s[0:1], 0xc8
	v_mul_f32_e32 v1, 0x4f7ffffe, v1
	v_cvt_u32_f32_e32 v1, v1
	s_nop 0
	v_readfirstlane_b32 s38, v1
	s_mul_i32 s37, s37, s38
	s_mul_hi_u32 s37, s38, s37
	s_add_i32 s38, s38, s37
	s_mul_hi_u32 s37, s8, s38
	s_mul_i32 s37, s37, s6
	s_sub_i32 s8, s8, s37
	s_sub_i32 s37, s8, s6
	s_cmp_ge_u32 s8, s6
	s_cselect_b32 s8, s37, s8
	s_sub_i32 s37, s8, s6
	s_cmp_ge_u32 s8, s6
	s_cselect_b32 s6, s37, s8
	s_xor_b32 s6, s6, s7
	s_sub_i32 s6, s6, s7
	s_ashr_i32 s7, s6, 31
	s_waitcnt lgkmcnt(0)
	s_mul_hi_u32 s8, s4, s6
	s_mul_i32 s7, s4, s7
	s_mul_i32 s5, s5, s6
	s_add_i32 s7, s8, s7
	s_add_i32 s7, s7, s5
	s_mul_i32 s4, s4, s6
	s_add_u32 s38, s18, s4
	s_addc_u32 s39, s19, s7
.LBB13_2:
	s_load_dwordx4 s[4:7], s[0:1], 0x70
	v_bfe_u32 v1, v0, 10, 10
	v_lshl_add_u32 v21, s2, 3, v1
	v_mul_hi_u32 v2, s28, v21
	v_add_u32_e32 v2, v21, v2
	s_waitcnt lgkmcnt(0)
	s_mul_i32 s6, s33, s6
	s_ashr_i32 s8, s6, 31
	s_mul_i32 s7, s34, s5
	s_add_u32 s6, s12, s6
	s_addc_u32 s8, s13, s8
	s_ashr_i32 s12, s7, 31
	s_add_u32 s6, s6, s7
	v_lshrrev_b32_e32 v2, s29, v2
	s_addc_u32 s7, s8, s12
	v_mul_lo_u32 v2, v2, s30
	s_ashr_i32 s13, s4, 31
	s_mov_b32 s12, s4
	v_sub_u32_e32 v2, v21, v2
	s_lshr_b64 s[18:19], s[12:13], 2
	v_mad_u64_u32 v[4:5], s[18:19], s18, v2, 0
	v_mov_b32_e32 v6, v5
	s_lshr_b32 s4, s13, 2
	v_mad_u64_u32 v[6:7], s[12:13], s4, v2, v[6:7]
	v_mov_b32_e32 v5, v6
	v_and_b32_e32 v20, 0x3ff, v0
	v_mov_b32_e32 v7, 0
	v_lshl_add_u64 v[4:5], v[4:5], 2, s[6:7]
	v_lshlrev_b32_e32 v6, 4, v20
	v_lshl_add_u64 v[30:31], v[4:5], 0, v[6:7]
	global_load_dwordx4 v[4:7], v[30:31], off
	global_load_dwordx4 v[8:11], v[30:31], off offset:512
	s_ashr_i32 s7, s5, 31
	s_mov_b32 s6, s5
	s_lshr_b64 s[12:13], s[6:7], 2
	s_and_b32 s6, s5, -4
	v_lshl_add_u64 v[22:23], v[30:31], 0, s[6:7]
	global_load_dwordx4 v[12:15], v[22:23], off
	global_load_dwordx4 v[16:19], v[22:23], off offset:512
	v_lshl_add_u64 v[32:33], s[12:13], 3, v[30:31]
	global_load_dwordx4 v[22:25], v[32:33], off
	global_load_dwordx4 v[26:29], v[32:33], off offset:512
	v_mad_u64_u32 v[34:35], s[4:5], s12, 12, v[30:31]
	v_mov_b32_e32 v0, v35
	v_mad_u64_u32 v[30:31], s[4:5], s7, 12, v[0:1]
	v_mov_b32_e32 v35, v30
	global_load_dwordx4 v[30:33], v[34:35], off
	s_load_dword s4, s[0:1], 0x40
	global_load_dwordx4 v[34:37], v[34:35], off offset:512
	v_lshlrev_b32_e32 v47, 11, v1
	v_lshlrev_b32_e32 v3, 3, v20
	v_add_u32_e32 v0, v47, v3
	s_cmp_eq_u64 s[22:23], 0
	s_waitcnt vmcnt(7) lgkmcnt(0)
	v_fma_mixlo_f16 v4, s4, v4, 0
	v_fma_mixlo_f16 v5, s4, v5, 0
	;; [unrolled: 1-line block ×4, first 2 shown]
	s_waitcnt vmcnt(6)
	v_fma_mixlo_f16 v8, s4, v8, 0
	v_fma_mixlo_f16 v9, s4, v9, 0
	v_fma_mixlo_f16 v10, s4, v10, 0
	v_fma_mixlo_f16 v11, s4, v11, 0
	v_lshlrev_b32_e32 v5, 16, v5
	v_and_b32_e32 v4, 0xffff, v4
	v_lshlrev_b32_e32 v7, 16, v7
	v_and_b32_e32 v6, 0xffff, v6
	;; [unrolled: 2-line block ×4, first 2 shown]
	v_or_b32_e32 v4, v5, v4
	v_or3_b32 v5, v7, v6, 0
	v_or_b32_e32 v6, v9, v8
	v_or3_b32 v7, v11, v10, 0
	v_or3_b32 v4, 0, 0, v4
	;; [unrolled: 1-line block ×3, first 2 shown]
	s_waitcnt vmcnt(5)
	v_fma_mixlo_f16 v12, s4, v12, 0
	v_fma_mixlo_f16 v13, s4, v13, 0
	;; [unrolled: 1-line block ×4, first 2 shown]
	s_waitcnt vmcnt(4)
	v_fma_mixlo_f16 v16, s4, v16, 0
	v_fma_mixlo_f16 v17, s4, v17, 0
	ds_write2_b64 v0, v[4:5], v[6:7] offset1:32
	s_waitcnt vmcnt(3)
	v_fma_mixlo_f16 v5, s4, v24, 0
	v_fma_mixlo_f16 v6, s4, v25, 0
	;; [unrolled: 1-line block ×4, first 2 shown]
	v_lshlrev_b32_e32 v8, 16, v13
	v_and_b32_e32 v9, 0xffff, v12
	v_lshlrev_b32_e32 v10, 16, v15
	v_and_b32_e32 v11, 0xffff, v14
	v_lshlrev_b32_e32 v12, 16, v17
	v_and_b32_e32 v13, 0xffff, v16
	v_lshlrev_b32_e32 v6, 16, v6
	v_and_b32_e32 v5, 0xffff, v5
	v_lshlrev_b32_e32 v14, 16, v19
	v_and_b32_e32 v15, 0xffff, v18
	v_or_b32_e32 v8, v8, v9
	v_or3_b32 v9, v10, v11, 0
	v_or_b32_e32 v10, v12, v13
	v_or3_b32 v5, v6, v5, 0
	s_waitcnt vmcnt(2)
	v_fma_mixlo_f16 v6, s4, v26, 0
	v_fma_mixlo_f16 v7, s4, v27, 0
	;; [unrolled: 1-line block ×4, first 2 shown]
	v_or3_b32 v11, v14, v15, 0
	v_or3_b32 v8, 0, 0, v8
	;; [unrolled: 1-line block ×3, first 2 shown]
	v_lshlrev_b32_e32 v7, 16, v7
	v_and_b32_e32 v6, 0xffff, v6
	v_lshlrev_b32_e32 v16, 16, v23
	ds_write2_b64 v0, v[8:9], v[10:11] offset0:64 offset1:96
	v_and_b32_e32 v4, 0xffff, v22
	v_or_b32_e32 v6, v7, v6
	v_fma_mixlo_f16 v7, s4, v28, 0
	v_fma_mixlo_f16 v8, s4, v29, 0
	v_or_b32_e32 v4, v16, v4
	v_lshlrev_b32_e32 v8, 16, v8
	v_and_b32_e32 v7, 0xffff, v7
	v_or3_b32 v4, 0, 0, v4
	v_or3_b32 v7, v8, v7, 0
	;; [unrolled: 1-line block ×3, first 2 shown]
	ds_write2_b64 v0, v[4:5], v[6:7] offset0:128 offset1:160
	s_waitcnt vmcnt(1)
	v_fma_mixlo_f16 v4, s4, v30, 0
	v_fma_mixlo_f16 v5, s4, v31, 0
	v_lshlrev_b32_e32 v5, 16, v5
	v_and_b32_e32 v4, 0xffff, v4
	v_or_b32_e32 v4, v5, v4
	v_fma_mixlo_f16 v5, s4, v32, 0
	v_fma_mixlo_f16 v6, s4, v33, 0
	v_lshlrev_b32_e32 v6, 16, v6
	v_and_b32_e32 v5, 0xffff, v5
	v_or3_b32 v5, v6, v5, 0
	s_waitcnt vmcnt(0)
	v_fma_mixlo_f16 v6, s4, v34, 0
	v_fma_mixlo_f16 v7, s4, v35, 0
	v_lshlrev_b32_e32 v7, 16, v7
	v_and_b32_e32 v6, 0xffff, v6
	v_or_b32_e32 v6, v7, v6
	v_fma_mixlo_f16 v7, s4, v36, 0
	v_fma_mixlo_f16 v8, s4, v37, 0
	v_lshlrev_b32_e32 v8, 16, v8
	v_and_b32_e32 v7, 0xffff, v7
	v_or3_b32 v4, 0, 0, v4
	v_or3_b32 v7, v8, v7, 0
	;; [unrolled: 1-line block ×3, first 2 shown]
	ds_write2_b64 v0, v[4:5], v[6:7] offset0:192 offset1:224
	s_waitcnt lgkmcnt(0)
	s_barrier
	s_cbranch_scc1 .LBB13_4
; %bb.3:
	s_load_dword s4, s[0:1], 0xd0
	s_mov_b32 s5, 0
	s_waitcnt lgkmcnt(0)
	s_mul_i32 s4, s4, s33
	s_add_i32 s4, s4, s2
	s_lshl_b64 s[4:5], s[4:5], 2
	s_add_u32 s4, s22, s4
	s_addc_u32 s5, s23, s5
	s_load_dword s36, s[4:5], 0x0
.LBB13_4:
	s_lshl_b32 s2, s3, 5
	v_lshlrev_b32_e32 v46, 2, v20
	s_waitcnt lgkmcnt(0)
	s_cmp_lt_i32 s2, s36
	v_mbcnt_lo_u32_b32 v4, -1, 0
	s_cbranch_scc1 .LBB13_7
; %bb.5:
	v_mbcnt_hi_u32_b32 v33, -1, v4
	v_and_b32_e32 v0, 0x60, v33
	v_add_u32_e32 v48, 32, v0
	v_xor_b32_e32 v51, 16, v33
	v_xor_b32_e32 v52, 8, v33
	;; [unrolled: 1-line block ×5, first 2 shown]
	s_cbranch_execz .LBB13_8
; %bb.6:
	v_mov_b32_e32 v23, 0
	v_mov_b32_e32 v78, 0
	;; [unrolled: 1-line block ×24, first 2 shown]
	s_branch .LBB13_10
.LBB13_7:
                                        ; implicit-def: $vgpr33
                                        ; implicit-def: $vgpr48
                                        ; implicit-def: $vgpr51
                                        ; implicit-def: $vgpr52
                                        ; implicit-def: $vgpr53
                                        ; implicit-def: $vgpr50
                                        ; implicit-def: $vgpr49
.LBB13_8:
	s_sub_i32 s4, 0, s10
	s_mul_i32 s4, s4, s35
	s_mul_hi_u32 s4, s35, s4
	s_add_i32 s35, s35, s4
	s_load_dwordx2 s[12:13], s[0:1], 0x8c
	s_load_dwordx4 s[4:7], s[0:1], 0x98
	s_abs_i32 s8, s34
	s_mul_hi_u32 s22, s8, s35
	s_ashr_i32 s23, s34, 31
	s_waitcnt lgkmcnt(0)
	s_ashr_i32 s29, s12, 2
	s_ashr_i32 s28, s6, 2
	;; [unrolled: 1-line block ×4, first 2 shown]
	s_mul_hi_u32 s12, s4, s33
	s_mul_i32 s35, s4, s9
	s_add_i32 s12, s12, s35
	s_mul_i32 s5, s5, s33
	s_ashr_i32 s11, s11, 31
	s_add_i32 s12, s12, s5
	s_mul_i32 s4, s4, s33
	s_add_u32 s4, s14, s4
	s_addc_u32 s5, s15, s12
	s_mul_i32 s12, s22, s10
	s_sub_i32 s8, s8, s12
	s_xor_b32 s11, s23, s11
	s_add_i32 s12, s22, 1
	s_sub_i32 s14, s8, s10
	s_cmp_ge_u32 s8, s10
	s_cselect_b32 s12, s12, s22
	s_cselect_b32 s8, s14, s8
	s_add_i32 s14, s12, 1
	s_cmp_ge_u32 s8, s10
	s_cselect_b32 s8, s14, s12
	s_load_dwordx2 s[18:19], s[0:1], 0xa8
	s_xor_b32 s8, s8, s11
	s_sub_i32 s8, s8, s11
	s_mul_i32 s10, s8, s13
	s_ashr_i32 s11, s10, 31
	s_add_u32 s35, s4, s10
	s_addc_u32 s37, s5, s11
	s_waitcnt lgkmcnt(0)
	s_mul_hi_u32 s4, s18, s33
	s_mul_i32 s5, s18, s9
	s_add_i32 s4, s4, s5
	s_mul_i32 s5, s19, s33
	s_add_i32 s4, s4, s5
	s_mul_i32 s5, s18, s33
	s_add_u32 s5, s16, s5
	s_mul_i32 s8, s8, s7
	s_addc_u32 s4, s17, s4
	s_ashr_i32 s7, s8, 31
	s_add_u32 s40, s5, s8
	v_lshrrev_b32_e32 v0, 4, v20
	v_and_b32_e32 v6, 60, v46
	s_addc_u32 s41, s4, s7
	v_lshl_add_u32 v0, v1, 1, v0
	v_lshlrev_b32_e32 v5, 2, v6
	s_movk_i32 s4, 0x110
	v_mad_u32_u24 v5, v0, s4, v5
	v_mul_lo_u32 v28, s29, v0
	v_mov_b32_e32 v0, 0x4000
	v_mad_u32_u24 v56, v20, s4, v0
	v_mad_u64_u32 v[32:33], s[4:5], v2, s6, v[20:21]
	v_mul_lo_u32 v8, s28, v1
	v_mov_b32_e32 v0, 0x6200
	v_lshlrev_b32_e32 v34, 2, v46
	v_lshl_add_u32 v10, s28, 3, v8
	v_mbcnt_hi_u32_b32 v33, -1, v4
	v_mov_b32_e32 v27, 0
	v_lshl_add_u32 v30, s29, 4, v28
	v_lshl_add_u32 v57, v1, 8, v0
	;; [unrolled: 1-line block ×3, first 2 shown]
	v_ashrrev_i32_e32 v9, 31, v8
	v_ashrrev_i32_e32 v11, 31, v10
	s_add_u32 s18, s0, 0xd0
	v_and_b32_e32 v1, 0x60, v33
	v_add_u32_e32 v54, 0x4000, v5
	v_ashrrev_i32_e32 v29, 31, v28
	v_add_u32_e32 v55, 0x5100, v5
	v_ashrrev_i32_e32 v31, 31, v30
	v_add_u32_e32 v58, 0x4000, v0
	v_add_u32_e32 v59, 0x5000, v0
	s_addc_u32 s19, s1, 0
	v_mov_b32_e32 v0, 0xfeffffff
	v_lshlrev_b32_e32 v26, 2, v6
	v_add_u32_e32 v48, 32, v1
	v_xor_b32_e32 v51, 16, v33
	v_xor_b32_e32 v52, 8, v33
	;; [unrolled: 1-line block ×5, first 2 shown]
	s_mov_b32 s42, 0x3fb8aa3b
	s_mov_b32 s43, 0xc2ce8ed0
	;; [unrolled: 1-line block ×3, first 2 shown]
	v_mov_b32_e32 v60, 0x7f800000
	s_mov_b32 s45, 0x10001
	v_add_u32_e32 v61, v57, v3
	v_lshlrev_b64 v[36:37], 2, v[8:9]
	v_mov_b32_e32 v35, v27
	v_lshlrev_b64 v[38:39], 2, v[10:11]
	v_add_u32_e32 v62, 0x4000, v3
	v_add_u32_e32 v63, 0x4800, v3
	;; [unrolled: 1-line block ×4, first 2 shown]
	v_mov_b32_e32 v66, v27
	v_mov_b32_e32 v67, v27
	;; [unrolled: 1-line block ×23, first 2 shown]
.LBB13_9:                               ; =>This Inner Loop Header: Depth=1
	v_cmp_lt_i32_e64 s[4:5], v51, v48
	v_mov_b32_e32 v86, v0
	s_mul_hi_i32 s7, s2, s29
	v_cndmask_b32_e64 v0, v33, v51, s[4:5]
	v_cmp_lt_i32_e64 s[4:5], v52, v48
	s_mul_i32 s6, s2, s29
	v_mov_b32_e32 v82, 0
	v_cndmask_b32_e64 v90, v33, v52, s[4:5]
	v_cmp_lt_i32_e64 s[4:5], v53, v48
	v_mov_b32_e32 v83, 0
	v_mov_b32_e32 v84, 0
	v_cndmask_b32_e64 v91, v33, v53, s[4:5]
	s_lshl_b64 s[4:5], s[6:7], 2
	s_add_u32 s4, s35, s4
	s_addc_u32 s5, s37, s5
	v_lshl_add_u64 v[4:5], v[28:29], 2, s[4:5]
	v_lshl_add_u64 v[6:7], v[30:31], 2, s[4:5]
	;; [unrolled: 1-line block ×4, first 2 shown]
	global_load_dwordx4 v[4:7], v[42:43], off
	global_load_dwordx4 v[8:11], v[44:45], off
	v_mov_b32_e32 v85, 0
	v_mov_b32_e32 v87, v1
	;; [unrolled: 1-line block ×4, first 2 shown]
	v_add_u32_e32 v40, s2, v32
	v_ashrrev_i32_e32 v41, 31, v40
	v_cmp_lt_i32_e32 vcc, v50, v48
	s_mul_hi_i32 s5, s2, s28
	s_mul_i32 s4, s2, s28
	v_cndmask_b32_e32 v96, v33, v50, vcc
	v_cmp_lt_i32_e32 vcc, v49, v48
	s_lshl_b64 s[4:5], s[4:5], 2
	s_add_u32 s4, s40, s4
	v_cndmask_b32_e32 v97, v33, v49, vcc
	s_addc_u32 s5, s41, s5
	s_or_b32 s6, s2, 16
	s_waitcnt vmcnt(1)
	ds_write_b128 v54, v[4:7]
	s_waitcnt vmcnt(0)
	ds_write_b128 v55, v[8:11]
	s_waitcnt lgkmcnt(0)
	s_barrier
	ds_read_b128 v[4:7], v56
	ds_read_b128 v[8:11], v47
	ds_read_b128 v[12:15], v47 offset:512
	ds_read_b128 v[16:19], v47 offset:1024
	;; [unrolled: 1-line block ×3, first 2 shown]
	s_waitcnt lgkmcnt(3)
	;;#ASMSTART
	v_dot2_f32_f16 v82, v4, v8, v82
	;;#ASMEND
	s_nop 0
	;;#ASMSTART
	v_dot2_f32_f16 v82, v5, v9, v82
	;;#ASMEND
	s_nop 0
	;;#ASMSTART
	v_dot2_f32_f16 v82, v6, v10, v82
	;;#ASMEND
	s_nop 0
	;;#ASMSTART
	v_dot2_f32_f16 v82, v7, v11, v82
	;;#ASMEND
	s_waitcnt lgkmcnt(2)
	;;#ASMSTART
	v_dot2_f32_f16 v83, v4, v12, v83
	;;#ASMEND
	s_nop 0
	;;#ASMSTART
	v_dot2_f32_f16 v83, v5, v13, v83
	;;#ASMEND
	s_nop 0
	;;#ASMSTART
	v_dot2_f32_f16 v83, v6, v14, v83
	;;#ASMEND
	s_nop 0
	;;#ASMSTART
	v_dot2_f32_f16 v83, v7, v15, v83
	;;#ASMEND
	;; [unrolled: 16-line block ×4, first 2 shown]
	ds_read_b128 v[4:7], v56 offset:16
	ds_read_b128 v[8:11], v47 offset:16
	;; [unrolled: 1-line block ×5, first 2 shown]
	s_waitcnt lgkmcnt(3)
	;;#ASMSTART
	v_dot2_f32_f16 v82, v4, v8, v82
	;;#ASMEND
	s_nop 0
	;;#ASMSTART
	v_dot2_f32_f16 v82, v5, v9, v82
	;;#ASMEND
	s_nop 0
	;;#ASMSTART
	v_dot2_f32_f16 v82, v6, v10, v82
	;;#ASMEND
	s_nop 0
	;;#ASMSTART
	v_dot2_f32_f16 v82, v7, v11, v82
	;;#ASMEND
	s_waitcnt lgkmcnt(2)
	;;#ASMSTART
	v_dot2_f32_f16 v83, v4, v12, v83
	;;#ASMEND
	s_nop 0
	;;#ASMSTART
	v_dot2_f32_f16 v83, v5, v13, v83
	;;#ASMEND
	s_nop 0
	;;#ASMSTART
	v_dot2_f32_f16 v83, v6, v14, v83
	;;#ASMEND
	s_nop 0
	;;#ASMSTART
	v_dot2_f32_f16 v83, v7, v15, v83
	;;#ASMEND
	;; [unrolled: 16-line block ×4, first 2 shown]
	ds_read_b128 v[4:7], v56 offset:32
	ds_read_b128 v[8:11], v47 offset:32
	;; [unrolled: 1-line block ×5, first 2 shown]
	s_waitcnt lgkmcnt(3)
	;;#ASMSTART
	v_dot2_f32_f16 v82, v4, v8, v82
	;;#ASMEND
	s_nop 0
	;;#ASMSTART
	v_dot2_f32_f16 v82, v5, v9, v82
	;;#ASMEND
	s_nop 0
	;;#ASMSTART
	v_dot2_f32_f16 v82, v6, v10, v82
	;;#ASMEND
	s_nop 0
	;;#ASMSTART
	v_dot2_f32_f16 v82, v7, v11, v82
	;;#ASMEND
	s_waitcnt lgkmcnt(2)
	;;#ASMSTART
	v_dot2_f32_f16 v83, v4, v12, v83
	;;#ASMEND
	s_nop 0
	;;#ASMSTART
	v_dot2_f32_f16 v83, v5, v13, v83
	;;#ASMEND
	s_nop 0
	;;#ASMSTART
	v_dot2_f32_f16 v83, v6, v14, v83
	;;#ASMEND
	s_nop 0
	;;#ASMSTART
	v_dot2_f32_f16 v83, v7, v15, v83
	;;#ASMEND
	;; [unrolled: 16-line block ×4, first 2 shown]
	ds_read_b128 v[4:7], v56 offset:48
	ds_read_b128 v[8:11], v47 offset:48
	;; [unrolled: 1-line block ×5, first 2 shown]
	s_waitcnt lgkmcnt(3)
	;;#ASMSTART
	v_dot2_f32_f16 v82, v4, v8, v82
	;;#ASMEND
	s_nop 0
	;;#ASMSTART
	v_dot2_f32_f16 v82, v5, v9, v82
	;;#ASMEND
	s_nop 0
	;;#ASMSTART
	v_dot2_f32_f16 v82, v6, v10, v82
	;;#ASMEND
	s_nop 0
	;;#ASMSTART
	v_dot2_f32_f16 v82, v7, v11, v82
	;;#ASMEND
	s_waitcnt lgkmcnt(2)
	;;#ASMSTART
	v_dot2_f32_f16 v83, v4, v12, v83
	;;#ASMEND
	s_nop 0
	;;#ASMSTART
	v_dot2_f32_f16 v83, v5, v13, v83
	;;#ASMEND
	s_nop 0
	;;#ASMSTART
	v_dot2_f32_f16 v83, v6, v14, v83
	;;#ASMEND
	s_nop 0
	;;#ASMSTART
	v_dot2_f32_f16 v83, v7, v15, v83
	;;#ASMEND
	;; [unrolled: 16-line block ×4, first 2 shown]
	ds_read_b128 v[4:7], v56 offset:64
	ds_read_b128 v[8:11], v47 offset:64
	;; [unrolled: 1-line block ×5, first 2 shown]
	s_waitcnt lgkmcnt(3)
	;;#ASMSTART
	v_dot2_f32_f16 v82, v4, v8, v82
	;;#ASMEND
	s_nop 0
	;;#ASMSTART
	v_dot2_f32_f16 v82, v5, v9, v82
	;;#ASMEND
	s_nop 0
	;;#ASMSTART
	v_dot2_f32_f16 v82, v6, v10, v82
	;;#ASMEND
	s_nop 0
	;;#ASMSTART
	v_dot2_f32_f16 v82, v7, v11, v82
	;;#ASMEND
	s_waitcnt lgkmcnt(2)
	;;#ASMSTART
	v_dot2_f32_f16 v83, v4, v12, v83
	;;#ASMEND
	s_nop 0
	;;#ASMSTART
	v_dot2_f32_f16 v83, v5, v13, v83
	;;#ASMEND
	s_nop 0
	;;#ASMSTART
	v_dot2_f32_f16 v83, v6, v14, v83
	;;#ASMEND
	s_nop 0
	;;#ASMSTART
	v_dot2_f32_f16 v83, v7, v15, v83
	;;#ASMEND
	;; [unrolled: 16-line block ×4, first 2 shown]
	ds_read_b128 v[4:7], v56 offset:80
	ds_read_b128 v[8:11], v47 offset:80
	;; [unrolled: 1-line block ×5, first 2 shown]
	s_waitcnt lgkmcnt(3)
	;;#ASMSTART
	v_dot2_f32_f16 v82, v4, v8, v82
	;;#ASMEND
	s_nop 0
	;;#ASMSTART
	v_dot2_f32_f16 v82, v5, v9, v82
	;;#ASMEND
	s_nop 0
	;;#ASMSTART
	v_dot2_f32_f16 v82, v6, v10, v82
	;;#ASMEND
	s_nop 0
	;;#ASMSTART
	v_dot2_f32_f16 v82, v7, v11, v82
	;;#ASMEND
	s_waitcnt lgkmcnt(2)
	;;#ASMSTART
	v_dot2_f32_f16 v83, v4, v12, v83
	;;#ASMEND
	s_nop 0
	;;#ASMSTART
	v_dot2_f32_f16 v83, v5, v13, v83
	;;#ASMEND
	s_nop 0
	;;#ASMSTART
	v_dot2_f32_f16 v83, v6, v14, v83
	;;#ASMEND
	s_nop 0
	;;#ASMSTART
	v_dot2_f32_f16 v83, v7, v15, v83
	;;#ASMEND
	;; [unrolled: 16-line block ×4, first 2 shown]
	ds_read_b128 v[4:7], v56 offset:96
	ds_read_b128 v[8:11], v47 offset:96
	;; [unrolled: 1-line block ×5, first 2 shown]
	s_waitcnt lgkmcnt(3)
	;;#ASMSTART
	v_dot2_f32_f16 v82, v4, v8, v82
	;;#ASMEND
	s_nop 0
	;;#ASMSTART
	v_dot2_f32_f16 v82, v5, v9, v82
	;;#ASMEND
	s_nop 0
	;;#ASMSTART
	v_dot2_f32_f16 v82, v6, v10, v82
	;;#ASMEND
	s_nop 0
	;;#ASMSTART
	v_dot2_f32_f16 v82, v7, v11, v82
	;;#ASMEND
	s_waitcnt lgkmcnt(2)
	;;#ASMSTART
	v_dot2_f32_f16 v83, v4, v12, v83
	;;#ASMEND
	s_nop 0
	;;#ASMSTART
	v_dot2_f32_f16 v83, v5, v13, v83
	;;#ASMEND
	s_nop 0
	;;#ASMSTART
	v_dot2_f32_f16 v83, v6, v14, v83
	;;#ASMEND
	s_nop 0
	;;#ASMSTART
	v_dot2_f32_f16 v83, v7, v15, v83
	;;#ASMEND
	;; [unrolled: 16-line block ×4, first 2 shown]
	ds_read_b128 v[4:7], v56 offset:112
	ds_read_b128 v[8:11], v47 offset:112
	;; [unrolled: 1-line block ×5, first 2 shown]
	s_waitcnt lgkmcnt(3)
	;;#ASMSTART
	v_dot2_f32_f16 v82, v4, v8, v82
	;;#ASMEND
	s_nop 0
	;;#ASMSTART
	v_dot2_f32_f16 v82, v5, v9, v82
	;;#ASMEND
	s_nop 0
	;;#ASMSTART
	v_dot2_f32_f16 v82, v6, v10, v82
	;;#ASMEND
	s_nop 0
	;;#ASMSTART
	v_dot2_f32_f16 v82, v7, v11, v82
	;;#ASMEND
	s_waitcnt lgkmcnt(2)
	;;#ASMSTART
	v_dot2_f32_f16 v83, v4, v12, v83
	;;#ASMEND
	s_nop 0
	;;#ASMSTART
	v_dot2_f32_f16 v83, v5, v13, v83
	;;#ASMEND
	s_nop 0
	;;#ASMSTART
	v_dot2_f32_f16 v83, v6, v14, v83
	;;#ASMEND
	s_nop 0
	;;#ASMSTART
	v_dot2_f32_f16 v83, v7, v15, v83
	;;#ASMEND
	;; [unrolled: 16-line block ×4, first 2 shown]
	ds_read_b128 v[4:7], v56 offset:128
	ds_read_b128 v[8:11], v47 offset:128
	;; [unrolled: 1-line block ×5, first 2 shown]
	s_waitcnt lgkmcnt(3)
	;;#ASMSTART
	v_dot2_f32_f16 v82, v4, v8, v82
	;;#ASMEND
	s_nop 0
	;;#ASMSTART
	v_dot2_f32_f16 v82, v5, v9, v82
	;;#ASMEND
	s_nop 0
	;;#ASMSTART
	v_dot2_f32_f16 v82, v6, v10, v82
	;;#ASMEND
	s_nop 0
	;;#ASMSTART
	v_dot2_f32_f16 v82, v7, v11, v82
	;;#ASMEND
	s_waitcnt lgkmcnt(2)
	;;#ASMSTART
	v_dot2_f32_f16 v83, v4, v12, v83
	;;#ASMEND
	s_nop 0
	;;#ASMSTART
	v_dot2_f32_f16 v83, v5, v13, v83
	;;#ASMEND
	s_nop 0
	;;#ASMSTART
	v_dot2_f32_f16 v83, v6, v14, v83
	;;#ASMEND
	s_nop 0
	;;#ASMSTART
	v_dot2_f32_f16 v83, v7, v15, v83
	;;#ASMEND
	;; [unrolled: 16-line block ×4, first 2 shown]
	ds_read_b128 v[4:7], v56 offset:144
	ds_read_b128 v[8:11], v47 offset:144
	;; [unrolled: 1-line block ×5, first 2 shown]
	s_waitcnt lgkmcnt(3)
	;;#ASMSTART
	v_dot2_f32_f16 v82, v4, v8, v82
	;;#ASMEND
	s_nop 0
	;;#ASMSTART
	v_dot2_f32_f16 v82, v5, v9, v82
	;;#ASMEND
	s_nop 0
	;;#ASMSTART
	v_dot2_f32_f16 v82, v6, v10, v82
	;;#ASMEND
	s_nop 0
	;;#ASMSTART
	v_dot2_f32_f16 v82, v7, v11, v82
	;;#ASMEND
	s_waitcnt lgkmcnt(2)
	;;#ASMSTART
	v_dot2_f32_f16 v83, v4, v12, v83
	;;#ASMEND
	s_nop 0
	;;#ASMSTART
	v_dot2_f32_f16 v83, v5, v13, v83
	;;#ASMEND
	s_nop 0
	;;#ASMSTART
	v_dot2_f32_f16 v83, v6, v14, v83
	;;#ASMEND
	s_nop 0
	;;#ASMSTART
	v_dot2_f32_f16 v83, v7, v15, v83
	;;#ASMEND
	;; [unrolled: 16-line block ×4, first 2 shown]
	ds_read_b128 v[4:7], v56 offset:160
	ds_read_b128 v[8:11], v47 offset:160
	;; [unrolled: 1-line block ×5, first 2 shown]
	s_waitcnt lgkmcnt(3)
	;;#ASMSTART
	v_dot2_f32_f16 v82, v4, v8, v82
	;;#ASMEND
	s_nop 0
	;;#ASMSTART
	v_dot2_f32_f16 v82, v5, v9, v82
	;;#ASMEND
	s_nop 0
	;;#ASMSTART
	v_dot2_f32_f16 v82, v6, v10, v82
	;;#ASMEND
	s_nop 0
	;;#ASMSTART
	v_dot2_f32_f16 v82, v7, v11, v82
	;;#ASMEND
	s_waitcnt lgkmcnt(2)
	;;#ASMSTART
	v_dot2_f32_f16 v83, v4, v12, v83
	;;#ASMEND
	s_nop 0
	;;#ASMSTART
	v_dot2_f32_f16 v83, v5, v13, v83
	;;#ASMEND
	s_nop 0
	;;#ASMSTART
	v_dot2_f32_f16 v83, v6, v14, v83
	;;#ASMEND
	s_nop 0
	;;#ASMSTART
	v_dot2_f32_f16 v83, v7, v15, v83
	;;#ASMEND
	;; [unrolled: 16-line block ×4, first 2 shown]
	ds_read_b128 v[4:7], v56 offset:176
	ds_read_b128 v[8:11], v47 offset:176
	;; [unrolled: 1-line block ×5, first 2 shown]
	s_waitcnt lgkmcnt(3)
	;;#ASMSTART
	v_dot2_f32_f16 v82, v4, v8, v82
	;;#ASMEND
	s_nop 0
	;;#ASMSTART
	v_dot2_f32_f16 v82, v5, v9, v82
	;;#ASMEND
	s_nop 0
	;;#ASMSTART
	v_dot2_f32_f16 v82, v6, v10, v82
	;;#ASMEND
	s_nop 0
	;;#ASMSTART
	v_dot2_f32_f16 v82, v7, v11, v82
	;;#ASMEND
	s_waitcnt lgkmcnt(2)
	;;#ASMSTART
	v_dot2_f32_f16 v83, v4, v12, v83
	;;#ASMEND
	s_nop 0
	;;#ASMSTART
	v_dot2_f32_f16 v83, v5, v13, v83
	;;#ASMEND
	s_nop 0
	;;#ASMSTART
	v_dot2_f32_f16 v83, v6, v14, v83
	;;#ASMEND
	s_nop 0
	;;#ASMSTART
	v_dot2_f32_f16 v83, v7, v15, v83
	;;#ASMEND
	;; [unrolled: 16-line block ×4, first 2 shown]
	ds_read_b128 v[4:7], v56 offset:192
	ds_read_b128 v[8:11], v47 offset:192
	;; [unrolled: 1-line block ×5, first 2 shown]
	s_waitcnt lgkmcnt(3)
	;;#ASMSTART
	v_dot2_f32_f16 v82, v4, v8, v82
	;;#ASMEND
	s_nop 0
	;;#ASMSTART
	v_dot2_f32_f16 v82, v5, v9, v82
	;;#ASMEND
	s_nop 0
	;;#ASMSTART
	v_dot2_f32_f16 v82, v6, v10, v82
	;;#ASMEND
	s_nop 0
	;;#ASMSTART
	v_dot2_f32_f16 v82, v7, v11, v82
	;;#ASMEND
	s_waitcnt lgkmcnt(2)
	;;#ASMSTART
	v_dot2_f32_f16 v83, v4, v12, v83
	;;#ASMEND
	s_nop 0
	;;#ASMSTART
	v_dot2_f32_f16 v83, v5, v13, v83
	;;#ASMEND
	s_nop 0
	;;#ASMSTART
	v_dot2_f32_f16 v83, v6, v14, v83
	;;#ASMEND
	s_nop 0
	;;#ASMSTART
	v_dot2_f32_f16 v83, v7, v15, v83
	;;#ASMEND
	;; [unrolled: 16-line block ×4, first 2 shown]
	ds_read_b128 v[4:7], v56 offset:208
	ds_read_b128 v[8:11], v47 offset:208
	;; [unrolled: 1-line block ×5, first 2 shown]
	s_waitcnt lgkmcnt(3)
	;;#ASMSTART
	v_dot2_f32_f16 v82, v4, v8, v82
	;;#ASMEND
	s_nop 0
	;;#ASMSTART
	v_dot2_f32_f16 v82, v5, v9, v82
	;;#ASMEND
	s_nop 0
	;;#ASMSTART
	v_dot2_f32_f16 v82, v6, v10, v82
	;;#ASMEND
	s_nop 0
	;;#ASMSTART
	v_dot2_f32_f16 v82, v7, v11, v82
	;;#ASMEND
	s_waitcnt lgkmcnt(2)
	;;#ASMSTART
	v_dot2_f32_f16 v83, v4, v12, v83
	;;#ASMEND
	s_nop 0
	;;#ASMSTART
	v_dot2_f32_f16 v83, v5, v13, v83
	;;#ASMEND
	s_nop 0
	;;#ASMSTART
	v_dot2_f32_f16 v83, v6, v14, v83
	;;#ASMEND
	s_nop 0
	;;#ASMSTART
	v_dot2_f32_f16 v83, v7, v15, v83
	;;#ASMEND
	s_waitcnt lgkmcnt(1)
	;;#ASMSTART
	v_dot2_f32_f16 v84, v4, v16, v84
	;;#ASMEND
	s_nop 0
	;;#ASMSTART
	v_dot2_f32_f16 v84, v5, v17, v84
	;;#ASMEND
	s_nop 0
	;;#ASMSTART
	v_dot2_f32_f16 v84, v6, v18, v84
	;;#ASMEND
	s_nop 0
	;;#ASMSTART
	v_dot2_f32_f16 v84, v7, v19, v84
	;;#ASMEND
	s_waitcnt lgkmcnt(0)
	;;#ASMSTART
	v_dot2_f32_f16 v85, v4, v92, v85
	;;#ASMEND
	s_nop 0
	;;#ASMSTART
	v_dot2_f32_f16 v85, v5, v93, v85
	;;#ASMEND
	s_nop 0
	;;#ASMSTART
	v_dot2_f32_f16 v85, v6, v94, v85
	;;#ASMEND
	s_nop 0
	;;#ASMSTART
	v_dot2_f32_f16 v85, v7, v95, v85
	;;#ASMEND
	ds_read_b128 v[4:7], v56 offset:224
	ds_read_b128 v[8:11], v47 offset:224
	;; [unrolled: 1-line block ×5, first 2 shown]
	s_waitcnt lgkmcnt(3)
	;;#ASMSTART
	v_dot2_f32_f16 v82, v4, v8, v82
	;;#ASMEND
	s_nop 0
	;;#ASMSTART
	v_dot2_f32_f16 v82, v5, v9, v82
	;;#ASMEND
	s_nop 0
	;;#ASMSTART
	v_dot2_f32_f16 v82, v6, v10, v82
	;;#ASMEND
	s_nop 0
	;;#ASMSTART
	v_dot2_f32_f16 v82, v7, v11, v82
	;;#ASMEND
	s_waitcnt lgkmcnt(2)
	;;#ASMSTART
	v_dot2_f32_f16 v83, v4, v12, v83
	;;#ASMEND
	s_nop 0
	;;#ASMSTART
	v_dot2_f32_f16 v83, v5, v13, v83
	;;#ASMEND
	s_nop 0
	;;#ASMSTART
	v_dot2_f32_f16 v83, v6, v14, v83
	;;#ASMEND
	s_nop 0
	;;#ASMSTART
	v_dot2_f32_f16 v83, v7, v15, v83
	;;#ASMEND
	;; [unrolled: 16-line block ×4, first 2 shown]
	ds_read_b128 v[4:7], v56 offset:240
	ds_read_b128 v[92:95], v47 offset:240
	;; [unrolled: 1-line block ×5, first 2 shown]
	s_waitcnt lgkmcnt(3)
	;;#ASMSTART
	v_dot2_f32_f16 v82, v4, v92, v82
	;;#ASMEND
	s_nop 0
	;;#ASMSTART
	v_dot2_f32_f16 v82, v5, v93, v82
	;;#ASMEND
	v_lshlrev_b32_e32 v93, 2, v90
	;;#ASMSTART
	v_dot2_f32_f16 v82, v6, v94, v82
	;;#ASMEND
	v_lshlrev_b32_e32 v94, 2, v0
	;;#ASMSTART
	v_dot2_f32_f16 v82, v7, v95, v82
	;;#ASMEND
	s_waitcnt lgkmcnt(2)
	;;#ASMSTART
	v_dot2_f32_f16 v83, v4, v16, v83
	;;#ASMEND
	v_lshlrev_b32_e32 v90, 2, v97
	;;#ASMSTART
	v_dot2_f32_f16 v83, v5, v17, v83
	;;#ASMEND
	v_max_f32_e32 v97, v88, v88
	;;#ASMSTART
	v_dot2_f32_f16 v83, v6, v18, v83
	;;#ASMEND
	v_max_f32_e32 v95, v86, v86
	;;#ASMSTART
	v_dot2_f32_f16 v83, v7, v19, v83
	;;#ASMEND
	s_waitcnt lgkmcnt(1)
	;;#ASMSTART
	v_dot2_f32_f16 v84, v4, v12, v84
	;;#ASMEND
	v_lshlrev_b32_e32 v92, 2, v91
	;;#ASMSTART
	v_dot2_f32_f16 v84, v5, v13, v84
	;;#ASMEND
	v_lshlrev_b32_e32 v91, 2, v96
	;;#ASMSTART
	v_dot2_f32_f16 v84, v6, v14, v84
	;;#ASMEND
	v_max_f32_e32 v96, v87, v87
	;;#ASMSTART
	v_dot2_f32_f16 v84, v7, v15, v84
	;;#ASMEND
	s_waitcnt lgkmcnt(0)
	;;#ASMSTART
	v_dot2_f32_f16 v85, v4, v8, v85
	;;#ASMEND
	s_nop 0
	;;#ASMSTART
	v_dot2_f32_f16 v85, v5, v9, v85
	;;#ASMEND
	s_nop 0
	;; [unrolled: 4-line block ×3, first 2 shown]
	;;#ASMSTART
	v_dot2_f32_f16 v85, v7, v11, v85
	;;#ASMEND
	s_barrier
	global_load_dwordx4 v[0:3], v[42:43], off offset:256
	global_load_dwordx4 v[4:7], v[44:45], off offset:256
	s_waitcnt vmcnt(1)
	ds_write_b128 v54, v[0:3]
	s_waitcnt vmcnt(0)
	ds_write_b128 v55, v[4:7]
	s_waitcnt lgkmcnt(0)
	s_barrier
	ds_read_b128 v[0:3], v56
	ds_read_b128 v[4:7], v47 offset:256
	ds_read_b128 v[8:11], v47 offset:768
	;; [unrolled: 1-line block ×4, first 2 shown]
	s_waitcnt lgkmcnt(3)
	;;#ASMSTART
	v_dot2_f32_f16 v82, v0, v4, v82
	;;#ASMEND
	s_nop 0
	;;#ASMSTART
	v_dot2_f32_f16 v82, v1, v5, v82
	;;#ASMEND
	s_nop 0
	;;#ASMSTART
	v_dot2_f32_f16 v82, v2, v6, v82
	;;#ASMEND
	s_nop 0
	;;#ASMSTART
	v_dot2_f32_f16 v82, v3, v7, v82
	;;#ASMEND
	s_waitcnt lgkmcnt(2)
	;;#ASMSTART
	v_dot2_f32_f16 v83, v0, v8, v83
	;;#ASMEND
	s_nop 0
	;;#ASMSTART
	v_dot2_f32_f16 v83, v1, v9, v83
	;;#ASMEND
	s_nop 0
	;;#ASMSTART
	v_dot2_f32_f16 v83, v2, v10, v83
	;;#ASMEND
	s_nop 0
	;;#ASMSTART
	v_dot2_f32_f16 v83, v3, v11, v83
	;;#ASMEND
	s_waitcnt lgkmcnt(1)
	;;#ASMSTART
	v_dot2_f32_f16 v84, v0, v12, v84
	;;#ASMEND
	s_nop 0
	;;#ASMSTART
	v_dot2_f32_f16 v84, v1, v13, v84
	;;#ASMEND
	s_nop 0
	;;#ASMSTART
	v_dot2_f32_f16 v84, v2, v14, v84
	;;#ASMEND
	s_nop 0
	;;#ASMSTART
	v_dot2_f32_f16 v84, v3, v15, v84
	;;#ASMEND
	s_waitcnt lgkmcnt(0)
	;;#ASMSTART
	v_dot2_f32_f16 v85, v0, v16, v85
	;;#ASMEND
	s_nop 0
	;;#ASMSTART
	v_dot2_f32_f16 v85, v1, v17, v85
	;;#ASMEND
	s_nop 0
	;;#ASMSTART
	v_dot2_f32_f16 v85, v2, v18, v85
	;;#ASMEND
	s_nop 0
	;;#ASMSTART
	v_dot2_f32_f16 v85, v3, v19, v85
	;;#ASMEND
	ds_read_b128 v[0:3], v56 offset:16
	ds_read_b128 v[4:7], v47 offset:272
	;; [unrolled: 1-line block ×5, first 2 shown]
	s_waitcnt lgkmcnt(3)
	;;#ASMSTART
	v_dot2_f32_f16 v82, v0, v4, v82
	;;#ASMEND
	s_nop 0
	;;#ASMSTART
	v_dot2_f32_f16 v82, v1, v5, v82
	;;#ASMEND
	s_nop 0
	;;#ASMSTART
	v_dot2_f32_f16 v82, v2, v6, v82
	;;#ASMEND
	s_nop 0
	;;#ASMSTART
	v_dot2_f32_f16 v82, v3, v7, v82
	;;#ASMEND
	s_waitcnt lgkmcnt(2)
	;;#ASMSTART
	v_dot2_f32_f16 v83, v0, v8, v83
	;;#ASMEND
	s_nop 0
	;;#ASMSTART
	v_dot2_f32_f16 v83, v1, v9, v83
	;;#ASMEND
	s_nop 0
	;;#ASMSTART
	v_dot2_f32_f16 v83, v2, v10, v83
	;;#ASMEND
	s_nop 0
	;;#ASMSTART
	v_dot2_f32_f16 v83, v3, v11, v83
	;;#ASMEND
	;; [unrolled: 16-line block ×4, first 2 shown]
	ds_read_b128 v[0:3], v56 offset:32
	ds_read_b128 v[4:7], v47 offset:288
	ds_read_b128 v[8:11], v47 offset:800
	ds_read_b128 v[12:15], v47 offset:1312
	ds_read_b128 v[16:19], v47 offset:1824
	s_waitcnt lgkmcnt(3)
	;;#ASMSTART
	v_dot2_f32_f16 v82, v0, v4, v82
	;;#ASMEND
	s_nop 0
	;;#ASMSTART
	v_dot2_f32_f16 v82, v1, v5, v82
	;;#ASMEND
	s_nop 0
	;;#ASMSTART
	v_dot2_f32_f16 v82, v2, v6, v82
	;;#ASMEND
	s_nop 0
	;;#ASMSTART
	v_dot2_f32_f16 v82, v3, v7, v82
	;;#ASMEND
	s_waitcnt lgkmcnt(2)
	;;#ASMSTART
	v_dot2_f32_f16 v83, v0, v8, v83
	;;#ASMEND
	s_nop 0
	;;#ASMSTART
	v_dot2_f32_f16 v83, v1, v9, v83
	;;#ASMEND
	s_nop 0
	;;#ASMSTART
	v_dot2_f32_f16 v83, v2, v10, v83
	;;#ASMEND
	s_nop 0
	;;#ASMSTART
	v_dot2_f32_f16 v83, v3, v11, v83
	;;#ASMEND
	;; [unrolled: 16-line block ×4, first 2 shown]
	ds_read_b128 v[0:3], v56 offset:48
	ds_read_b128 v[4:7], v47 offset:304
	;; [unrolled: 1-line block ×5, first 2 shown]
	s_waitcnt lgkmcnt(3)
	;;#ASMSTART
	v_dot2_f32_f16 v82, v0, v4, v82
	;;#ASMEND
	s_nop 0
	;;#ASMSTART
	v_dot2_f32_f16 v82, v1, v5, v82
	;;#ASMEND
	s_nop 0
	;;#ASMSTART
	v_dot2_f32_f16 v82, v2, v6, v82
	;;#ASMEND
	s_nop 0
	;;#ASMSTART
	v_dot2_f32_f16 v82, v3, v7, v82
	;;#ASMEND
	s_waitcnt lgkmcnt(2)
	;;#ASMSTART
	v_dot2_f32_f16 v83, v0, v8, v83
	;;#ASMEND
	s_nop 0
	;;#ASMSTART
	v_dot2_f32_f16 v83, v1, v9, v83
	;;#ASMEND
	s_nop 0
	;;#ASMSTART
	v_dot2_f32_f16 v83, v2, v10, v83
	;;#ASMEND
	s_nop 0
	;;#ASMSTART
	v_dot2_f32_f16 v83, v3, v11, v83
	;;#ASMEND
	;; [unrolled: 16-line block ×4, first 2 shown]
	ds_read_b128 v[0:3], v56 offset:64
	ds_read_b128 v[4:7], v47 offset:320
	;; [unrolled: 1-line block ×5, first 2 shown]
	s_waitcnt lgkmcnt(3)
	;;#ASMSTART
	v_dot2_f32_f16 v82, v0, v4, v82
	;;#ASMEND
	s_nop 0
	;;#ASMSTART
	v_dot2_f32_f16 v82, v1, v5, v82
	;;#ASMEND
	s_nop 0
	;;#ASMSTART
	v_dot2_f32_f16 v82, v2, v6, v82
	;;#ASMEND
	s_nop 0
	;;#ASMSTART
	v_dot2_f32_f16 v82, v3, v7, v82
	;;#ASMEND
	s_waitcnt lgkmcnt(2)
	;;#ASMSTART
	v_dot2_f32_f16 v83, v0, v8, v83
	;;#ASMEND
	s_nop 0
	;;#ASMSTART
	v_dot2_f32_f16 v83, v1, v9, v83
	;;#ASMEND
	s_nop 0
	;;#ASMSTART
	v_dot2_f32_f16 v83, v2, v10, v83
	;;#ASMEND
	s_nop 0
	;;#ASMSTART
	v_dot2_f32_f16 v83, v3, v11, v83
	;;#ASMEND
	;; [unrolled: 16-line block ×4, first 2 shown]
	ds_read_b128 v[0:3], v56 offset:80
	ds_read_b128 v[4:7], v47 offset:336
	;; [unrolled: 1-line block ×5, first 2 shown]
	s_waitcnt lgkmcnt(3)
	;;#ASMSTART
	v_dot2_f32_f16 v82, v0, v4, v82
	;;#ASMEND
	s_nop 0
	;;#ASMSTART
	v_dot2_f32_f16 v82, v1, v5, v82
	;;#ASMEND
	s_nop 0
	;;#ASMSTART
	v_dot2_f32_f16 v82, v2, v6, v82
	;;#ASMEND
	s_nop 0
	;;#ASMSTART
	v_dot2_f32_f16 v82, v3, v7, v82
	;;#ASMEND
	s_waitcnt lgkmcnt(2)
	;;#ASMSTART
	v_dot2_f32_f16 v83, v0, v8, v83
	;;#ASMEND
	s_nop 0
	;;#ASMSTART
	v_dot2_f32_f16 v83, v1, v9, v83
	;;#ASMEND
	s_nop 0
	;;#ASMSTART
	v_dot2_f32_f16 v83, v2, v10, v83
	;;#ASMEND
	s_nop 0
	;;#ASMSTART
	v_dot2_f32_f16 v83, v3, v11, v83
	;;#ASMEND
	s_waitcnt lgkmcnt(1)
	;;#ASMSTART
	v_dot2_f32_f16 v84, v0, v12, v84
	;;#ASMEND
	s_nop 0
	;;#ASMSTART
	v_dot2_f32_f16 v84, v1, v13, v84
	;;#ASMEND
	s_nop 0
	;;#ASMSTART
	v_dot2_f32_f16 v84, v2, v14, v84
	;;#ASMEND
	s_nop 0
	;;#ASMSTART
	v_dot2_f32_f16 v84, v3, v15, v84
	;;#ASMEND
	s_waitcnt lgkmcnt(0)
	;;#ASMSTART
	v_dot2_f32_f16 v85, v0, v16, v85
	;;#ASMEND
	s_nop 0
	;;#ASMSTART
	v_dot2_f32_f16 v85, v1, v17, v85
	;;#ASMEND
	s_nop 0
	;;#ASMSTART
	v_dot2_f32_f16 v85, v2, v18, v85
	;;#ASMEND
	s_nop 0
	;;#ASMSTART
	v_dot2_f32_f16 v85, v3, v19, v85
	;;#ASMEND
	ds_read_b128 v[0:3], v56 offset:96
	ds_read_b128 v[4:7], v47 offset:352
	;; [unrolled: 1-line block ×5, first 2 shown]
	s_waitcnt lgkmcnt(3)
	;;#ASMSTART
	v_dot2_f32_f16 v82, v0, v4, v82
	;;#ASMEND
	s_nop 0
	;;#ASMSTART
	v_dot2_f32_f16 v82, v1, v5, v82
	;;#ASMEND
	s_nop 0
	;;#ASMSTART
	v_dot2_f32_f16 v82, v2, v6, v82
	;;#ASMEND
	s_nop 0
	;;#ASMSTART
	v_dot2_f32_f16 v82, v3, v7, v82
	;;#ASMEND
	s_waitcnt lgkmcnt(2)
	;;#ASMSTART
	v_dot2_f32_f16 v83, v0, v8, v83
	;;#ASMEND
	s_nop 0
	;;#ASMSTART
	v_dot2_f32_f16 v83, v1, v9, v83
	;;#ASMEND
	s_nop 0
	;;#ASMSTART
	v_dot2_f32_f16 v83, v2, v10, v83
	;;#ASMEND
	s_nop 0
	;;#ASMSTART
	v_dot2_f32_f16 v83, v3, v11, v83
	;;#ASMEND
	;; [unrolled: 16-line block ×4, first 2 shown]
	ds_read_b128 v[0:3], v56 offset:112
	ds_read_b128 v[4:7], v47 offset:368
	;; [unrolled: 1-line block ×5, first 2 shown]
	s_waitcnt lgkmcnt(3)
	;;#ASMSTART
	v_dot2_f32_f16 v82, v0, v4, v82
	;;#ASMEND
	s_nop 0
	;;#ASMSTART
	v_dot2_f32_f16 v82, v1, v5, v82
	;;#ASMEND
	s_nop 0
	;;#ASMSTART
	v_dot2_f32_f16 v82, v2, v6, v82
	;;#ASMEND
	s_nop 0
	;;#ASMSTART
	v_dot2_f32_f16 v82, v3, v7, v82
	;;#ASMEND
	s_waitcnt lgkmcnt(2)
	;;#ASMSTART
	v_dot2_f32_f16 v83, v0, v8, v83
	;;#ASMEND
	s_nop 0
	;;#ASMSTART
	v_dot2_f32_f16 v83, v1, v9, v83
	;;#ASMEND
	s_nop 0
	;;#ASMSTART
	v_dot2_f32_f16 v83, v2, v10, v83
	;;#ASMEND
	s_nop 0
	;;#ASMSTART
	v_dot2_f32_f16 v83, v3, v11, v83
	;;#ASMEND
	;; [unrolled: 16-line block ×4, first 2 shown]
	ds_read_b128 v[0:3], v56 offset:128
	ds_read_b128 v[4:7], v47 offset:384
	;; [unrolled: 1-line block ×5, first 2 shown]
	s_waitcnt lgkmcnt(3)
	;;#ASMSTART
	v_dot2_f32_f16 v82, v0, v4, v82
	;;#ASMEND
	s_nop 0
	;;#ASMSTART
	v_dot2_f32_f16 v82, v1, v5, v82
	;;#ASMEND
	s_nop 0
	;;#ASMSTART
	v_dot2_f32_f16 v82, v2, v6, v82
	;;#ASMEND
	s_nop 0
	;;#ASMSTART
	v_dot2_f32_f16 v82, v3, v7, v82
	;;#ASMEND
	s_waitcnt lgkmcnt(2)
	;;#ASMSTART
	v_dot2_f32_f16 v83, v0, v8, v83
	;;#ASMEND
	s_nop 0
	;;#ASMSTART
	v_dot2_f32_f16 v83, v1, v9, v83
	;;#ASMEND
	s_nop 0
	;;#ASMSTART
	v_dot2_f32_f16 v83, v2, v10, v83
	;;#ASMEND
	s_nop 0
	;;#ASMSTART
	v_dot2_f32_f16 v83, v3, v11, v83
	;;#ASMEND
	;; [unrolled: 16-line block ×4, first 2 shown]
	ds_read_b128 v[0:3], v56 offset:144
	ds_read_b128 v[4:7], v47 offset:400
	;; [unrolled: 1-line block ×5, first 2 shown]
	s_waitcnt lgkmcnt(3)
	;;#ASMSTART
	v_dot2_f32_f16 v82, v0, v4, v82
	;;#ASMEND
	s_nop 0
	;;#ASMSTART
	v_dot2_f32_f16 v82, v1, v5, v82
	;;#ASMEND
	s_nop 0
	;;#ASMSTART
	v_dot2_f32_f16 v82, v2, v6, v82
	;;#ASMEND
	s_nop 0
	;;#ASMSTART
	v_dot2_f32_f16 v82, v3, v7, v82
	;;#ASMEND
	s_waitcnt lgkmcnt(2)
	;;#ASMSTART
	v_dot2_f32_f16 v83, v0, v8, v83
	;;#ASMEND
	s_nop 0
	;;#ASMSTART
	v_dot2_f32_f16 v83, v1, v9, v83
	;;#ASMEND
	s_nop 0
	;;#ASMSTART
	v_dot2_f32_f16 v83, v2, v10, v83
	;;#ASMEND
	s_nop 0
	;;#ASMSTART
	v_dot2_f32_f16 v83, v3, v11, v83
	;;#ASMEND
	;; [unrolled: 16-line block ×4, first 2 shown]
	ds_read_b128 v[0:3], v56 offset:160
	ds_read_b128 v[4:7], v47 offset:416
	;; [unrolled: 1-line block ×5, first 2 shown]
	s_waitcnt lgkmcnt(3)
	;;#ASMSTART
	v_dot2_f32_f16 v82, v0, v4, v82
	;;#ASMEND
	s_nop 0
	;;#ASMSTART
	v_dot2_f32_f16 v82, v1, v5, v82
	;;#ASMEND
	s_nop 0
	;;#ASMSTART
	v_dot2_f32_f16 v82, v2, v6, v82
	;;#ASMEND
	s_nop 0
	;;#ASMSTART
	v_dot2_f32_f16 v82, v3, v7, v82
	;;#ASMEND
	s_waitcnt lgkmcnt(2)
	;;#ASMSTART
	v_dot2_f32_f16 v83, v0, v8, v83
	;;#ASMEND
	s_nop 0
	;;#ASMSTART
	v_dot2_f32_f16 v83, v1, v9, v83
	;;#ASMEND
	s_nop 0
	;;#ASMSTART
	v_dot2_f32_f16 v83, v2, v10, v83
	;;#ASMEND
	s_nop 0
	;;#ASMSTART
	v_dot2_f32_f16 v83, v3, v11, v83
	;;#ASMEND
	;; [unrolled: 16-line block ×4, first 2 shown]
	ds_read_b128 v[0:3], v56 offset:176
	ds_read_b128 v[4:7], v47 offset:432
	;; [unrolled: 1-line block ×5, first 2 shown]
	s_waitcnt lgkmcnt(3)
	;;#ASMSTART
	v_dot2_f32_f16 v82, v0, v4, v82
	;;#ASMEND
	s_nop 0
	;;#ASMSTART
	v_dot2_f32_f16 v82, v1, v5, v82
	;;#ASMEND
	s_nop 0
	;;#ASMSTART
	v_dot2_f32_f16 v82, v2, v6, v82
	;;#ASMEND
	s_nop 0
	;;#ASMSTART
	v_dot2_f32_f16 v82, v3, v7, v82
	;;#ASMEND
	s_waitcnt lgkmcnt(2)
	;;#ASMSTART
	v_dot2_f32_f16 v83, v0, v8, v83
	;;#ASMEND
	s_nop 0
	;;#ASMSTART
	v_dot2_f32_f16 v83, v1, v9, v83
	;;#ASMEND
	s_nop 0
	;;#ASMSTART
	v_dot2_f32_f16 v83, v2, v10, v83
	;;#ASMEND
	s_nop 0
	;;#ASMSTART
	v_dot2_f32_f16 v83, v3, v11, v83
	;;#ASMEND
	;; [unrolled: 16-line block ×4, first 2 shown]
	ds_read_b128 v[0:3], v56 offset:192
	ds_read_b128 v[4:7], v47 offset:448
	;; [unrolled: 1-line block ×5, first 2 shown]
	s_waitcnt lgkmcnt(3)
	;;#ASMSTART
	v_dot2_f32_f16 v82, v0, v4, v82
	;;#ASMEND
	s_nop 0
	;;#ASMSTART
	v_dot2_f32_f16 v82, v1, v5, v82
	;;#ASMEND
	s_nop 0
	;;#ASMSTART
	v_dot2_f32_f16 v82, v2, v6, v82
	;;#ASMEND
	s_nop 0
	;;#ASMSTART
	v_dot2_f32_f16 v82, v3, v7, v82
	;;#ASMEND
	s_waitcnt lgkmcnt(2)
	;;#ASMSTART
	v_dot2_f32_f16 v83, v0, v8, v83
	;;#ASMEND
	s_nop 0
	;;#ASMSTART
	v_dot2_f32_f16 v83, v1, v9, v83
	;;#ASMEND
	s_nop 0
	;;#ASMSTART
	v_dot2_f32_f16 v83, v2, v10, v83
	;;#ASMEND
	s_nop 0
	;;#ASMSTART
	v_dot2_f32_f16 v83, v3, v11, v83
	;;#ASMEND
	;; [unrolled: 16-line block ×4, first 2 shown]
	ds_read_b128 v[0:3], v56 offset:208
	ds_read_b128 v[4:7], v47 offset:464
	;; [unrolled: 1-line block ×5, first 2 shown]
	s_waitcnt lgkmcnt(3)
	;;#ASMSTART
	v_dot2_f32_f16 v82, v0, v4, v82
	;;#ASMEND
	s_nop 0
	;;#ASMSTART
	v_dot2_f32_f16 v82, v1, v5, v82
	;;#ASMEND
	s_nop 0
	;;#ASMSTART
	v_dot2_f32_f16 v82, v2, v6, v82
	;;#ASMEND
	s_nop 0
	;;#ASMSTART
	v_dot2_f32_f16 v82, v3, v7, v82
	;;#ASMEND
	s_waitcnt lgkmcnt(2)
	;;#ASMSTART
	v_dot2_f32_f16 v83, v0, v8, v83
	;;#ASMEND
	s_nop 0
	;;#ASMSTART
	v_dot2_f32_f16 v83, v1, v9, v83
	;;#ASMEND
	s_nop 0
	;;#ASMSTART
	v_dot2_f32_f16 v83, v2, v10, v83
	;;#ASMEND
	s_nop 0
	;;#ASMSTART
	v_dot2_f32_f16 v83, v3, v11, v83
	;;#ASMEND
	;; [unrolled: 16-line block ×4, first 2 shown]
	ds_read_b128 v[0:3], v56 offset:224
	ds_read_b128 v[4:7], v47 offset:480
	;; [unrolled: 1-line block ×5, first 2 shown]
	s_waitcnt lgkmcnt(3)
	;;#ASMSTART
	v_dot2_f32_f16 v82, v0, v4, v82
	;;#ASMEND
	s_nop 0
	;;#ASMSTART
	v_dot2_f32_f16 v82, v1, v5, v82
	;;#ASMEND
	s_nop 0
	;;#ASMSTART
	v_dot2_f32_f16 v82, v2, v6, v82
	;;#ASMEND
	s_nop 0
	;;#ASMSTART
	v_dot2_f32_f16 v82, v3, v7, v82
	;;#ASMEND
	s_waitcnt lgkmcnt(2)
	;;#ASMSTART
	v_dot2_f32_f16 v83, v0, v8, v83
	;;#ASMEND
	s_nop 0
	;;#ASMSTART
	v_dot2_f32_f16 v83, v1, v9, v83
	;;#ASMEND
	s_nop 0
	;;#ASMSTART
	v_dot2_f32_f16 v83, v2, v10, v83
	;;#ASMEND
	s_nop 0
	;;#ASMSTART
	v_dot2_f32_f16 v83, v3, v11, v83
	;;#ASMEND
	s_waitcnt lgkmcnt(1)
	;;#ASMSTART
	v_dot2_f32_f16 v84, v0, v12, v84
	;;#ASMEND
	s_nop 0
	;;#ASMSTART
	v_dot2_f32_f16 v84, v1, v13, v84
	;;#ASMEND
	s_nop 0
	;;#ASMSTART
	v_dot2_f32_f16 v84, v2, v14, v84
	;;#ASMEND
	s_nop 0
	;;#ASMSTART
	v_dot2_f32_f16 v84, v3, v15, v84
	;;#ASMEND
	s_waitcnt lgkmcnt(0)
	;;#ASMSTART
	v_dot2_f32_f16 v85, v0, v16, v85
	;;#ASMEND
	s_nop 0
	;;#ASMSTART
	v_dot2_f32_f16 v85, v1, v17, v85
	;;#ASMEND
	s_nop 0
	;;#ASMSTART
	v_dot2_f32_f16 v85, v2, v18, v85
	;;#ASMEND
	s_nop 0
	;;#ASMSTART
	v_dot2_f32_f16 v85, v3, v19, v85
	;;#ASMEND
	ds_read_b128 v[0:3], v56 offset:240
	ds_read_b128 v[16:19], v47 offset:496
	;; [unrolled: 1-line block ×5, first 2 shown]
	s_waitcnt lgkmcnt(3)
	;;#ASMSTART
	v_dot2_f32_f16 v82, v0, v16, v82
	;;#ASMEND
	s_nop 0
	;;#ASMSTART
	v_dot2_f32_f16 v82, v1, v17, v82
	;;#ASMEND
	v_lshl_add_u64 v[16:17], v[40:41], 1, s[38:39]
	;;#ASMSTART
	v_dot2_f32_f16 v82, v2, v18, v82
	;;#ASMEND
	v_max_f32_e32 v18, v89, v89
	;;#ASMSTART
	v_dot2_f32_f16 v82, v3, v19, v82
	;;#ASMEND
	s_waitcnt lgkmcnt(2)
	;;#ASMSTART
	v_dot2_f32_f16 v83, v0, v12, v83
	;;#ASMEND
	v_lshl_add_u64 v[40:41], s[4:5], 0, v[36:37]
	;;#ASMSTART
	v_dot2_f32_f16 v83, v1, v13, v83
	;;#ASMEND
	v_lshl_add_u64 v[12:13], s[4:5], 0, v[38:39]
	;;#ASMSTART
	v_dot2_f32_f16 v83, v2, v14, v83
	;;#ASMEND
	s_mul_hi_i32 s5, s6, s28
	;;#ASMSTART
	v_dot2_f32_f16 v83, v3, v15, v83
	;;#ASMEND
	s_waitcnt lgkmcnt(1)
	;;#ASMSTART
	v_dot2_f32_f16 v84, v0, v8, v84
	;;#ASMEND
	v_lshl_add_u64 v[14:15], v[40:41], 0, v[34:35]
	;;#ASMSTART
	v_dot2_f32_f16 v84, v1, v9, v84
	;;#ASMEND
	v_lshl_add_u64 v[40:41], v[12:13], 0, v[34:35]
	;;#ASMSTART
	v_dot2_f32_f16 v84, v2, v10, v84
	;;#ASMEND
	s_mul_i32 s4, s6, s28
	;;#ASMSTART
	v_dot2_f32_f16 v84, v3, v11, v84
	;;#ASMEND
	s_waitcnt lgkmcnt(0)
	;;#ASMSTART
	v_dot2_f32_f16 v85, v0, v4, v85
	;;#ASMEND
	s_lshl_b64 s[4:5], s[4:5], 2
	;;#ASMSTART
	v_dot2_f32_f16 v85, v1, v5, v85
	;;#ASMEND
	s_add_u32 s22, s40, s4
	;;#ASMSTART
	v_dot2_f32_f16 v85, v2, v6, v85
	;;#ASMEND
	s_addc_u32 s23, s41, s5
	;;#ASMSTART
	v_dot2_f32_f16 v85, v3, v7, v85
	;;#ASMEND
	global_load_ushort v0, v[16:17], off
	s_barrier
	global_load_dwordx4 v[4:7], v[14:15], off
	v_lshl_add_u64 v[12:13], s[22:23], 0, v[36:37]
	s_waitcnt vmcnt(1)
	v_cvt_f32_f16_e32 v0, v0
	v_add_f32_e32 v10, v84, v0
	v_add_f32_e32 v11, v85, v0
	;; [unrolled: 1-line block ×5, first 2 shown]
	v_max_f32_e32 v2, v97, v2
	v_add_f32_e32 v9, v83, v0
	v_add_f32_e32 v0, 0x40051340, v8
	v_max_f32_e32 v3, v18, v3
	ds_bpermute_b32 v16, v94, v2
	v_add_f32_e32 v1, 0x40051340, v9
	v_max_f32_e32 v0, v95, v0
	ds_bpermute_b32 v17, v94, v3
	v_max_f32_e32 v1, v96, v1
	ds_bpermute_b32 v14, v94, v0
	ds_bpermute_b32 v15, v94, v1
	s_waitcnt lgkmcnt(3)
	v_max_f32_e32 v16, v16, v16
	s_waitcnt lgkmcnt(2)
	v_max_f32_e32 v17, v17, v17
	v_max_f32_e32 v2, v2, v16
	s_waitcnt lgkmcnt(1)
	v_max_f32_e32 v14, v14, v14
	v_max_f32_e32 v3, v3, v17
	ds_bpermute_b32 v16, v93, v2
	s_waitcnt lgkmcnt(1)
	v_max_f32_e32 v15, v15, v15
	v_max_f32_e32 v0, v0, v14
	ds_bpermute_b32 v17, v93, v3
	v_max_f32_e32 v1, v1, v15
	ds_bpermute_b32 v14, v93, v0
	ds_bpermute_b32 v15, v93, v1
	s_waitcnt lgkmcnt(3)
	v_max_f32_e32 v16, v16, v16
	s_waitcnt lgkmcnt(2)
	v_max_f32_e32 v17, v17, v17
	v_max_f32_e32 v2, v2, v16
	s_waitcnt lgkmcnt(1)
	v_max_f32_e32 v14, v14, v14
	v_max_f32_e32 v3, v3, v17
	ds_bpermute_b32 v16, v92, v2
	s_waitcnt lgkmcnt(1)
	v_max_f32_e32 v15, v15, v15
	;; [unrolled: 16-line block ×4, first 2 shown]
	v_max_f32_e32 v0, v0, v14
	ds_bpermute_b32 v17, v90, v3
	v_max_f32_e32 v1, v1, v15
	ds_bpermute_b32 v14, v90, v0
	ds_bpermute_b32 v15, v90, v1
	s_waitcnt lgkmcnt(3)
	v_max_f32_e32 v16, v16, v16
	s_waitcnt lgkmcnt(2)
	v_max_f32_e32 v17, v17, v17
	v_max_f32_e32 v2, v2, v16
	s_waitcnt lgkmcnt(1)
	v_max_f32_e32 v14, v14, v14
	v_max_f32_e32 v3, v3, v17
	v_sub_f32_e32 v16, v10, v2
	s_waitcnt lgkmcnt(0)
	v_max_f32_e32 v15, v15, v15
	v_max_f32_e32 v0, v0, v14
	v_sub_f32_e32 v17, v11, v3
	v_mul_f32_e32 v10, 0x3fb8aa3b, v16
	v_max_f32_e32 v1, v1, v15
	v_sub_f32_e32 v18, v86, v0
	v_mul_f32_e32 v11, 0x3fb8aa3b, v17
	v_fma_f32 v86, v16, s42, -v10
	v_rndne_f32_e32 v90, v10
	v_sub_f32_e32 v14, v8, v0
	v_sub_f32_e32 v15, v9, v1
	;; [unrolled: 1-line block ×3, first 2 shown]
	v_mul_f32_e32 v44, 0x3fb8aa3b, v18
	v_fma_f32 v87, v17, s42, -v11
	v_rndne_f32_e32 v91, v11
	v_fmac_f32_e32 v86, 0x32a5705f, v16
	v_sub_f32_e32 v10, v10, v90
	v_mul_f32_e32 v8, 0x3fb8aa3b, v14
	v_mul_f32_e32 v9, 0x3fb8aa3b, v15
	;; [unrolled: 1-line block ×3, first 2 shown]
	v_fma_f32 v92, v18, s42, -v44
	v_add_f32_e32 v86, v10, v86
	v_rndne_f32_e32 v94, v44
	v_fmac_f32_e32 v87, 0x32a5705f, v17
	v_sub_f32_e32 v10, v11, v91
	v_sub_f32_e32 v42, v88, v2
	;; [unrolled: 1-line block ×3, first 2 shown]
	v_fma_f32 v84, v14, s42, -v8
	v_fma_f32 v85, v15, s42, -v9
	v_rndne_f32_e32 v88, v8
	v_rndne_f32_e32 v89, v9
	v_fma_f32 v93, v19, s42, -v45
	v_add_f32_e32 v87, v10, v87
	v_rndne_f32_e32 v95, v45
	v_fmac_f32_e32 v92, 0x32a5705f, v18
	v_sub_f32_e32 v10, v44, v94
	v_mul_f32_e32 v82, 0x3fb8aa3b, v42
	v_mul_f32_e32 v83, 0x3fb8aa3b, v43
	v_fmac_f32_e32 v84, 0x32a5705f, v14
	v_sub_f32_e32 v8, v8, v88
	v_fmac_f32_e32 v85, 0x32a5705f, v15
	v_sub_f32_e32 v9, v9, v89
	v_add_f32_e32 v44, v10, v92
	v_fmac_f32_e32 v93, 0x32a5705f, v19
	v_sub_f32_e32 v10, v45, v95
	v_add_f32_e32 v84, v8, v84
	v_fma_f32 v8, v42, s42, -v82
	v_add_f32_e32 v85, v9, v85
	v_fma_f32 v9, v43, s42, -v83
	v_rndne_f32_e32 v92, v82
	v_add_f32_e32 v45, v10, v93
	v_rndne_f32_e32 v93, v83
	v_fmac_f32_e32 v8, 0x32a5705f, v42
	v_fmac_f32_e32 v9, 0x32a5705f, v43
	v_sub_f32_e32 v10, v82, v92
	v_sub_f32_e32 v11, v83, v93
	v_add_f32_e32 v82, v10, v8
	v_add_f32_e32 v83, v11, v9
	global_load_dwordx4 v[8:11], v[40:41], off
	v_cvt_i32_f32_e32 v40, v88
	v_cvt_i32_f32_e32 v41, v89
	;; [unrolled: 1-line block ×8, first 2 shown]
	v_exp_f32_e32 v84, v84
	v_exp_f32_e32 v85, v85
	v_exp_f32_e32 v44, v44
	v_exp_f32_e32 v45, v45
	v_exp_f32_e32 v82, v82
	v_exp_f32_e32 v83, v83
	v_exp_f32_e32 v86, v86
	v_exp_f32_e32 v87, v87
	v_ldexp_f32 v40, v84, v40
	v_cmp_ngt_f32_e32 vcc, s43, v14
	v_ldexp_f32 v41, v85, v41
	v_ldexp_f32 v45, v45, v91
	v_cmp_ngt_f32_e64 s[8:9], s43, v19
	v_ldexp_f32 v44, v44, v90
	v_cmp_ngt_f32_e64 s[10:11], s43, v18
	;; [unrolled: 2-line block ×4, first 2 shown]
	v_cmp_ngt_f32_e64 s[16:17], s43, v15
	v_ldexp_f32 v84, v86, v88
	v_cmp_ngt_f32_e64 s[4:5], s43, v16
	v_cndmask_b32_e64 v41, 0, v41, s[16:17]
	v_cmp_nlt_f32_e64 s[16:17], s44, v15
	v_cndmask_b32_e32 v15, 0, v40, vcc
	v_cndmask_b32_e64 v40, 0, v45, s[8:9]
	v_cmp_nlt_f32_e32 vcc, s44, v19
	v_cndmask_b32_e64 v19, 0, v44, s[10:11]
	v_cmp_nlt_f32_e64 s[8:9], s44, v18
	v_cndmask_b32_e64 v44, 0, v82, s[12:13]
	v_cmp_nlt_f32_e64 s[10:11], s44, v42
	;; [unrolled: 2-line block ×3, first 2 shown]
	v_cmp_nlt_f32_e64 s[14:15], s44, v14
	v_cndmask_b32_e64 v18, v60, v19, s[8:9]
	v_cndmask_b32_e32 v19, v60, v40, vcc
	v_cndmask_b32_e64 v14, v60, v15, s[14:15]
	v_cndmask_b32_e64 v15, v60, v41, s[16:17]
	;; [unrolled: 1-line block ×4, first 2 shown]
	v_ldexp_f32 v86, v87, v89
	v_cmp_ngt_f32_e64 s[6:7], s43, v17
	v_pk_fma_f32 v[24:25], v[24:25], v[18:19], v[14:15]
	v_cvt_f16_f32_e32 v18, v18
	v_cvt_f16_f32_e32 v44, v40
	;; [unrolled: 1-line block ×3, first 2 shown]
	v_cndmask_b32_e64 v84, 0, v84, s[4:5]
	v_cmp_nlt_f32_e64 s[4:5], s44, v16
	v_cndmask_b32_e64 v85, 0, v86, s[6:7]
	v_cmp_nlt_f32_e64 s[6:7], s44, v17
	v_cvt_f16_f32_e32 v19, v19
	v_cndmask_b32_e64 v16, v60, v84, s[4:5]
	v_cndmask_b32_e64 v17, v60, v85, s[6:7]
	v_cvt_pk_f16_f32 v43, v16, v17
	v_cvt_pk_f16_f32 v42, v14, v15
	v_pk_fma_f32 v[22:23], v[22:23], v[40:41], v[16:17]
	ds_write_b64 v61, v[42:43]
	s_waitcnt vmcnt(1)
	ds_write_b128 v58, v[4:7]
	s_waitcnt vmcnt(0)
	ds_write_b128 v59, v[8:11]
	s_waitcnt lgkmcnt(0)
	s_barrier
	ds_read_b128 v[4:7], v57
	ds_read2_b64 v[8:11], v62 offset1:32
	ds_read2_b64 v[14:17], v62 offset0:64 offset1:96
	ds_read_b128 v[40:43], v57 offset:16
	ds_read2_b64 v[82:85], v62 offset0:128 offset1:160
	v_mul_u32_u24_e32 v45, 0x10001, v45
	v_mul_u32_u24_e32 v18, 0x10001, v18
	v_mul_u32_u24_e32 v44, 0x10001, v44
	s_waitcnt lgkmcnt(4)
	v_mul_u32_u24_sdwa v86, v5, s45 dst_sel:DWORD dst_unused:UNUSED_PAD src0_sel:WORD_1 src1_sel:DWORD
	v_mul_u32_u24_sdwa v87, v4, s45 dst_sel:DWORD dst_unused:UNUSED_PAD src0_sel:WORD_0 src1_sel:DWORD
	v_mul_u32_u24_sdwa v88, v4, s45 dst_sel:DWORD dst_unused:UNUSED_PAD src0_sel:WORD_1 src1_sel:DWORD
	v_mul_u32_u24_sdwa v89, v5, s45 dst_sel:DWORD dst_unused:UNUSED_PAD src0_sel:WORD_0 src1_sel:DWORD
	v_mul_u32_u24_sdwa v90, v6, s45 dst_sel:DWORD dst_unused:UNUSED_PAD src0_sel:WORD_0 src1_sel:DWORD
	v_mul_u32_u24_sdwa v91, v6, s45 dst_sel:DWORD dst_unused:UNUSED_PAD src0_sel:WORD_1 src1_sel:DWORD
	v_mul_u32_u24_sdwa v92, v7, s45 dst_sel:DWORD dst_unused:UNUSED_PAD src0_sel:WORD_0 src1_sel:DWORD
	v_mul_u32_u24_sdwa v93, v7, s45 dst_sel:DWORD dst_unused:UNUSED_PAD src0_sel:WORD_1 src1_sel:DWORD
	ds_read2_b64 v[4:7], v62 offset0:192 offset1:224
	v_mul_u32_u24_e32 v19, 0x10001, v19
	v_pk_mul_f16 v69, v69, v45
	v_pk_mul_f16 v68, v68, v45
	;; [unrolled: 1-line block ×13, first 2 shown]
	s_waitcnt lgkmcnt(4)
	v_pk_fma_f16 v81, v8, v86, v69
	v_pk_fma_f16 v94, v9, v86, v68
	;; [unrolled: 1-line block ×7, first 2 shown]
	v_pk_mul_f16 v66, v8, v87
	v_pk_mul_f16 v87, v8, v88
	v_pk_fma_f16 v97, v11, v89, v71
	v_pk_mul_f16 v71, v8, v89
	v_pk_fma_f16 v77, v9, v88, v77
	v_pk_fma_f16 v76, v10, v88, v76
	;; [unrolled: 1-line block ×8, first 2 shown]
	ds_read_b128 v[8:11], v57 offset:32
	s_waitcnt lgkmcnt(4)
	v_pk_fma_f16 v74, v14, v93, v81
	v_pk_fma_f16 v78, v15, v93, v94
	;; [unrolled: 1-line block ×16, first 2 shown]
	s_waitcnt lgkmcnt(3)
	v_mul_u32_u24_sdwa v90, v40, s45 dst_sel:DWORD dst_unused:UNUSED_PAD src0_sel:WORD_0 src1_sel:DWORD
	v_mul_u32_u24_sdwa v40, v40, s45 dst_sel:DWORD dst_unused:UNUSED_PAD src0_sel:WORD_1 src1_sel:DWORD
	v_mul_u32_u24_sdwa v91, v41, s45 dst_sel:DWORD dst_unused:UNUSED_PAD src0_sel:WORD_1 src1_sel:DWORD
	v_mul_u32_u24_sdwa v41, v41, s45 dst_sel:DWORD dst_unused:UNUSED_PAD src0_sel:WORD_0 src1_sel:DWORD
	ds_read2_b64 v[66:69], v63 offset1:32
	s_waitcnt lgkmcnt(3)
	v_pk_fma_f16 v92, v82, v91, v74
	v_pk_fma_f16 v78, v83, v91, v78
	;; [unrolled: 1-line block ×16, first 2 shown]
	v_mul_u32_u24_sdwa v82, v42, s45 dst_sel:DWORD dst_unused:UNUSED_PAD src0_sel:WORD_0 src1_sel:DWORD
	v_mul_u32_u24_sdwa v89, v42, s45 dst_sel:DWORD dst_unused:UNUSED_PAD src0_sel:WORD_1 src1_sel:DWORD
	v_mul_u32_u24_sdwa v90, v43, s45 dst_sel:DWORD dst_unused:UNUSED_PAD src0_sel:WORD_0 src1_sel:DWORD
	v_mul_u32_u24_sdwa v93, v43, s45 dst_sel:DWORD dst_unused:UNUSED_PAD src0_sel:WORD_1 src1_sel:DWORD
	ds_read2_b64 v[70:73], v63 offset0:64 offset1:96
	s_waitcnt lgkmcnt(3)
	v_pk_fma_f16 v92, v4, v93, v92
	v_pk_fma_f16 v78, v5, v93, v78
	;; [unrolled: 1-line block ×16, first 2 shown]
	ds_read_b128 v[4:7], v57 offset:64
	ds_read_b128 v[14:17], v57 offset:48
	s_waitcnt lgkmcnt(4)
	v_mul_u32_u24_sdwa v93, v8, s45 dst_sel:DWORD dst_unused:UNUSED_PAD src0_sel:WORD_0 src1_sel:DWORD
	v_mul_u32_u24_sdwa v8, v8, s45 dst_sel:DWORD dst_unused:UNUSED_PAD src0_sel:WORD_1 src1_sel:DWORD
	v_mul_u32_u24_sdwa v89, v9, s45 dst_sel:DWORD dst_unused:UNUSED_PAD src0_sel:WORD_1 src1_sel:DWORD
	v_mul_u32_u24_sdwa v9, v9, s45 dst_sel:DWORD dst_unused:UNUSED_PAD src0_sel:WORD_0 src1_sel:DWORD
	ds_read2_b64 v[74:77], v63 offset0:128 offset1:160
	v_mul_u32_u24_sdwa v90, v10, s45 dst_sel:DWORD dst_unused:UNUSED_PAD src0_sel:WORD_0 src1_sel:DWORD
	v_mul_u32_u24_sdwa v91, v10, s45 dst_sel:DWORD dst_unused:UNUSED_PAD src0_sel:WORD_1 src1_sel:DWORD
	v_mul_u32_u24_sdwa v94, v11, s45 dst_sel:DWORD dst_unused:UNUSED_PAD src0_sel:WORD_0 src1_sel:DWORD
	v_mul_u32_u24_sdwa v95, v11, s45 dst_sel:DWORD dst_unused:UNUSED_PAD src0_sel:WORD_1 src1_sel:DWORD
	s_waitcnt lgkmcnt(4)
	v_pk_fma_f16 v92, v66, v89, v92
	v_pk_fma_f16 v78, v67, v89, v78
	;; [unrolled: 1-line block ×16, first 2 shown]
	ds_read2_b64 v[40:43], v63 offset0:192 offset1:224
	ds_read_b128 v[8:11], v57 offset:80
	s_waitcnt lgkmcnt(5)
	v_pk_fma_f16 v84, v70, v95, v92
	v_pk_fma_f16 v78, v71, v95, v78
	v_pk_fma_f16 v81, v72, v95, v81
	v_pk_fma_f16 v45, v73, v95, v45
	s_waitcnt lgkmcnt(4)
	v_mul_u32_u24_sdwa v85, v4, s45 dst_sel:DWORD dst_unused:UNUSED_PAD src0_sel:WORD_0 src1_sel:DWORD
	v_pk_fma_f16 v86, v71, v90, v86
	v_pk_fma_f16 v80, v72, v90, v80
	;; [unrolled: 1-line block ×4, first 2 shown]
	v_mul_u32_u24_sdwa v90, v4, s45 dst_sel:DWORD dst_unused:UNUSED_PAD src0_sel:WORD_1 src1_sel:DWORD
	v_pk_fma_f16 v82, v71, v91, v82
	v_pk_fma_f16 v87, v72, v91, v87
	;; [unrolled: 1-line block ×4, first 2 shown]
	v_mul_u32_u24_sdwa v91, v5, s45 dst_sel:DWORD dst_unused:UNUSED_PAD src0_sel:WORD_1 src1_sel:DWORD
	v_pk_fma_f16 v67, v71, v94, v67
	v_pk_fma_f16 v68, v72, v94, v68
	v_pk_fma_f16 v69, v73, v94, v69
	v_pk_fma_f16 v44, v70, v94, v44
	v_mul_u32_u24_sdwa v72, v5, s45 dst_sel:DWORD dst_unused:UNUSED_PAD src0_sel:WORD_0 src1_sel:DWORD
	v_mul_u32_u24_sdwa v73, v6, s45 dst_sel:DWORD dst_unused:UNUSED_PAD src0_sel:WORD_0 src1_sel:DWORD
	v_mul_u32_u24_sdwa v92, v6, s45 dst_sel:DWORD dst_unused:UNUSED_PAD src0_sel:WORD_1 src1_sel:DWORD
	v_mul_u32_u24_sdwa v94, v7, s45 dst_sel:DWORD dst_unused:UNUSED_PAD src0_sel:WORD_0 src1_sel:DWORD
	v_mul_u32_u24_sdwa v95, v7, s45 dst_sel:DWORD dst_unused:UNUSED_PAD src0_sel:WORD_1 src1_sel:DWORD
	ds_read_b128 v[4:7], v57 offset:96
	s_waitcnt lgkmcnt(4)
	v_mul_u32_u24_sdwa v89, v14, s45 dst_sel:DWORD dst_unused:UNUSED_PAD src0_sel:WORD_0 src1_sel:DWORD
	v_mul_u32_u24_sdwa v14, v14, s45 dst_sel:DWORD dst_unused:UNUSED_PAD src0_sel:WORD_1 src1_sel:DWORD
	v_mul_u32_u24_sdwa v93, v15, s45 dst_sel:DWORD dst_unused:UNUSED_PAD src0_sel:WORD_1 src1_sel:DWORD
	v_mul_u32_u24_sdwa v15, v15, s45 dst_sel:DWORD dst_unused:UNUSED_PAD src0_sel:WORD_0 src1_sel:DWORD
	v_mul_u32_u24_sdwa v66, v16, s45 dst_sel:DWORD dst_unused:UNUSED_PAD src0_sel:WORD_0 src1_sel:DWORD
	v_mul_u32_u24_sdwa v16, v16, s45 dst_sel:DWORD dst_unused:UNUSED_PAD src0_sel:WORD_1 src1_sel:DWORD
	v_mul_u32_u24_sdwa v83, v17, s45 dst_sel:DWORD dst_unused:UNUSED_PAD src0_sel:WORD_0 src1_sel:DWORD
	v_mul_u32_u24_sdwa v17, v17, s45 dst_sel:DWORD dst_unused:UNUSED_PAD src0_sel:WORD_1 src1_sel:DWORD
	s_waitcnt lgkmcnt(3)
	v_pk_fma_f16 v70, v74, v93, v84
	v_pk_fma_f16 v71, v75, v93, v78
	;; [unrolled: 1-line block ×16, first 2 shown]
	s_waitcnt lgkmcnt(1)
	v_mul_u32_u24_sdwa v81, v8, s45 dst_sel:DWORD dst_unused:UNUSED_PAD src0_sel:WORD_0 src1_sel:DWORD
	v_mul_u32_u24_sdwa v86, v8, s45 dst_sel:DWORD dst_unused:UNUSED_PAD src0_sel:WORD_1 src1_sel:DWORD
	v_mul_u32_u24_sdwa v19, v9, s45 dst_sel:DWORD dst_unused:UNUSED_PAD src0_sel:WORD_1 src1_sel:DWORD
	v_mul_u32_u24_sdwa v74, v9, s45 dst_sel:DWORD dst_unused:UNUSED_PAD src0_sel:WORD_0 src1_sel:DWORD
	v_mul_u32_u24_sdwa v75, v10, s45 dst_sel:DWORD dst_unused:UNUSED_PAD src0_sel:WORD_0 src1_sel:DWORD
	v_mul_u32_u24_sdwa v76, v10, s45 dst_sel:DWORD dst_unused:UNUSED_PAD src0_sel:WORD_1 src1_sel:DWORD
	v_mul_u32_u24_sdwa v77, v11, s45 dst_sel:DWORD dst_unused:UNUSED_PAD src0_sel:WORD_0 src1_sel:DWORD
	v_mul_u32_u24_sdwa v89, v11, s45 dst_sel:DWORD dst_unused:UNUSED_PAD src0_sel:WORD_1 src1_sel:DWORD
	ds_read_b128 v[8:11], v57 offset:112
	v_pk_fma_f16 v44, v40, v17, v70
	v_pk_fma_f16 v70, v41, v17, v71
	;; [unrolled: 1-line block ×4, first 2 shown]
	s_waitcnt lgkmcnt(1)
	v_mul_u32_u24_sdwa v78, v4, s45 dst_sel:DWORD dst_unused:UNUSED_PAD src0_sel:WORD_0 src1_sel:DWORD
	v_pk_fma_f16 v45, v41, v66, v84
	v_pk_fma_f16 v80, v42, v66, v80
	;; [unrolled: 1-line block ×4, first 2 shown]
	v_mul_u32_u24_sdwa v84, v4, s45 dst_sel:DWORD dst_unused:UNUSED_PAD src0_sel:WORD_1 src1_sel:DWORD
	v_pk_fma_f16 v66, v41, v16, v82
	v_pk_fma_f16 v82, v42, v16, v87
	;; [unrolled: 1-line block ×4, first 2 shown]
	v_mul_u32_u24_sdwa v88, v5, s45 dst_sel:DWORD dst_unused:UNUSED_PAD src0_sel:WORD_1 src1_sel:DWORD
	v_pk_fma_f16 v41, v41, v83, v67
	v_pk_fma_f16 v42, v42, v83, v68
	;; [unrolled: 1-line block ×4, first 2 shown]
	v_mul_u32_u24_sdwa v83, v5, s45 dst_sel:DWORD dst_unused:UNUSED_PAD src0_sel:WORD_0 src1_sel:DWORD
	v_mul_u32_u24_sdwa v93, v6, s45 dst_sel:DWORD dst_unused:UNUSED_PAD src0_sel:WORD_0 src1_sel:DWORD
	v_mul_u32_u24_sdwa v96, v6, s45 dst_sel:DWORD dst_unused:UNUSED_PAD src0_sel:WORD_1 src1_sel:DWORD
	v_mul_u32_u24_sdwa v97, v7, s45 dst_sel:DWORD dst_unused:UNUSED_PAD src0_sel:WORD_0 src1_sel:DWORD
	v_mul_u32_u24_sdwa v98, v7, s45 dst_sel:DWORD dst_unused:UNUSED_PAD src0_sel:WORD_1 src1_sel:DWORD
	ds_read2_b64 v[4:7], v64 offset1:32
	v_lshl_add_u64 v[14:15], s[22:23], 0, v[38:39]
	s_waitcnt lgkmcnt(0)
	v_pk_fma_f16 v67, v4, v91, v44
	v_pk_fma_f16 v68, v5, v91, v70
	;; [unrolled: 1-line block ×16, first 2 shown]
	ds_read2_b64 v[4:7], v64 offset0:64 offset1:96
	v_lshl_add_u64 v[44:45], v[12:13], 0, v[34:35]
	v_lshl_add_u64 v[70:71], v[14:15], 0, v[34:35]
	ds_read2_b64 v[12:15], v64 offset0:128 offset1:160
	s_waitcnt lgkmcnt(1)
	v_pk_fma_f16 v67, v4, v95, v67
	v_pk_fma_f16 v68, v5, v95, v68
	;; [unrolled: 1-line block ×16, first 2 shown]
	ds_read2_b64 v[4:7], v64 offset0:192 offset1:224
	s_waitcnt lgkmcnt(1)
	v_pk_fma_f16 v67, v12, v19, v67
	v_pk_fma_f16 v68, v13, v19, v68
	;; [unrolled: 1-line block ×8, first 2 shown]
	ds_read2_b64 v[16:19], v65 offset1:32
	v_pk_fma_f16 v66, v13, v86, v66
	v_pk_fma_f16 v90, v13, v74, v41
	;; [unrolled: 1-line block ×8, first 2 shown]
	ds_read2_b64 v[12:15], v65 offset0:64 offset1:96
	s_waitcnt lgkmcnt(2)
	v_pk_fma_f16 v86, v4, v89, v67
	v_pk_fma_f16 v94, v5, v89, v68
	v_pk_fma_f16 v95, v6, v89, v69
	v_pk_fma_f16 v87, v7, v89, v87
	v_pk_fma_f16 v72, v5, v75, v72
	v_pk_fma_f16 v80, v6, v75, v80
	v_pk_fma_f16 v79, v7, v75, v79
	v_pk_fma_f16 v75, v4, v75, v81
	ds_read2_b64 v[40:43], v65 offset0:128 offset1:160
	v_pk_fma_f16 v81, v5, v76, v66
	v_pk_fma_f16 v73, v6, v76, v73
	;; [unrolled: 1-line block ×8, first 2 shown]
	ds_read2_b64 v[4:7], v65 offset0:192 offset1:224
	s_waitcnt lgkmcnt(0)
	s_barrier
	global_load_dwordx4 v[66:69], v[44:45], off
	v_pk_fma_f16 v44, v16, v88, v86
	v_pk_fma_f16 v45, v17, v88, v94
	;; [unrolled: 1-line block ×4, first 2 shown]
	v_mul_u32_u24_sdwa v86, v8, s45 dst_sel:DWORD dst_unused:UNUSED_PAD src0_sel:WORD_0 src1_sel:DWORD
	v_pk_fma_f16 v72, v17, v78, v72
	v_pk_fma_f16 v80, v18, v78, v80
	;; [unrolled: 1-line block ×4, first 2 shown]
	v_mul_u32_u24_sdwa v78, v9, s45 dst_sel:DWORD dst_unused:UNUSED_PAD src0_sel:WORD_1 src1_sel:DWORD
	v_pk_fma_f16 v81, v17, v84, v81
	v_pk_fma_f16 v73, v18, v84, v73
	;; [unrolled: 1-line block ×4, first 2 shown]
	v_mul_u32_u24_sdwa v84, v8, s45 dst_sel:DWORD dst_unused:UNUSED_PAD src0_sel:WORD_1 src1_sel:DWORD
	v_pk_fma_f16 v17, v17, v83, v89
	v_pk_fma_f16 v18, v18, v83, v90
	;; [unrolled: 1-line block ×4, first 2 shown]
	v_mul_u32_u24_sdwa v74, v9, s45 dst_sel:DWORD dst_unused:UNUSED_PAD src0_sel:WORD_0 src1_sel:DWORD
	v_mul_u32_u24_sdwa v83, v10, s45 dst_sel:DWORD dst_unused:UNUSED_PAD src0_sel:WORD_0 src1_sel:DWORD
	v_mul_u32_u24_sdwa v87, v10, s45 dst_sel:DWORD dst_unused:UNUSED_PAD src0_sel:WORD_1 src1_sel:DWORD
	v_mul_u32_u24_sdwa v88, v11, s45 dst_sel:DWORD dst_unused:UNUSED_PAD src0_sel:WORD_0 src1_sel:DWORD
	v_mul_u32_u24_sdwa v89, v11, s45 dst_sel:DWORD dst_unused:UNUSED_PAD src0_sel:WORD_1 src1_sel:DWORD
	global_load_dwordx4 v[8:11], v[70:71], off
	v_pk_fma_f16 v44, v12, v98, v44
	v_pk_fma_f16 v45, v13, v98, v45
	;; [unrolled: 1-line block ×48, first 2 shown]
	s_waitcnt vmcnt(1)
	ds_write_b128 v58, v[66:69]
	s_waitcnt vmcnt(0)
	ds_write_b128 v59, v[8:11]
	s_waitcnt lgkmcnt(0)
	s_barrier
	ds_read_b128 v[4:7], v57 offset:128
	ds_read_b128 v[8:11], v57 offset:144
	ds_read_b128 v[12:15], v57 offset:160
	ds_read_b128 v[16:19], v57 offset:176
	s_waitcnt lgkmcnt(3)
	v_mul_u32_u24_sdwa v66, v4, s45 dst_sel:DWORD dst_unused:UNUSED_PAD src0_sel:WORD_0 src1_sel:DWORD
	v_mul_u32_u24_sdwa v67, v4, s45 dst_sel:DWORD dst_unused:UNUSED_PAD src0_sel:WORD_1 src1_sel:DWORD
	v_mul_u32_u24_sdwa v68, v5, s45 dst_sel:DWORD dst_unused:UNUSED_PAD src0_sel:WORD_0 src1_sel:DWORD
	v_mul_u32_u24_sdwa v69, v5, s45 dst_sel:DWORD dst_unused:UNUSED_PAD src0_sel:WORD_1 src1_sel:DWORD
	;; [unrolled: 2-line block ×4, first 2 shown]
	ds_read2_b64 v[4:7], v62 offset1:32
	s_waitcnt lgkmcnt(3)
	v_mul_u32_u24_sdwa v84, v8, s45 dst_sel:DWORD dst_unused:UNUSED_PAD src0_sel:WORD_0 src1_sel:DWORD
	v_mul_u32_u24_sdwa v85, v8, s45 dst_sel:DWORD dst_unused:UNUSED_PAD src0_sel:WORD_1 src1_sel:DWORD
	v_mul_u32_u24_sdwa v86, v9, s45 dst_sel:DWORD dst_unused:UNUSED_PAD src0_sel:WORD_0 src1_sel:DWORD
	v_mul_u32_u24_sdwa v87, v9, s45 dst_sel:DWORD dst_unused:UNUSED_PAD src0_sel:WORD_1 src1_sel:DWORD
	;; [unrolled: 2-line block ×4, first 2 shown]
	s_waitcnt lgkmcnt(2)
	v_mul_u32_u24_sdwa v92, v12, s45 dst_sel:DWORD dst_unused:UNUSED_PAD src0_sel:WORD_0 src1_sel:DWORD
	v_mul_u32_u24_sdwa v93, v12, s45 dst_sel:DWORD dst_unused:UNUSED_PAD src0_sel:WORD_1 src1_sel:DWORD
	v_mul_u32_u24_sdwa v94, v13, s45 dst_sel:DWORD dst_unused:UNUSED_PAD src0_sel:WORD_0 src1_sel:DWORD
	v_mul_u32_u24_sdwa v95, v13, s45 dst_sel:DWORD dst_unused:UNUSED_PAD src0_sel:WORD_1 src1_sel:DWORD
	v_mul_u32_u24_sdwa v96, v14, s45 dst_sel:DWORD dst_unused:UNUSED_PAD src0_sel:WORD_0 src1_sel:DWORD
	v_mul_u32_u24_sdwa v97, v14, s45 dst_sel:DWORD dst_unused:UNUSED_PAD src0_sel:WORD_1 src1_sel:DWORD
	v_mul_u32_u24_sdwa v98, v15, s45 dst_sel:DWORD dst_unused:UNUSED_PAD src0_sel:WORD_0 src1_sel:DWORD
	v_mul_u32_u24_sdwa v99, v15, s45 dst_sel:DWORD dst_unused:UNUSED_PAD src0_sel:WORD_1 src1_sel:DWORD
	s_waitcnt lgkmcnt(0)
	v_pk_fma_f16 v8, v4, v66, v77
	v_pk_fma_f16 v9, v5, v66, v44
	;; [unrolled: 1-line block ×16, first 2 shown]
	ds_read2_b64 v[4:7], v62 offset0:64 offset1:96
	v_mul_u32_u24_sdwa v100, v16, s45 dst_sel:DWORD dst_unused:UNUSED_PAD src0_sel:WORD_0 src1_sel:DWORD
	v_mul_u32_u24_sdwa v16, v16, s45 dst_sel:DWORD dst_unused:UNUSED_PAD src0_sel:WORD_1 src1_sel:DWORD
	v_mul_u32_u24_sdwa v101, v17, s45 dst_sel:DWORD dst_unused:UNUSED_PAD src0_sel:WORD_0 src1_sel:DWORD
	v_mul_u32_u24_sdwa v17, v17, s45 dst_sel:DWORD dst_unused:UNUSED_PAD src0_sel:WORD_1 src1_sel:DWORD
	s_waitcnt lgkmcnt(0)
	v_pk_fma_f16 v68, v4, v80, v8
	v_pk_fma_f16 v69, v5, v80, v9
	;; [unrolled: 1-line block ×8, first 2 shown]
	ds_read2_b64 v[8:11], v62 offset0:128 offset1:160
	v_pk_fma_f16 v44, v4, v82, v44
	v_pk_fma_f16 v40, v4, v83, v40
	;; [unrolled: 1-line block ×8, first 2 shown]
	ds_read_b128 v[4:7], v57 offset:192
	s_waitcnt lgkmcnt(1)
	v_pk_fma_f16 v68, v8, v84, v68
	v_pk_fma_f16 v69, v9, v84, v69
	;; [unrolled: 1-line block ×8, first 2 shown]
	ds_read_b128 v[12:15], v57 offset:208
	v_pk_fma_f16 v44, v8, v86, v44
	v_pk_fma_f16 v45, v9, v86, v45
	;; [unrolled: 1-line block ×4, first 2 shown]
	s_waitcnt lgkmcnt(1)
	v_mul_u32_u24_sdwa v76, v4, s45 dst_sel:DWORD dst_unused:UNUSED_PAD src0_sel:WORD_0 src1_sel:DWORD
	v_pk_fma_f16 v8, v8, v87, v40
	v_pk_fma_f16 v9, v9, v87, v41
	;; [unrolled: 1-line block ×4, first 2 shown]
	v_mul_u32_u24_sdwa v40, v4, s45 dst_sel:DWORD dst_unused:UNUSED_PAD src0_sel:WORD_1 src1_sel:DWORD
	v_mul_u32_u24_sdwa v41, v5, s45 dst_sel:DWORD dst_unused:UNUSED_PAD src0_sel:WORD_0 src1_sel:DWORD
	v_mul_u32_u24_sdwa v42, v5, s45 dst_sel:DWORD dst_unused:UNUSED_PAD src0_sel:WORD_1 src1_sel:DWORD
	v_mul_u32_u24_sdwa v43, v6, s45 dst_sel:DWORD dst_unused:UNUSED_PAD src0_sel:WORD_0 src1_sel:DWORD
	;; [unrolled: 2-line block ×3, first 2 shown]
	v_mul_u32_u24_sdwa v79, v7, s45 dst_sel:DWORD dst_unused:UNUSED_PAD src0_sel:WORD_1 src1_sel:DWORD
	ds_read2_b64 v[4:7], v62 offset0:192 offset1:224
	s_waitcnt lgkmcnt(1)
	v_mul_u32_u24_sdwa v80, v12, s45 dst_sel:DWORD dst_unused:UNUSED_PAD src0_sel:WORD_0 src1_sel:DWORD
	v_mul_u32_u24_sdwa v81, v12, s45 dst_sel:DWORD dst_unused:UNUSED_PAD src0_sel:WORD_1 src1_sel:DWORD
	v_mul_u32_u24_sdwa v82, v13, s45 dst_sel:DWORD dst_unused:UNUSED_PAD src0_sel:WORD_0 src1_sel:DWORD
	v_mul_u32_u24_sdwa v83, v13, s45 dst_sel:DWORD dst_unused:UNUSED_PAD src0_sel:WORD_1 src1_sel:DWORD
	s_waitcnt lgkmcnt(0)
	v_pk_fma_f16 v68, v4, v88, v68
	v_pk_fma_f16 v69, v5, v88, v69
	;; [unrolled: 1-line block ×16, first 2 shown]
	ds_read2_b64 v[4:7], v63 offset1:32
	v_mul_u32_u24_sdwa v84, v14, s45 dst_sel:DWORD dst_unused:UNUSED_PAD src0_sel:WORD_0 src1_sel:DWORD
	v_mul_u32_u24_sdwa v85, v14, s45 dst_sel:DWORD dst_unused:UNUSED_PAD src0_sel:WORD_1 src1_sel:DWORD
	v_mul_u32_u24_sdwa v86, v15, s45 dst_sel:DWORD dst_unused:UNUSED_PAD src0_sel:WORD_0 src1_sel:DWORD
	v_mul_u32_u24_sdwa v87, v15, s45 dst_sel:DWORD dst_unused:UNUSED_PAD src0_sel:WORD_1 src1_sel:DWORD
	s_waitcnt lgkmcnt(0)
	v_pk_fma_f16 v12, v4, v92, v68
	v_pk_fma_f16 v13, v5, v92, v69
	;; [unrolled: 1-line block ×16, first 2 shown]
	ds_read2_b64 v[4:7], v63 offset0:64 offset1:96
	ds_read2_b64 v[8:11], v63 offset0:128 offset1:160
	v_mul_u32_u24_sdwa v102, v18, s45 dst_sel:DWORD dst_unused:UNUSED_PAD src0_sel:WORD_0 src1_sel:DWORD
	v_mul_u32_u24_sdwa v18, v18, s45 dst_sel:DWORD dst_unused:UNUSED_PAD src0_sel:WORD_1 src1_sel:DWORD
	v_mul_u32_u24_sdwa v103, v19, s45 dst_sel:DWORD dst_unused:UNUSED_PAD src0_sel:WORD_0 src1_sel:DWORD
	s_waitcnt lgkmcnt(1)
	v_pk_fma_f16 v12, v4, v96, v12
	v_pk_fma_f16 v13, v5, v96, v13
	;; [unrolled: 1-line block ×16, first 2 shown]
	ds_read_b128 v[4:7], v57 offset:224
	s_waitcnt lgkmcnt(1)
	v_pk_fma_f16 v88, v8, v100, v12
	v_pk_fma_f16 v89, v9, v100, v13
	;; [unrolled: 1-line block ×8, first 2 shown]
	ds_read_b128 v[12:15], v57 offset:240
	v_pk_fma_f16 v44, v8, v101, v44
	v_pk_fma_f16 v45, v9, v101, v45
	;; [unrolled: 1-line block ×4, first 2 shown]
	s_waitcnt lgkmcnt(1)
	v_mul_u32_u24_sdwa v71, v4, s45 dst_sel:DWORD dst_unused:UNUSED_PAD src0_sel:WORD_0 src1_sel:DWORD
	v_pk_fma_f16 v8, v8, v17, v72
	v_pk_fma_f16 v9, v9, v17, v73
	;; [unrolled: 1-line block ×4, first 2 shown]
	v_mul_u32_u24_sdwa v72, v4, s45 dst_sel:DWORD dst_unused:UNUSED_PAD src0_sel:WORD_1 src1_sel:DWORD
	v_mul_u32_u24_sdwa v73, v5, s45 dst_sel:DWORD dst_unused:UNUSED_PAD src0_sel:WORD_0 src1_sel:DWORD
	v_mul_u32_u24_sdwa v74, v5, s45 dst_sel:DWORD dst_unused:UNUSED_PAD src0_sel:WORD_1 src1_sel:DWORD
	v_mul_u32_u24_sdwa v75, v6, s45 dst_sel:DWORD dst_unused:UNUSED_PAD src0_sel:WORD_0 src1_sel:DWORD
	v_mul_u32_u24_sdwa v92, v6, s45 dst_sel:DWORD dst_unused:UNUSED_PAD src0_sel:WORD_1 src1_sel:DWORD
	v_mul_u32_u24_sdwa v93, v7, s45 dst_sel:DWORD dst_unused:UNUSED_PAD src0_sel:WORD_0 src1_sel:DWORD
	v_mul_u32_u24_sdwa v94, v7, s45 dst_sel:DWORD dst_unused:UNUSED_PAD src0_sel:WORD_1 src1_sel:DWORD
	ds_read2_b64 v[4:7], v63 offset0:192 offset1:224
	v_mul_u32_u24_sdwa v19, v19, s45 dst_sel:DWORD dst_unused:UNUSED_PAD src0_sel:WORD_1 src1_sel:DWORD
	s_waitcnt lgkmcnt(1)
	v_mul_u32_u24_sdwa v95, v13, s45 dst_sel:DWORD dst_unused:UNUSED_PAD src0_sel:WORD_0 src1_sel:DWORD
	v_mul_u32_u24_sdwa v96, v13, s45 dst_sel:DWORD dst_unused:UNUSED_PAD src0_sel:WORD_1 src1_sel:DWORD
	v_mul_u32_u24_sdwa v97, v14, s45 dst_sel:DWORD dst_unused:UNUSED_PAD src0_sel:WORD_0 src1_sel:DWORD
	s_waitcnt lgkmcnt(0)
	v_pk_fma_f16 v17, v4, v102, v88
	v_pk_fma_f16 v88, v5, v102, v89
	;; [unrolled: 1-line block ×16, first 2 shown]
	ds_read2_b64 v[4:7], v64 offset1:32
	v_mul_u32_u24_sdwa v67, v12, s45 dst_sel:DWORD dst_unused:UNUSED_PAD src0_sel:WORD_0 src1_sel:DWORD
	v_mul_u32_u24_sdwa v91, v12, s45 dst_sel:DWORD dst_unused:UNUSED_PAD src0_sel:WORD_1 src1_sel:DWORD
	v_mul_u32_u24_sdwa v98, v14, s45 dst_sel:DWORD dst_unused:UNUSED_PAD src0_sel:WORD_1 src1_sel:DWORD
	v_mul_u32_u24_sdwa v99, v15, s45 dst_sel:DWORD dst_unused:UNUSED_PAD src0_sel:WORD_0 src1_sel:DWORD
	v_mul_u32_u24_sdwa v100, v15, s45 dst_sel:DWORD dst_unused:UNUSED_PAD src0_sel:WORD_1 src1_sel:DWORD
	s_waitcnt lgkmcnt(0)
	v_pk_fma_f16 v12, v4, v76, v17
	v_pk_fma_f16 v13, v5, v76, v88
	;; [unrolled: 1-line block ×16, first 2 shown]
	ds_read2_b64 v[4:7], v64 offset0:64 offset1:96
	ds_read2_b64 v[8:11], v64 offset0:128 offset1:160
	s_waitcnt lgkmcnt(1)
	v_pk_fma_f16 v12, v4, v43, v12
	v_pk_fma_f16 v13, v5, v43, v13
	v_pk_fma_f16 v14, v6, v43, v14
	v_pk_fma_f16 v15, v7, v43, v15
	v_pk_fma_f16 v17, v4, v77, v17
	v_pk_fma_f16 v19, v5, v77, v19
	v_pk_fma_f16 v43, v6, v77, v68
	v_pk_fma_f16 v16, v7, v77, v16
	v_pk_fma_f16 v18, v4, v78, v18
	v_pk_fma_f16 v40, v4, v79, v40
	v_pk_fma_f16 v44, v5, v78, v44
	v_pk_fma_f16 v66, v5, v79, v69
	v_pk_fma_f16 v45, v6, v78, v45
	v_pk_fma_f16 v68, v6, v79, v70
	v_pk_fma_f16 v41, v7, v78, v41
	v_pk_fma_f16 v42, v7, v79, v42
	ds_read2_b64 v[4:7], v64 offset0:192 offset1:224
	s_waitcnt lgkmcnt(1)
	v_pk_fma_f16 v69, v8, v80, v12
	v_pk_fma_f16 v70, v9, v80, v13
	;; [unrolled: 1-line block ×8, first 2 shown]
	ds_read2_b64 v[12:15], v65 offset1:32
	v_pk_fma_f16 v78, v8, v82, v18
	v_pk_fma_f16 v44, v9, v82, v44
	;; [unrolled: 1-line block ×8, first 2 shown]
	ds_read2_b64 v[8:11], v65 offset0:64 offset1:96
	s_waitcnt lgkmcnt(2)
	v_pk_fma_f16 v69, v4, v84, v69
	v_pk_fma_f16 v70, v5, v84, v70
	;; [unrolled: 1-line block ×8, first 2 shown]
	ds_read2_b64 v[16:19], v65 offset0:128 offset1:160
	v_pk_fma_f16 v78, v4, v86, v78
	v_pk_fma_f16 v44, v5, v86, v44
	v_pk_fma_f16 v45, v6, v86, v45
	v_pk_fma_f16 v41, v7, v86, v41
	v_pk_fma_f16 v40, v4, v87, v40
	v_pk_fma_f16 v66, v5, v87, v66
	v_pk_fma_f16 v68, v6, v87, v68
	v_pk_fma_f16 v42, v7, v87, v42
	ds_read2_b64 v[4:7], v65 offset0:192 offset1:224
	s_waitcnt lgkmcnt(0)
	s_barrier
	s_load_dword s4, s[18:19], 0x4
	v_pk_fma_f16 v69, v12, v71, v69
	v_pk_fma_f16 v70, v13, v71, v70
	;; [unrolled: 1-line block ×16, first 2 shown]
	s_waitcnt lgkmcnt(0)
	s_lshl_b32 s4, s4, 5
	v_pk_fma_f16 v42, v8, v75, v69
	v_pk_fma_f16 v45, v9, v75, v70
	;; [unrolled: 1-line block ×16, first 2 shown]
	s_add_i32 s2, s4, s2
	v_pk_fma_f16 v15, v16, v67, v42
	v_pk_fma_f16 v40, v17, v67, v45
	;; [unrolled: 1-line block ×16, first 2 shown]
	s_cmp_ge_i32 s2, s36
	v_pk_fma_f16 v78, v4, v97, v15
	v_pk_fma_f16 v74, v4, v98, v44
	;; [unrolled: 1-line block ×16, first 2 shown]
	s_cbranch_scc0 .LBB13_9
.LBB13_10:
	v_cmp_lt_i32_e32 vcc, v51, v48
	s_cmp_lg_u64 s[20:21], 0
	s_cselect_b64 s[4:5], -1, 0
	v_cndmask_b32_e32 v4, v33, v51, vcc
	v_cmp_lt_i32_e32 vcc, v52, v48
	v_lshlrev_b32_e32 v7, 2, v4
	ds_bpermute_b32 v5, v7, v25
	v_cndmask_b32_e32 v4, v33, v52, vcc
	v_cmp_lt_i32_e32 vcc, v53, v48
	v_lshlrev_b32_e32 v11, 2, v4
	ds_bpermute_b32 v6, v7, v22
	v_cndmask_b32_e32 v4, v33, v53, vcc
	v_lshlrev_b32_e32 v12, 2, v4
	ds_bpermute_b32 v4, v7, v24
	ds_bpermute_b32 v7, v7, v23
	v_cmp_lt_i32_e32 vcc, v50, v48
	s_cmp_eq_u32 s3, 0
	s_cselect_b64 s[6:7], -1, 0
	s_waitcnt lgkmcnt(1)
	v_pk_add_f32 v[4:5], v[24:25], v[4:5]
	s_waitcnt lgkmcnt(0)
	v_pk_add_f32 v[6:7], v[22:23], v[6:7]
	ds_bpermute_b32 v8, v11, v4
	ds_bpermute_b32 v9, v11, v5
	;; [unrolled: 1-line block ×4, first 2 shown]
	v_cndmask_b32_e32 v13, v33, v50, vcc
	v_lshlrev_b32_e32 v13, 2, v13
	s_waitcnt lgkmcnt(2)
	v_pk_add_f32 v[4:5], v[4:5], v[8:9]
	ds_bpermute_b32 v8, v12, v4
	s_waitcnt lgkmcnt(1)
	v_pk_add_f32 v[6:7], v[6:7], v[10:11]
	ds_bpermute_b32 v9, v12, v5
	ds_bpermute_b32 v10, v12, v6
	;; [unrolled: 1-line block ×3, first 2 shown]
	v_cmp_lt_i32_e32 vcc, v49, v48
	s_and_b64 s[4:5], s[6:7], s[4:5]
	s_waitcnt lgkmcnt(2)
	v_pk_add_f32 v[4:5], v[4:5], v[8:9]
	ds_bpermute_b32 v8, v13, v4
	s_waitcnt lgkmcnt(1)
	v_pk_add_f32 v[6:7], v[6:7], v[10:11]
	ds_bpermute_b32 v9, v13, v5
	ds_bpermute_b32 v10, v13, v6
	;; [unrolled: 1-line block ×3, first 2 shown]
	v_cndmask_b32_e32 v12, v33, v49, vcc
	v_lshlrev_b32_e32 v13, 2, v12
	s_waitcnt lgkmcnt(2)
	v_pk_add_f32 v[4:5], v[4:5], v[8:9]
	ds_bpermute_b32 v8, v13, v4
	s_waitcnt lgkmcnt(1)
	v_pk_add_f32 v[10:11], v[6:7], v[10:11]
	ds_bpermute_b32 v9, v13, v5
	ds_bpermute_b32 v12, v13, v10
	;; [unrolled: 1-line block ×3, first 2 shown]
	s_and_b64 vcc, exec, s[4:5]
	s_waitcnt lgkmcnt(2)
	v_pk_add_f32 v[6:7], v[4:5], v[8:9]
	s_waitcnt lgkmcnt(0)
	v_pk_add_f32 v[4:5], v[10:11], v[12:13]
	s_cbranch_vccz .LBB13_12
; %bb.11:
	s_ashr_i32 s35, s34, 31
	s_lshl_b64 s[4:5], s[34:35], 2
	s_add_u32 s4, s20, s4
	s_addc_u32 s5, s21, s5
	v_mov_b32_e32 v8, 0
	global_load_dwordx4 v[8:11], v8, s[4:5]
	v_max_f32_e32 v12, v0, v0
	v_max_f32_e32 v13, v1, v1
	s_mov_b32 s5, 0x3fb8aa3b
	v_max_f32_e32 v14, v2, v2
	s_mov_b32 s2, 0xc2ce8ed0
	s_mov_b32 s4, 0x42b17218
	v_mov_b32_e32 v16, 0x7f800000
	s_waitcnt vmcnt(0)
	v_max_f32_e32 v15, v8, v8
	v_max_f32_e32 v12, v12, v15
	;; [unrolled: 1-line block ×3, first 2 shown]
	v_sub_f32_e32 v0, v0, v12
	v_max_f32_e32 v13, v13, v17
	v_sub_f32_e32 v8, v8, v12
	v_mul_f32_e32 v15, 0x3fb8aa3b, v0
	v_max_f32_e32 v18, v10, v10
	v_sub_f32_e32 v1, v1, v13
	v_mul_f32_e32 v17, 0x3fb8aa3b, v8
	v_fma_f32 v24, v0, s5, -v15
	v_rndne_f32_e32 v25, v15
	v_max_f32_e32 v14, v14, v18
	v_sub_f32_e32 v9, v9, v13
	v_mul_f32_e32 v18, 0x3fb8aa3b, v1
	v_fma_f32 v26, v8, s5, -v17
	v_rndne_f32_e32 v27, v17
	v_fmac_f32_e32 v24, 0x32a5705f, v0
	v_sub_f32_e32 v15, v15, v25
	v_mul_f32_e32 v19, 0x3fb8aa3b, v9
	v_fma_f32 v28, v1, s5, -v18
	v_rndne_f32_e32 v29, v18
	v_fmac_f32_e32 v26, 0x32a5705f, v8
	v_sub_f32_e32 v17, v17, v27
	v_add_f32_e32 v15, v15, v24
	v_fma_f32 v30, v9, s5, -v19
	v_rndne_f32_e32 v31, v19
	v_cvt_i32_f32_e32 v25, v25
	v_fmac_f32_e32 v28, 0x32a5705f, v1
	v_sub_f32_e32 v18, v18, v29
	v_add_f32_e32 v17, v17, v26
	v_exp_f32_e32 v15, v15
	v_cvt_i32_f32_e32 v27, v27
	v_fmac_f32_e32 v30, 0x32a5705f, v9
	v_sub_f32_e32 v19, v19, v31
	v_add_f32_e32 v18, v18, v28
	v_exp_f32_e32 v17, v17
	v_cvt_i32_f32_e32 v29, v29
	v_add_f32_e32 v19, v19, v30
	v_exp_f32_e32 v18, v18
	v_cvt_i32_f32_e32 v31, v31
	v_exp_f32_e32 v19, v19
	v_ldexp_f32 v15, v15, v25
	v_cmp_ngt_f32_e32 vcc, s2, v0
	v_ldexp_f32 v17, v17, v27
	v_ldexp_f32 v18, v18, v29
	v_cndmask_b32_e32 v15, 0, v15, vcc
	v_cmp_ngt_f32_e32 vcc, s2, v8
	v_ldexp_f32 v19, v19, v31
	v_sub_f32_e32 v2, v2, v14
	v_cndmask_b32_e32 v17, 0, v17, vcc
	v_cmp_ngt_f32_e32 vcc, s2, v1
	v_mul_f32_e32 v22, 0x3fb8aa3b, v2
	v_sub_f32_e32 v10, v10, v14
	v_cndmask_b32_e32 v18, 0, v18, vcc
	v_cmp_ngt_f32_e32 vcc, s2, v9
	v_fma_f32 v32, v2, s5, -v22
	v_rndne_f32_e32 v33, v22
	v_cndmask_b32_e32 v19, 0, v19, vcc
	v_cmp_nlt_f32_e32 vcc, s4, v0
	v_mul_f32_e32 v23, 0x3fb8aa3b, v10
	v_fmac_f32_e32 v32, 0x32a5705f, v2
	v_cndmask_b32_e32 v0, v16, v15, vcc
	v_cmp_nlt_f32_e32 vcc, s4, v8
	v_cvt_f16_f32_e32 v15, v0
	v_sub_f32_e32 v22, v22, v33
	v_cndmask_b32_e32 v8, v16, v17, vcc
	v_cmp_nlt_f32_e32 vcc, s4, v1
	v_fma_f32 v34, v10, s5, -v23
	v_rndne_f32_e32 v35, v23
	v_cndmask_b32_e32 v1, v16, v18, vcc
	v_cvt_f16_f32_e32 v17, v1
	v_add_f32_e32 v22, v22, v32
	v_cvt_i32_f32_e32 v33, v33
	v_fmac_f32_e32 v34, 0x32a5705f, v10
	v_sub_f32_e32 v23, v23, v35
	v_exp_f32_e32 v22, v22
	v_add_f32_e32 v23, v23, v34
	v_mul_u32_u24_e32 v15, 0x10001, v15
	v_mul_u32_u24_e32 v17, 0x10001, v17
	v_pk_mul_f16 v78, v78, v15
	v_pk_mul_f16 v81, v81, v15
	v_pk_mul_f16 v80, v80, v15
	v_pk_mul_f16 v79, v79, v15
	v_pk_mul_f16 v74, v74, v17
	v_pk_mul_f16 v77, v77, v17
	v_pk_mul_f16 v76, v76, v17
	v_pk_mul_f16 v75, v75, v17
	v_exp_f32_e32 v15, v23
	v_cvt_i32_f32_e32 v17, v35
	v_cmp_nlt_f32_e32 vcc, s4, v9
	v_ldexp_f32 v22, v22, v33
	v_ldexp_f32 v15, v15, v17
	v_cndmask_b32_e32 v9, v16, v19, vcc
	v_cmp_ngt_f32_e32 vcc, s2, v2
	v_pk_fma_f32 v[6:7], v[6:7], v[0:1], v[8:9]
	s_nop 0
	v_cndmask_b32_e32 v18, 0, v22, vcc
	v_cmp_nlt_f32_e32 vcc, s4, v2
	s_nop 1
	v_cndmask_b32_e32 v2, v16, v18, vcc
	v_cmp_ngt_f32_e32 vcc, s2, v10
	v_max_f32_e32 v18, v3, v3
	v_cvt_f16_f32_e32 v17, v2
	v_cndmask_b32_e32 v15, 0, v15, vcc
	v_cmp_nlt_f32_e32 vcc, s4, v10
	v_mul_u32_u24_e32 v17, 0x10001, v17
	s_nop 0
	v_cndmask_b32_e32 v10, v16, v15, vcc
	v_max_f32_e32 v15, v11, v11
	v_max_f32_e32 v15, v18, v15
	v_sub_f32_e32 v3, v3, v15
	v_mul_f32_e32 v18, 0x3fb8aa3b, v3
	v_fma_f32 v19, v3, s5, -v18
	v_rndne_f32_e32 v22, v18
	v_fmac_f32_e32 v19, 0x32a5705f, v3
	v_sub_f32_e32 v18, v18, v22
	v_add_f32_e32 v18, v18, v19
	v_exp_f32_e32 v18, v18
	v_cvt_i32_f32_e32 v19, v22
	v_sub_f32_e32 v11, v11, v15
	v_pk_mul_f16 v70, v70, v17
	v_pk_mul_f16 v73, v73, v17
	;; [unrolled: 1-line block ×4, first 2 shown]
	v_ldexp_f32 v17, v18, v19
	v_mul_f32_e32 v18, 0x3fb8aa3b, v11
	v_fma_f32 v19, v11, s5, -v18
	v_rndne_f32_e32 v22, v18
	v_fmac_f32_e32 v19, 0x32a5705f, v11
	v_sub_f32_e32 v18, v18, v22
	v_add_f32_e32 v18, v18, v19
	v_exp_f32_e32 v18, v18
	v_cvt_i32_f32_e32 v19, v22
	v_cmp_ngt_f32_e32 vcc, s2, v3
	s_nop 1
	v_cndmask_b32_e32 v17, 0, v17, vcc
	v_cmp_nlt_f32_e32 vcc, s4, v3
	s_nop 1
	v_cndmask_b32_e32 v3, v16, v17, vcc
	v_ldexp_f32 v17, v18, v19
	v_cvt_f16_f32_e32 v18, v3
	v_cmp_ngt_f32_e32 vcc, s2, v11
	s_nop 1
	v_cndmask_b32_e32 v17, 0, v17, vcc
	v_cmp_nlt_f32_e32 vcc, s4, v11
	s_nop 1
	v_cndmask_b32_e32 v11, v16, v17, vcc
	v_mul_u32_u24_e32 v16, 0x10001, v18
	v_pk_fma_f32 v[4:5], v[4:5], v[2:3], v[10:11]
	v_mov_b64_e32 v[0:1], v[12:13]
	v_pk_mul_f16 v69, v69, v16
	v_pk_mul_f16 v68, v68, v16
	;; [unrolled: 1-line block ×4, first 2 shown]
	v_mov_b64_e32 v[2:3], v[14:15]
.LBB13_12:
	v_cmp_gt_i32_e32 vcc, s30, v21
	s_and_saveexec_b64 s[4:5], vcc
	s_cbranch_execz .LBB13_29
; %bb.13:
	s_load_dword s8, s[0:1], 0xd4
	v_mov_b32_e32 v10, 1.0
	s_waitcnt lgkmcnt(0)
	s_cmp_lg_u32 s8, 1
	s_cselect_b64 s[0:1], -1, 0
	s_cmp_eq_u32 s8, 1
	s_cselect_b64 s[6:7], -1, 0
	s_and_b64 vcc, exec, s[0:1]
	s_cbranch_vccnz .LBB13_15
; %bb.14:
	v_div_scale_f32 v8, s[4:5], v6, v6, 1.0
	v_rcp_f32_e32 v9, v8
	v_div_scale_f32 v10, vcc, 1.0, v6, 1.0
	v_fma_f32 v11, -v8, v9, 1.0
	v_fmac_f32_e32 v9, v11, v9
	v_mul_f32_e32 v11, v10, v9
	v_fma_f32 v12, -v8, v11, v10
	v_fmac_f32_e32 v11, v12, v9
	v_fma_f32 v8, -v8, v11, v10
	v_div_fmas_f32 v8, v8, v9, v11
	v_div_fixup_f32 v10, v8, v6, 1.0
.LBB13_15:
	s_mul_i32 s33, s33, s30
	v_add_u32_e32 v8, s33, v21
	v_mul_lo_u32 v8, v8, s31
	v_add_u32_e32 v8, s34, v8
	v_cvt_f32_f16_sdwa v13, v78 dst_sel:DWORD dst_unused:UNUSED_PAD src0_sel:WORD_1
	v_cvt_f32_f16_e32 v12, v78
	v_cvt_f32_f16_sdwa v15, v81 dst_sel:DWORD dst_unused:UNUSED_PAD src0_sel:WORD_1
	v_cvt_f32_f16_e32 v14, v81
	v_mul_lo_u32 v8, s8, v8
	v_add_u32_e32 v8, s3, v8
	v_lshl_add_u32 v16, v8, 8, v46
	v_mov_b32_e32 v17, 0
	v_lshl_add_u64 v[18:19], v[16:17], 2, s[24:25]
	v_pk_mul_f32 v[12:13], v[10:11], v[12:13] op_sel_hi:[0,1]
	v_pk_mul_f32 v[14:15], v[10:11], v[14:15] op_sel_hi:[0,1]
	global_store_dwordx4 v[18:19], v[12:15], off
	v_cmp_eq_u32_e32 vcc, 0, v20
	v_add_u32_e32 v16, 0x80, v16
	v_cvt_f32_f16_sdwa v13, v80 dst_sel:DWORD dst_unused:UNUSED_PAD src0_sel:WORD_1
	v_cvt_f32_f16_e32 v12, v80
	v_cvt_f32_f16_sdwa v15, v79 dst_sel:DWORD dst_unused:UNUSED_PAD src0_sel:WORD_1
	v_cvt_f32_f16_e32 v14, v79
	s_and_b64 s[4:5], vcc, s[0:1]
	v_lshl_add_u64 v[16:17], v[16:17], 2, s[24:25]
	v_pk_mul_f32 v[12:13], v[10:11], v[12:13] op_sel_hi:[0,1]
	v_pk_mul_f32 v[14:15], v[10:11], v[14:15] op_sel_hi:[0,1]
	global_store_dwordx4 v[16:17], v[12:15], off
	s_and_saveexec_b64 s[0:1], s[4:5]
	s_cbranch_execz .LBB13_17
; %bb.16:
	v_ashrrev_i32_e32 v9, 31, v8
	v_lshl_add_u64 v[10:11], v[8:9], 3, s[26:27]
	v_mov_b32_e32 v12, v0
	v_mov_b32_e32 v13, v6
	global_store_dwordx2 v[10:11], v[12:13], off
.LBB13_17:
	s_or_b64 exec, exec, s[0:1]
	v_cndmask_b32_e64 v0, 0, 1, s[6:7]
	v_cmp_ne_u32_e64 s[0:1], 1, v0
	s_andn2_b64 vcc, exec, s[6:7]
	v_mov_b32_e32 v0, 1.0
	s_cbranch_vccnz .LBB13_19
; %bb.18:
	v_div_scale_f32 v0, s[2:3], v7, v7, 1.0
	v_rcp_f32_e32 v6, v0
	v_div_scale_f32 v9, vcc, 1.0, v7, 1.0
	v_fma_f32 v10, -v0, v6, 1.0
	v_fmac_f32_e32 v6, v10, v6
	v_mul_f32_e32 v10, v9, v6
	v_fma_f32 v11, -v0, v10, v9
	v_fmac_f32_e32 v10, v11, v6
	v_fma_f32 v0, -v0, v10, v9
	v_div_fmas_f32 v0, v0, v6, v10
	v_div_fixup_f32 v0, v0, v7, 1.0
.LBB13_19:
	v_cvt_f32_f16_sdwa v11, v74 dst_sel:DWORD dst_unused:UNUSED_PAD src0_sel:WORD_1
	v_cvt_f32_f16_e32 v10, v74
	v_cvt_f32_f16_sdwa v13, v77 dst_sel:DWORD dst_unused:UNUSED_PAD src0_sel:WORD_1
	v_cvt_f32_f16_e32 v12, v77
	v_add_u32_e32 v8, s8, v8
	v_lshl_add_u32 v14, v8, 8, v46
	v_mov_b32_e32 v15, 0
	v_lshl_add_u64 v[16:17], v[14:15], 2, s[24:25]
	v_pk_mul_f32 v[10:11], v[0:1], v[10:11] op_sel_hi:[0,1]
	v_pk_mul_f32 v[12:13], v[0:1], v[12:13] op_sel_hi:[0,1]
	global_store_dwordx4 v[16:17], v[10:13], off
	v_add_u32_e32 v14, 0x80, v14
	v_lshl_add_u64 v[14:15], v[14:15], 2, s[24:25]
	v_cvt_f32_f16_sdwa v11, v76 dst_sel:DWORD dst_unused:UNUSED_PAD src0_sel:WORD_1
	v_cvt_f32_f16_e32 v10, v76
	v_cvt_f32_f16_sdwa v13, v75 dst_sel:DWORD dst_unused:UNUSED_PAD src0_sel:WORD_1
	v_cvt_f32_f16_e32 v12, v75
	v_pk_mul_f32 v[10:11], v[0:1], v[10:11] op_sel_hi:[0,1]
	v_pk_mul_f32 v[12:13], v[0:1], v[12:13] op_sel_hi:[0,1]
	global_store_dwordx4 v[14:15], v[10:13], off
	s_and_saveexec_b64 s[2:3], s[4:5]
	s_cbranch_execz .LBB13_21
; %bb.20:
	v_ashrrev_i32_e32 v9, 31, v8
	v_lshl_add_u64 v[10:11], v[8:9], 3, s[26:27]
	v_mov_b32_e32 v6, v1
	global_store_dwordx2 v[10:11], v[6:7], off
.LBB13_21:
	s_or_b64 exec, exec, s[2:3]
	s_and_b64 vcc, exec, s[0:1]
	v_mov_b32_e32 v6, 1.0
	s_cbranch_vccnz .LBB13_23
; %bb.22:
	v_div_scale_f32 v0, s[2:3], v4, v4, 1.0
	v_rcp_f32_e32 v1, v0
	v_div_scale_f32 v6, vcc, 1.0, v4, 1.0
	v_fma_f32 v7, -v0, v1, 1.0
	v_fmac_f32_e32 v1, v7, v1
	v_mul_f32_e32 v7, v6, v1
	v_fma_f32 v9, -v0, v7, v6
	v_fmac_f32_e32 v7, v9, v1
	v_fma_f32 v0, -v0, v7, v6
	v_div_fmas_f32 v0, v0, v1, v7
	v_div_fixup_f32 v6, v0, v4, 1.0
.LBB13_23:
	v_add_u32_e32 v0, s8, v8
	v_cvt_f32_f16_sdwa v9, v70 dst_sel:DWORD dst_unused:UNUSED_PAD src0_sel:WORD_1
	v_cvt_f32_f16_e32 v8, v70
	v_cvt_f32_f16_sdwa v11, v73 dst_sel:DWORD dst_unused:UNUSED_PAD src0_sel:WORD_1
	v_cvt_f32_f16_e32 v10, v73
	v_lshl_add_u32 v12, v0, 8, v46
	v_mov_b32_e32 v13, 0
	v_lshl_add_u64 v[14:15], v[12:13], 2, s[24:25]
	v_pk_mul_f32 v[8:9], v[6:7], v[8:9] op_sel_hi:[0,1]
	v_pk_mul_f32 v[10:11], v[6:7], v[10:11] op_sel_hi:[0,1]
	global_store_dwordx4 v[14:15], v[8:11], off
	v_add_u32_e32 v12, 0x80, v12
	v_lshl_add_u64 v[12:13], v[12:13], 2, s[24:25]
	v_cvt_f32_f16_sdwa v9, v72 dst_sel:DWORD dst_unused:UNUSED_PAD src0_sel:WORD_1
	v_cvt_f32_f16_e32 v8, v72
	v_cvt_f32_f16_sdwa v11, v71 dst_sel:DWORD dst_unused:UNUSED_PAD src0_sel:WORD_1
	v_cvt_f32_f16_e32 v10, v71
	v_pk_mul_f32 v[8:9], v[6:7], v[8:9] op_sel_hi:[0,1]
	v_pk_mul_f32 v[10:11], v[6:7], v[10:11] op_sel_hi:[0,1]
	global_store_dwordx4 v[12:13], v[8:11], off
	s_and_saveexec_b64 s[2:3], s[4:5]
	s_cbranch_execz .LBB13_25
; %bb.24:
	v_ashrrev_i32_e32 v1, 31, v0
	v_lshl_add_u64 v[6:7], v[0:1], 3, s[26:27]
	v_mov_b32_e32 v8, v2
	v_mov_b32_e32 v9, v4
	global_store_dwordx2 v[6:7], v[8:9], off
.LBB13_25:
	s_or_b64 exec, exec, s[2:3]
	s_and_b64 vcc, exec, s[0:1]
	v_mov_b32_e32 v2, 1.0
	s_cbranch_vccnz .LBB13_27
; %bb.26:
	v_div_scale_f32 v1, s[0:1], v5, v5, 1.0
	v_rcp_f32_e32 v2, v1
	v_div_scale_f32 v4, vcc, 1.0, v5, 1.0
	v_fma_f32 v6, -v1, v2, 1.0
	v_fmac_f32_e32 v2, v6, v2
	v_mul_f32_e32 v6, v4, v2
	v_fma_f32 v7, -v1, v6, v4
	v_fmac_f32_e32 v6, v7, v2
	v_fma_f32 v1, -v1, v6, v4
	v_div_fmas_f32 v1, v1, v2, v6
	v_div_fixup_f32 v2, v1, v5, 1.0
.LBB13_27:
	v_cvt_f32_f16_sdwa v7, v69 dst_sel:DWORD dst_unused:UNUSED_PAD src0_sel:WORD_1
	v_cvt_f32_f16_e32 v6, v69
	v_cvt_f32_f16_sdwa v9, v68 dst_sel:DWORD dst_unused:UNUSED_PAD src0_sel:WORD_1
	v_cvt_f32_f16_e32 v8, v68
	v_add_u32_e32 v0, s8, v0
	v_lshl_add_u32 v10, v0, 8, v46
	v_mov_b32_e32 v11, 0
	v_lshl_add_u64 v[12:13], v[10:11], 2, s[24:25]
	v_pk_mul_f32 v[6:7], v[2:3], v[6:7] op_sel_hi:[0,1]
	v_pk_mul_f32 v[8:9], v[2:3], v[8:9] op_sel_hi:[0,1]
	global_store_dwordx4 v[12:13], v[6:9], off
	v_add_u32_e32 v10, 0x80, v10
	v_lshl_add_u64 v[10:11], v[10:11], 2, s[24:25]
	v_cvt_f32_f16_sdwa v7, v67 dst_sel:DWORD dst_unused:UNUSED_PAD src0_sel:WORD_1
	v_cvt_f32_f16_e32 v6, v67
	v_cvt_f32_f16_sdwa v9, v66 dst_sel:DWORD dst_unused:UNUSED_PAD src0_sel:WORD_1
	v_cvt_f32_f16_e32 v8, v66
	v_pk_mul_f32 v[6:7], v[2:3], v[6:7] op_sel_hi:[0,1]
	v_pk_mul_f32 v[8:9], v[2:3], v[8:9] op_sel_hi:[0,1]
	global_store_dwordx4 v[10:11], v[6:9], off
	s_and_b64 exec, exec, s[4:5]
	s_cbranch_execz .LBB13_29
; %bb.28:
	v_ashrrev_i32_e32 v1, 31, v0
	v_lshl_add_u64 v[0:1], v[0:1], 3, s[26:27]
	v_mov_b32_e32 v4, v3
	global_store_dwordx2 v[0:1], v[4:5], off
.LBB13_29:
	s_endpgm
	.section	.rodata,"a",@progbits
	.p2align	6, 0x0
	.amdhsa_kernel _ZL15flash_attn_tileILi256ELi256ELi8ELi4ELb0EEvPKcS1_S1_S1_S1_PKiPfP15HIP_vector_typeIfLj2EEffffjfiS5_IjLj3EEiiiiiiiiiiiliiliiiiil
		.amdhsa_group_segment_fixed_size 27136
		.amdhsa_private_segment_fixed_size 0
		.amdhsa_kernarg_size 464
		.amdhsa_user_sgpr_count 2
		.amdhsa_user_sgpr_dispatch_ptr 0
		.amdhsa_user_sgpr_queue_ptr 0
		.amdhsa_user_sgpr_kernarg_segment_ptr 1
		.amdhsa_user_sgpr_dispatch_id 0
		.amdhsa_user_sgpr_kernarg_preload_length 0
		.amdhsa_user_sgpr_kernarg_preload_offset 0
		.amdhsa_user_sgpr_private_segment_size 0
		.amdhsa_uses_dynamic_stack 0
		.amdhsa_enable_private_segment 0
		.amdhsa_system_sgpr_workgroup_id_x 1
		.amdhsa_system_sgpr_workgroup_id_y 1
		.amdhsa_system_sgpr_workgroup_id_z 1
		.amdhsa_system_sgpr_workgroup_info 0
		.amdhsa_system_vgpr_workitem_id 1
		.amdhsa_next_free_vgpr 104
		.amdhsa_next_free_sgpr 91
		.amdhsa_accum_offset 104
		.amdhsa_reserve_vcc 1
		.amdhsa_float_round_mode_32 0
		.amdhsa_float_round_mode_16_64 0
		.amdhsa_float_denorm_mode_32 3
		.amdhsa_float_denorm_mode_16_64 3
		.amdhsa_dx10_clamp 1
		.amdhsa_ieee_mode 1
		.amdhsa_fp16_overflow 0
		.amdhsa_tg_split 0
		.amdhsa_exception_fp_ieee_invalid_op 0
		.amdhsa_exception_fp_denorm_src 0
		.amdhsa_exception_fp_ieee_div_zero 0
		.amdhsa_exception_fp_ieee_overflow 0
		.amdhsa_exception_fp_ieee_underflow 0
		.amdhsa_exception_fp_ieee_inexact 0
		.amdhsa_exception_int_div_zero 0
	.end_amdhsa_kernel
	.section	.text._ZL15flash_attn_tileILi256ELi256ELi8ELi4ELb0EEvPKcS1_S1_S1_S1_PKiPfP15HIP_vector_typeIfLj2EEffffjfiS5_IjLj3EEiiiiiiiiiiiliiliiiiil,"axG",@progbits,_ZL15flash_attn_tileILi256ELi256ELi8ELi4ELb0EEvPKcS1_S1_S1_S1_PKiPfP15HIP_vector_typeIfLj2EEffffjfiS5_IjLj3EEiiiiiiiiiiiliiliiiiil,comdat
.Lfunc_end13:
	.size	_ZL15flash_attn_tileILi256ELi256ELi8ELi4ELb0EEvPKcS1_S1_S1_S1_PKiPfP15HIP_vector_typeIfLj2EEffffjfiS5_IjLj3EEiiiiiiiiiiiliiliiiiil, .Lfunc_end13-_ZL15flash_attn_tileILi256ELi256ELi8ELi4ELb0EEvPKcS1_S1_S1_S1_PKiPfP15HIP_vector_typeIfLj2EEffffjfiS5_IjLj3EEiiiiiiiiiiiliiliiiiil
                                        ; -- End function
	.set _ZL15flash_attn_tileILi256ELi256ELi8ELi4ELb0EEvPKcS1_S1_S1_S1_PKiPfP15HIP_vector_typeIfLj2EEffffjfiS5_IjLj3EEiiiiiiiiiiiliiliiiiil.num_vgpr, 104
	.set _ZL15flash_attn_tileILi256ELi256ELi8ELi4ELb0EEvPKcS1_S1_S1_S1_PKiPfP15HIP_vector_typeIfLj2EEffffjfiS5_IjLj3EEiiiiiiiiiiiliiliiiiil.num_agpr, 0
	.set _ZL15flash_attn_tileILi256ELi256ELi8ELi4ELb0EEvPKcS1_S1_S1_S1_PKiPfP15HIP_vector_typeIfLj2EEffffjfiS5_IjLj3EEiiiiiiiiiiiliiliiiiil.numbered_sgpr, 46
	.set _ZL15flash_attn_tileILi256ELi256ELi8ELi4ELb0EEvPKcS1_S1_S1_S1_PKiPfP15HIP_vector_typeIfLj2EEffffjfiS5_IjLj3EEiiiiiiiiiiiliiliiiiil.num_named_barrier, 0
	.set _ZL15flash_attn_tileILi256ELi256ELi8ELi4ELb0EEvPKcS1_S1_S1_S1_PKiPfP15HIP_vector_typeIfLj2EEffffjfiS5_IjLj3EEiiiiiiiiiiiliiliiiiil.private_seg_size, 0
	.set _ZL15flash_attn_tileILi256ELi256ELi8ELi4ELb0EEvPKcS1_S1_S1_S1_PKiPfP15HIP_vector_typeIfLj2EEffffjfiS5_IjLj3EEiiiiiiiiiiiliiliiiiil.uses_vcc, 1
	.set _ZL15flash_attn_tileILi256ELi256ELi8ELi4ELb0EEvPKcS1_S1_S1_S1_PKiPfP15HIP_vector_typeIfLj2EEffffjfiS5_IjLj3EEiiiiiiiiiiiliiliiiiil.uses_flat_scratch, 0
	.set _ZL15flash_attn_tileILi256ELi256ELi8ELi4ELb0EEvPKcS1_S1_S1_S1_PKiPfP15HIP_vector_typeIfLj2EEffffjfiS5_IjLj3EEiiiiiiiiiiiliiliiiiil.has_dyn_sized_stack, 0
	.set _ZL15flash_attn_tileILi256ELi256ELi8ELi4ELb0EEvPKcS1_S1_S1_S1_PKiPfP15HIP_vector_typeIfLj2EEffffjfiS5_IjLj3EEiiiiiiiiiiiliiliiiiil.has_recursion, 0
	.set _ZL15flash_attn_tileILi256ELi256ELi8ELi4ELb0EEvPKcS1_S1_S1_S1_PKiPfP15HIP_vector_typeIfLj2EEffffjfiS5_IjLj3EEiiiiiiiiiiiliiliiiiil.has_indirect_call, 0
	.section	.AMDGPU.csdata,"",@progbits
; Kernel info:
; codeLenInByte = 23784
; TotalNumSgprs: 52
; NumVgprs: 104
; NumAgprs: 0
; TotalNumVgprs: 104
; ScratchSize: 0
; MemoryBound: 0
; FloatMode: 240
; IeeeMode: 1
; LDSByteSize: 27136 bytes/workgroup (compile time only)
; SGPRBlocks: 12
; VGPRBlocks: 12
; NumSGPRsForWavesPerEU: 97
; NumVGPRsForWavesPerEU: 104
; AccumOffset: 104
; Occupancy: 4
; WaveLimiterHint : 1
; COMPUTE_PGM_RSRC2:SCRATCH_EN: 0
; COMPUTE_PGM_RSRC2:USER_SGPR: 2
; COMPUTE_PGM_RSRC2:TRAP_HANDLER: 0
; COMPUTE_PGM_RSRC2:TGID_X_EN: 1
; COMPUTE_PGM_RSRC2:TGID_Y_EN: 1
; COMPUTE_PGM_RSRC2:TGID_Z_EN: 1
; COMPUTE_PGM_RSRC2:TIDIG_COMP_CNT: 1
; COMPUTE_PGM_RSRC3_GFX90A:ACCUM_OFFSET: 25
; COMPUTE_PGM_RSRC3_GFX90A:TG_SPLIT: 0
	.section	.text._ZL25flash_attn_mask_to_KV_maxILi8EEvPK7__half2Piiii,"axG",@progbits,_ZL25flash_attn_mask_to_KV_maxILi8EEvPK7__half2Piiii,comdat
	.globl	_ZL25flash_attn_mask_to_KV_maxILi8EEvPK7__half2Piiii ; -- Begin function _ZL25flash_attn_mask_to_KV_maxILi8EEvPK7__half2Piiii
	.p2align	8
	.type	_ZL25flash_attn_mask_to_KV_maxILi8EEvPK7__half2Piiii,@function
_ZL25flash_attn_mask_to_KV_maxILi8EEvPK7__half2Piiii: ; @_ZL25flash_attn_mask_to_KV_maxILi8EEvPK7__half2Piiii
; %bb.0:
	s_load_dwordx4 s[4:7], s[0:1], 0x0
	v_cmp_gt_u32_e32 vcc, 32, v0
	s_and_saveexec_b64 s[8:9], vcc
; %bb.1:
	v_lshlrev_b32_e32 v1, 2, v0
	v_mov_b32_e32 v2, 1
	ds_write_b32 v1, v2
; %bb.2:
	s_or_b64 exec, exec, s[8:9]
	s_load_dwordx4 s[8:11], s[0:1], 0x10
	s_load_dword s33, s[0:1], 0x20
	v_and_b32_e32 v2, 31, v0
	v_lshlrev_b32_e32 v6, 2, v2
	v_lshrrev_b32_e32 v1, 3, v0
	s_waitcnt lgkmcnt(0)
	s_mul_i32 s1, s2, s9
	s_mul_i32 s0, s10, s3
	s_lshl_b32 s1, s1, 3
	s_add_i32 s0, s0, s1
	s_ashr_i32 s1, s0, 31
	s_lshl_b64 s[0:1], s[0:1], 2
	s_add_u32 s10, s4, s0
	s_addc_u32 s11, s5, s1
	v_cmp_eq_u32_e64 s[0:1], 0, v2
	v_mbcnt_lo_u32_b32 v2, -1, 0
	s_lshl_b32 s8, s8, 8
	s_mov_b64 s[12:13], 0
	v_mov_b32_e32 v3, 0
	s_movk_i32 s42, 0x204
	v_mbcnt_hi_u32_b32 v7, -1, v2
	s_barrier
                                        ; implicit-def: $sgpr4_sgpr5
	s_branch .LBB14_5
.LBB14_3:                               ;   in Loop: Header=BB14_5 Depth=1
	s_or_b64 exec, exec, s[14:15]
	s_waitcnt lgkmcnt(0)
	s_barrier
	ds_read_b32 v10, v6
	s_waitcnt lgkmcnt(0)
	s_barrier
	ds_bpermute_b32 v2, v2, v10
	v_cmp_ne_u32_e32 vcc, 0, v10
	s_waitcnt lgkmcnt(0)
	v_cmp_ne_u32_e64 s[4:5], 0, v2
	s_and_b64 s[4:5], vcc, s[4:5]
	s_nop 0
	v_cndmask_b32_e64 v2, 0, 1, s[4:5]
	ds_bpermute_b32 v2, v4, v2
	s_waitcnt lgkmcnt(0)
	v_cmp_ne_u32_e32 vcc, 0, v2
	s_and_b64 s[4:5], vcc, s[4:5]
	v_cndmask_b32_e64 v2, 0, 1, s[4:5]
	ds_bpermute_b32 v2, v5, v2
	s_waitcnt lgkmcnt(0)
	v_cmp_ne_u32_e32 vcc, 0, v2
	s_and_b64 s[4:5], vcc, s[4:5]
	;; [unrolled: 5-line block ×3, first 2 shown]
	v_cndmask_b32_e64 v2, 0, 1, s[4:5]
	ds_bpermute_b32 v2, v9, v2
	s_xor_b64 s[4:5], s[4:5], -1
	s_waitcnt lgkmcnt(0)
	v_cmp_eq_u32_e32 vcc, 0, v2
	s_or_b64 s[4:5], vcc, s[4:5]
.LBB14_4:                               ;   in Loop: Header=BB14_5 Depth=1
	s_and_b64 s[14:15], exec, s[4:5]
	s_or_b64 s[12:13], s[14:15], s[12:13]
	v_mov_b32_e32 v2, s8
	s_mov_b32 s8, s43
	s_andn2_b64 exec, exec, s[12:13]
	s_cbranch_execz .LBB14_36
.LBB14_5:                               ; =>This Inner Loop Header: Depth=1
	s_add_i32 s43, s8, 0xffffff00
	s_or_b64 s[4:5], s[4:5], exec
	s_cmp_lt_i32 s43, 0
	s_cbranch_scc1 .LBB14_4
; %bb.6:                                ;   in Loop: Header=BB14_5 Depth=1
	s_lshr_b32 s4, s43, 1
	v_add_u32_e32 v2, s4, v0
	v_lshl_add_u64 v[4:5], v[2:3], 2, s[10:11]
	global_load_dword v4, v[4:5], off
	v_mov_b32_e32 v5, 0
	s_waitcnt vmcnt(0)
	v_cmp_class_f16_e64 s[4:5], v4, s42
	v_cmp_class_f16_sdwa s[14:15], v4, s42 src0_sel:WORD_1 src1_sel:DWORD
	s_and_b64 s[14:15], s[4:5], s[14:15]
	s_and_saveexec_b64 s[4:5], s[14:15]
	s_cbranch_execz .LBB14_34
; %bb.7:                                ;   in Loop: Header=BB14_5 Depth=1
	v_add_u32_e32 v4, s9, v2
	v_ashrrev_i32_e32 v5, 31, v4
	v_lshl_add_u64 v[8:9], v[4:5], 2, s[10:11]
	global_load_dword v2, v[8:9], off
	v_mov_b32_e32 v5, 0
	s_waitcnt vmcnt(0)
	v_cmp_class_f16_e64 s[16:17], v2, s42
	s_and_saveexec_b64 s[14:15], s[16:17]
	s_cbranch_execz .LBB14_33
; %bb.8:                                ;   in Loop: Header=BB14_5 Depth=1
	v_cmp_class_f16_sdwa s[18:19], v2, s42 src0_sel:WORD_1 src1_sel:DWORD
	v_mov_b32_e32 v5, 0
	s_and_saveexec_b64 s[16:17], s[18:19]
	s_cbranch_execz .LBB14_32
; %bb.9:                                ;   in Loop: Header=BB14_5 Depth=1
	v_add_u32_e32 v4, s9, v4
	v_ashrrev_i32_e32 v5, 31, v4
	v_lshl_add_u64 v[8:9], v[4:5], 2, s[10:11]
	global_load_dword v2, v[8:9], off
	v_mov_b32_e32 v5, 0
	s_waitcnt vmcnt(0)
	v_cmp_class_f16_e64 s[20:21], v2, s42
	s_and_saveexec_b64 s[18:19], s[20:21]
	s_cbranch_execz .LBB14_31
; %bb.10:                               ;   in Loop: Header=BB14_5 Depth=1
	v_cmp_class_f16_sdwa s[22:23], v2, s42 src0_sel:WORD_1 src1_sel:DWORD
	v_mov_b32_e32 v5, 0
	s_and_saveexec_b64 s[20:21], s[22:23]
	s_cbranch_execz .LBB14_30
; %bb.11:                               ;   in Loop: Header=BB14_5 Depth=1
	v_add_u32_e32 v4, s9, v4
	v_ashrrev_i32_e32 v5, 31, v4
	v_lshl_add_u64 v[8:9], v[4:5], 2, s[10:11]
	global_load_dword v2, v[8:9], off
	v_mov_b32_e32 v5, 0
	s_waitcnt vmcnt(0)
	v_cmp_class_f16_e64 s[24:25], v2, s42
	s_and_saveexec_b64 s[22:23], s[24:25]
	s_cbranch_execz .LBB14_29
; %bb.12:                               ;   in Loop: Header=BB14_5 Depth=1
	v_cmp_class_f16_sdwa s[26:27], v2, s42 src0_sel:WORD_1 src1_sel:DWORD
	v_mov_b32_e32 v5, 0
	s_and_saveexec_b64 s[24:25], s[26:27]
	s_cbranch_execz .LBB14_28
; %bb.13:                               ;   in Loop: Header=BB14_5 Depth=1
	;; [unrolled: 15-line block ×5, first 2 shown]
	v_add_u32_e32 v4, s9, v4
	v_ashrrev_i32_e32 v5, 31, v4
	v_lshl_add_u64 v[4:5], v[4:5], 2, s[10:11]
	global_load_dword v2, v[4:5], off
	v_mov_b32_e32 v5, 0
	s_waitcnt vmcnt(0)
	v_cmp_class_f16_e64 s[44:45], v2, s42
	s_and_saveexec_b64 s[40:41], s[44:45]
; %bb.20:                               ;   in Loop: Header=BB14_5 Depth=1
	v_cmp_class_f16_sdwa s[44:45], v2, s42 src0_sel:WORD_1 src1_sel:DWORD
	s_nop 1
	v_cndmask_b32_e64 v5, 0, 1, s[44:45]
; %bb.21:                               ;   in Loop: Header=BB14_5 Depth=1
	s_or_b64 exec, exec, s[40:41]
.LBB14_22:                              ;   in Loop: Header=BB14_5 Depth=1
	s_or_b64 exec, exec, s[38:39]
.LBB14_23:                              ;   in Loop: Header=BB14_5 Depth=1
	s_or_b64 exec, exec, s[36:37]
.LBB14_24:                              ;   in Loop: Header=BB14_5 Depth=1
	s_or_b64 exec, exec, s[34:35]
.LBB14_25:                              ;   in Loop: Header=BB14_5 Depth=1
	s_or_b64 exec, exec, s[30:31]
.LBB14_26:                              ;   in Loop: Header=BB14_5 Depth=1
	s_or_b64 exec, exec, s[28:29]
.LBB14_27:                              ;   in Loop: Header=BB14_5 Depth=1
	s_or_b64 exec, exec, s[26:27]
.LBB14_28:                              ;   in Loop: Header=BB14_5 Depth=1
	s_or_b64 exec, exec, s[24:25]
.LBB14_29:                              ;   in Loop: Header=BB14_5 Depth=1
	s_or_b64 exec, exec, s[22:23]
.LBB14_30:                              ;   in Loop: Header=BB14_5 Depth=1
	s_or_b64 exec, exec, s[20:21]
.LBB14_31:                              ;   in Loop: Header=BB14_5 Depth=1
	s_or_b64 exec, exec, s[18:19]
.LBB14_32:                              ;   in Loop: Header=BB14_5 Depth=1
	s_or_b64 exec, exec, s[16:17]
.LBB14_33:                              ;   in Loop: Header=BB14_5 Depth=1
	s_or_b64 exec, exec, s[14:15]
.LBB14_34:                              ;   in Loop: Header=BB14_5 Depth=1
	s_or_b64 exec, exec, s[4:5]
	v_and_b32_e32 v2, 0x60, v7
	v_add_u32_e32 v9, 32, v2
	v_xor_b32_e32 v2, 16, v7
	v_cmp_lt_i32_e32 vcc, v2, v9
	v_xor_b32_e32 v11, 1, v7
	s_nop 0
	v_cndmask_b32_e32 v2, v7, v2, vcc
	v_lshlrev_b32_e32 v2, 2, v2
	ds_bpermute_b32 v4, v2, v5
	v_cmp_ne_u32_e32 vcc, 0, v5
	s_waitcnt lgkmcnt(0)
	v_cmp_ne_u32_e64 s[4:5], 0, v4
	v_xor_b32_e32 v4, 8, v7
	s_and_b64 s[4:5], vcc, s[4:5]
	v_cmp_lt_i32_e32 vcc, v4, v9
	v_cndmask_b32_e64 v5, 0, 1, s[4:5]
	s_nop 0
	v_cndmask_b32_e32 v4, v7, v4, vcc
	v_lshlrev_b32_e32 v4, 2, v4
	ds_bpermute_b32 v5, v4, v5
	s_waitcnt lgkmcnt(0)
	v_cmp_ne_u32_e32 vcc, 0, v5
	v_xor_b32_e32 v5, 4, v7
	s_and_b64 s[4:5], vcc, s[4:5]
	v_cmp_lt_i32_e32 vcc, v5, v9
	v_cndmask_b32_e64 v8, 0, 1, s[4:5]
	s_nop 0
	v_cndmask_b32_e32 v5, v7, v5, vcc
	v_lshlrev_b32_e32 v5, 2, v5
	ds_bpermute_b32 v8, v5, v8
	s_waitcnt lgkmcnt(0)
	v_cmp_ne_u32_e32 vcc, 0, v8
	;; [unrolled: 10-line block ×3, first 2 shown]
	s_and_b64 s[4:5], vcc, s[4:5]
	v_cmp_lt_i32_e32 vcc, v11, v9
	v_cndmask_b32_e64 v10, 0, 1, s[4:5]
	s_nop 0
	v_cndmask_b32_e32 v9, v7, v11, vcc
	v_lshlrev_b32_e32 v9, 2, v9
	ds_bpermute_b32 v10, v9, v10
	s_and_saveexec_b64 s[14:15], s[0:1]
	s_cbranch_execz .LBB14_3
; %bb.35:                               ;   in Loop: Header=BB14_5 Depth=1
	s_waitcnt lgkmcnt(0)
	v_cmp_ne_u32_e32 vcc, 0, v10
	s_and_b64 s[4:5], vcc, s[4:5]
	v_cndmask_b32_e64 v10, 0, 1, s[4:5]
	ds_write_b32 v1, v10
	s_branch .LBB14_3
.LBB14_36:
	s_or_b64 exec, exec, s[12:13]
	v_cmp_eq_u32_e32 vcc, 0, v0
	s_and_saveexec_b64 s[0:1], vcc
	s_cbranch_execz .LBB14_38
; %bb.37:
	s_mul_i32 s0, s33, s3
	s_add_i32 s0, s0, s2
	s_ashr_i32 s1, s0, 31
	s_lshl_b64 s[0:1], s[0:1], 2
	s_add_u32 s0, s6, s0
	s_addc_u32 s1, s7, s1
	v_mov_b32_e32 v0, 0
	global_store_dword v0, v2, s[0:1]
.LBB14_38:
	s_endpgm
	.section	.rodata,"a",@progbits
	.p2align	6, 0x0
	.amdhsa_kernel _ZL25flash_attn_mask_to_KV_maxILi8EEvPK7__half2Piiii
		.amdhsa_group_segment_fixed_size 128
		.amdhsa_private_segment_fixed_size 0
		.amdhsa_kernarg_size 288
		.amdhsa_user_sgpr_count 2
		.amdhsa_user_sgpr_dispatch_ptr 0
		.amdhsa_user_sgpr_queue_ptr 0
		.amdhsa_user_sgpr_kernarg_segment_ptr 1
		.amdhsa_user_sgpr_dispatch_id 0
		.amdhsa_user_sgpr_kernarg_preload_length 0
		.amdhsa_user_sgpr_kernarg_preload_offset 0
		.amdhsa_user_sgpr_private_segment_size 0
		.amdhsa_uses_dynamic_stack 0
		.amdhsa_enable_private_segment 0
		.amdhsa_system_sgpr_workgroup_id_x 1
		.amdhsa_system_sgpr_workgroup_id_y 1
		.amdhsa_system_sgpr_workgroup_id_z 0
		.amdhsa_system_sgpr_workgroup_info 0
		.amdhsa_system_vgpr_workitem_id 0
		.amdhsa_next_free_vgpr 12
		.amdhsa_next_free_sgpr 46
		.amdhsa_accum_offset 12
		.amdhsa_reserve_vcc 1
		.amdhsa_float_round_mode_32 0
		.amdhsa_float_round_mode_16_64 0
		.amdhsa_float_denorm_mode_32 3
		.amdhsa_float_denorm_mode_16_64 3
		.amdhsa_dx10_clamp 1
		.amdhsa_ieee_mode 1
		.amdhsa_fp16_overflow 0
		.amdhsa_tg_split 0
		.amdhsa_exception_fp_ieee_invalid_op 0
		.amdhsa_exception_fp_denorm_src 0
		.amdhsa_exception_fp_ieee_div_zero 0
		.amdhsa_exception_fp_ieee_overflow 0
		.amdhsa_exception_fp_ieee_underflow 0
		.amdhsa_exception_fp_ieee_inexact 0
		.amdhsa_exception_int_div_zero 0
	.end_amdhsa_kernel
	.section	.text._ZL25flash_attn_mask_to_KV_maxILi8EEvPK7__half2Piiii,"axG",@progbits,_ZL25flash_attn_mask_to_KV_maxILi8EEvPK7__half2Piiii,comdat
.Lfunc_end14:
	.size	_ZL25flash_attn_mask_to_KV_maxILi8EEvPK7__half2Piiii, .Lfunc_end14-_ZL25flash_attn_mask_to_KV_maxILi8EEvPK7__half2Piiii
                                        ; -- End function
	.set _ZL25flash_attn_mask_to_KV_maxILi8EEvPK7__half2Piiii.num_vgpr, 12
	.set _ZL25flash_attn_mask_to_KV_maxILi8EEvPK7__half2Piiii.num_agpr, 0
	.set _ZL25flash_attn_mask_to_KV_maxILi8EEvPK7__half2Piiii.numbered_sgpr, 46
	.set _ZL25flash_attn_mask_to_KV_maxILi8EEvPK7__half2Piiii.num_named_barrier, 0
	.set _ZL25flash_attn_mask_to_KV_maxILi8EEvPK7__half2Piiii.private_seg_size, 0
	.set _ZL25flash_attn_mask_to_KV_maxILi8EEvPK7__half2Piiii.uses_vcc, 1
	.set _ZL25flash_attn_mask_to_KV_maxILi8EEvPK7__half2Piiii.uses_flat_scratch, 0
	.set _ZL25flash_attn_mask_to_KV_maxILi8EEvPK7__half2Piiii.has_dyn_sized_stack, 0
	.set _ZL25flash_attn_mask_to_KV_maxILi8EEvPK7__half2Piiii.has_recursion, 0
	.set _ZL25flash_attn_mask_to_KV_maxILi8EEvPK7__half2Piiii.has_indirect_call, 0
	.section	.AMDGPU.csdata,"",@progbits
; Kernel info:
; codeLenInByte = 1292
; TotalNumSgprs: 52
; NumVgprs: 12
; NumAgprs: 0
; TotalNumVgprs: 12
; ScratchSize: 0
; MemoryBound: 0
; FloatMode: 240
; IeeeMode: 1
; LDSByteSize: 128 bytes/workgroup (compile time only)
; SGPRBlocks: 6
; VGPRBlocks: 1
; NumSGPRsForWavesPerEU: 52
; NumVGPRsForWavesPerEU: 12
; AccumOffset: 12
; Occupancy: 8
; WaveLimiterHint : 0
; COMPUTE_PGM_RSRC2:SCRATCH_EN: 0
; COMPUTE_PGM_RSRC2:USER_SGPR: 2
; COMPUTE_PGM_RSRC2:TRAP_HANDLER: 0
; COMPUTE_PGM_RSRC2:TGID_X_EN: 1
; COMPUTE_PGM_RSRC2:TGID_Y_EN: 1
; COMPUTE_PGM_RSRC2:TGID_Z_EN: 0
; COMPUTE_PGM_RSRC2:TIDIG_COMP_CNT: 0
; COMPUTE_PGM_RSRC3_GFX90A:ACCUM_OFFSET: 2
; COMPUTE_PGM_RSRC3_GFX90A:TG_SPLIT: 0
	.section	.text._ZL33flash_attn_stream_k_fixup_uniformILi256ELi8ELi4EEvPfPK15HIP_vector_typeIfLj2EEiiiiiiS1_IjLj3EES5_S5_,"axG",@progbits,_ZL33flash_attn_stream_k_fixup_uniformILi256ELi8ELi4EEvPfPK15HIP_vector_typeIfLj2EEiiiiiiS1_IjLj3EES5_S5_,comdat
	.globl	_ZL33flash_attn_stream_k_fixup_uniformILi256ELi8ELi4EEvPfPK15HIP_vector_typeIfLj2EEiiiiiiS1_IjLj3EES5_S5_ ; -- Begin function _ZL33flash_attn_stream_k_fixup_uniformILi256ELi8ELi4EEvPfPK15HIP_vector_typeIfLj2EEiiiiiiS1_IjLj3EES5_S5_
	.p2align	8
	.type	_ZL33flash_attn_stream_k_fixup_uniformILi256ELi8ELi4EEvPfPK15HIP_vector_typeIfLj2EEiiiiiiS1_IjLj3EES5_S5_,@function
_ZL33flash_attn_stream_k_fixup_uniformILi256ELi8ELi4EEvPfPK15HIP_vector_typeIfLj2EEiiiiiiS1_IjLj3EES5_S5_: ; @_ZL33flash_attn_stream_k_fixup_uniformILi256ELi8ELi4EEvPfPK15HIP_vector_typeIfLj2EEiiiiiiS1_IjLj3EES5_S5_
; %bb.0:
	s_load_dwordx8 s[8:15], s[0:1], 0x1c
	s_load_dwordx2 s[6:7], s[0:1], 0x10
	s_load_dwordx4 s[20:23], s[0:1], 0x3c
	s_waitcnt lgkmcnt(0)
	s_mul_hi_u32 s5, s11, s2
	s_add_i32 s5, s2, s5
	s_lshr_b32 s5, s5, s12
	s_mul_i32 s11, s5, s13
	s_sub_i32 s11, s2, s11
	s_mul_hi_u32 s12, s11, s14
	s_add_i32 s12, s11, s12
	s_lshr_b32 s16, s12, s15
	s_mul_i32 s12, s16, s20
	s_sub_i32 s11, s11, s12
	;; [unrolled: 5-line block ×3, first 2 shown]
	s_lshl_b32 s11, s12, 2
	s_lshl_b32 s12, s17, 3
	s_add_i32 s12, s12, s3
	s_cmp_lt_i32 s12, s6
	s_cselect_b64 s[12:13], -1, 0
	s_add_i32 s14, s11, s4
	s_cmp_lt_i32 s14, s9
	s_cselect_b64 s[14:15], -1, 0
	s_and_b64 s[12:13], s[12:13], s[14:15]
	s_andn2_b64 vcc, exec, s[12:13]
	s_cbranch_vccnz .LBB15_6
; %bb.1:
	s_load_dwordx4 s[12:15], s[0:1], 0x0
	s_mul_i32 s0, s5, s6
	s_add_i32 s0, s0, s3
	s_mul_i32 s0, s0, s7
	s_mul_i32 s16, s16, s9
	s_add_i32 s0, s0, s4
	s_add_i32 s0, s0, s16
	s_mul_i32 s1, s7, s17
	s_add_i32 s0, s0, s11
	s_lshl_b32 s1, s1, 11
	s_lshl_b32 s0, s0, 8
	s_add_i32 s1, s1, s0
	v_or_b32_e32 v4, s1, v0
	s_waitcnt lgkmcnt(0)
	v_mov_b32_e32 v2, s12
	v_mov_b32_e32 v3, s13
	v_ashrrev_i32_e32 v5, 31, v4
	v_lshl_add_u64 v[2:3], v[4:5], 2, v[2:3]
	global_load_dword v5, v[2:3], off
	s_mul_i32 s5, s10, s2
	s_lshl_b32 s11, s3, 2
	s_add_i32 s9, s5, s10
	s_add_i32 s0, s11, s4
	s_lshl_b32 s1, s9, 5
	s_add_i32 s0, s0, s1
	s_sub_i32 s0, s0, 32
	s_ashr_i32 s1, s0, 31
	s_lshl_b64 s[0:1], s[0:1], 3
	s_add_u32 s0, s14, s0
	s_addc_u32 s1, s15, s1
	s_load_dword s12, s[0:1], 0x4
	s_add_i32 s6, s9, -2
	s_cmp_lt_i32 s6, s5
	s_cbranch_scc1 .LBB15_4
; %bb.2:
	s_lshl_b32 s6, s8, 7
	s_ashr_i32 s7, s6, 31
	s_lshl_b64 s[6:7], s[6:7], 2
	s_add_u32 s6, s14, s6
	s_addc_u32 s7, s15, s7
	s_add_i32 s2, s2, 1
	s_load_dword s0, s[0:1], 0x0
	s_mul_i32 s1, s10, s2
	s_lshl_b32 s3, s3, 10
	s_lshl_b32 s10, s4, 8
	;; [unrolled: 1-line block ×3, first 2 shown]
	s_add_i32 s3, s10, s3
	s_lshl_b32 s1, s1, 5
	s_add_i32 s3, s3, s2
	s_add_i32 s1, s4, s1
	s_lshl_b32 s2, s8, 5
	s_add_i32 s1, s1, s2
	v_or_b32_e32 v0, s3, v0
	s_add_i32 s1, s1, s11
	s_add_i32 s9, s9, -1
	v_add_u32_e32 v0, 0xffffc000, v0
	s_sub_i32 s2, s1, 64
	s_waitcnt lgkmcnt(0)
	v_mov_b32_e32 v7, s0
	v_mov_b32_e32 v4, s12
	s_mov_b32 s4, 0x3fb8aa3b
	s_mov_b32 s8, 0xc2ce8ed0
	;; [unrolled: 1-line block ×3, first 2 shown]
	v_mov_b32_e32 v6, 0x7f800000
	s_mov_b32 s11, 0xc1a00000
.LBB15_3:                               ; =>This Inner Loop Header: Depth=1
	v_ashrrev_i32_e32 v1, 31, v0
	v_lshl_add_u64 v[8:9], v[0:1], 2, s[6:7]
	global_load_dword v9, v[8:9], off
	s_ashr_i32 s3, s2, 31
	s_lshl_b64 s[0:1], s[2:3], 3
	s_add_u32 s0, s14, s0
	s_addc_u32 s1, s15, s1
	s_load_dwordx2 s[0:1], s[0:1], 0x0
	v_max_f32_e32 v1, v7, v7
	s_add_i32 s9, s9, -1
	s_sub_i32 s2, s2, 32
	v_add_u32_e32 v0, 0xffffe000, v0
	s_waitcnt lgkmcnt(0)
	v_max_f32_e64 v10, s0, s0
	v_max_f32_e32 v1, v1, v10
	v_sub_f32_e32 v11, s0, v1
	v_sub_f32_e32 v10, v7, v1
	v_mul_f32_e32 v12, 0x3fb8aa3b, v11
	v_mov_b32_e32 v7, v1
	v_mul_f32_e32 v1, 0x3fb8aa3b, v10
	v_fma_f32 v15, v11, s4, -v12
	v_rndne_f32_e32 v16, v12
	v_fma_f32 v13, v10, s4, -v1
	v_rndne_f32_e32 v14, v1
	v_fmac_f32_e32 v15, 0x32a5705f, v11
	v_sub_f32_e32 v12, v12, v16
	v_fmac_f32_e32 v13, 0x32a5705f, v10
	v_sub_f32_e32 v1, v1, v14
	v_add_f32_e32 v12, v12, v15
	v_cvt_i32_f32_e32 v16, v16
	v_add_f32_e32 v1, v1, v13
	v_exp_f32_e32 v12, v12
	v_cvt_i32_f32_e32 v14, v14
	v_exp_f32_e32 v1, v1
	v_cmp_ngt_f32_e32 vcc, s8, v11
	v_ldexp_f32 v12, v12, v16
	v_mov_b32_e32 v8, s1
	v_ldexp_f32 v1, v1, v14
	v_cmp_ngt_f32_e64 s[0:1], s8, v10
	v_cndmask_b32_e32 v12, 0, v12, vcc
	v_cmp_nlt_f32_e32 vcc, s10, v11
	v_cndmask_b32_e64 v1, 0, v1, s[0:1]
	v_cmp_nlt_f32_e64 s[0:1], s10, v10
	v_cndmask_b32_e32 v12, v6, v12, vcc
	v_cmp_le_f32_e32 vcc, s11, v11
	v_cndmask_b32_e64 v1, v6, v1, s[0:1]
	v_cmp_le_f32_e64 s[0:1], s11, v10
	v_cndmask_b32_e32 v12, 0, v12, vcc
	s_cmp_le_i32 s9, s5
	v_cndmask_b32_e64 v10, 0, v1, s[0:1]
	s_waitcnt vmcnt(0)
	v_pk_mul_f32 v[8:9], v[8:9], v[12:13] op_sel_hi:[1,0]
	s_nop 0
	v_pk_fma_f32 v[4:5], v[4:5], v[10:11], v[8:9] op_sel_hi:[1,0,1]
	s_cbranch_scc0 .LBB15_3
	s_branch .LBB15_5
.LBB15_4:
	s_waitcnt lgkmcnt(0)
	v_mov_b32_e32 v4, s12
.LBB15_5:
	s_waitcnt vmcnt(0)
	v_div_scale_f32 v0, s[0:1], v4, v4, v5
	v_rcp_f32_e32 v1, v0
	v_div_scale_f32 v6, vcc, v5, v4, v5
	v_fma_f32 v7, -v0, v1, 1.0
	v_fmac_f32_e32 v1, v7, v1
	v_mul_f32_e32 v7, v6, v1
	v_fma_f32 v8, -v0, v7, v6
	v_fmac_f32_e32 v7, v8, v1
	v_fma_f32 v0, -v0, v7, v6
	v_div_fmas_f32 v0, v0, v1, v7
	v_div_fixup_f32 v0, v0, v4, v5
	global_store_dword v[2:3], v0, off
.LBB15_6:
	s_endpgm
	.section	.rodata,"a",@progbits
	.p2align	6, 0x0
	.amdhsa_kernel _ZL33flash_attn_stream_k_fixup_uniformILi256ELi8ELi4EEvPfPK15HIP_vector_typeIfLj2EEiiiiiiS1_IjLj3EES5_S5_
		.amdhsa_group_segment_fixed_size 0
		.amdhsa_private_segment_fixed_size 0
		.amdhsa_kernarg_size 76
		.amdhsa_user_sgpr_count 2
		.amdhsa_user_sgpr_dispatch_ptr 0
		.amdhsa_user_sgpr_queue_ptr 0
		.amdhsa_user_sgpr_kernarg_segment_ptr 1
		.amdhsa_user_sgpr_dispatch_id 0
		.amdhsa_user_sgpr_kernarg_preload_length 0
		.amdhsa_user_sgpr_kernarg_preload_offset 0
		.amdhsa_user_sgpr_private_segment_size 0
		.amdhsa_uses_dynamic_stack 0
		.amdhsa_enable_private_segment 0
		.amdhsa_system_sgpr_workgroup_id_x 1
		.amdhsa_system_sgpr_workgroup_id_y 1
		.amdhsa_system_sgpr_workgroup_id_z 1
		.amdhsa_system_sgpr_workgroup_info 0
		.amdhsa_system_vgpr_workitem_id 0
		.amdhsa_next_free_vgpr 17
		.amdhsa_next_free_sgpr 24
		.amdhsa_accum_offset 20
		.amdhsa_reserve_vcc 1
		.amdhsa_float_round_mode_32 0
		.amdhsa_float_round_mode_16_64 0
		.amdhsa_float_denorm_mode_32 3
		.amdhsa_float_denorm_mode_16_64 3
		.amdhsa_dx10_clamp 1
		.amdhsa_ieee_mode 1
		.amdhsa_fp16_overflow 0
		.amdhsa_tg_split 0
		.amdhsa_exception_fp_ieee_invalid_op 0
		.amdhsa_exception_fp_denorm_src 0
		.amdhsa_exception_fp_ieee_div_zero 0
		.amdhsa_exception_fp_ieee_overflow 0
		.amdhsa_exception_fp_ieee_underflow 0
		.amdhsa_exception_fp_ieee_inexact 0
		.amdhsa_exception_int_div_zero 0
	.end_amdhsa_kernel
	.section	.text._ZL33flash_attn_stream_k_fixup_uniformILi256ELi8ELi4EEvPfPK15HIP_vector_typeIfLj2EEiiiiiiS1_IjLj3EES5_S5_,"axG",@progbits,_ZL33flash_attn_stream_k_fixup_uniformILi256ELi8ELi4EEvPfPK15HIP_vector_typeIfLj2EEiiiiiiS1_IjLj3EES5_S5_,comdat
.Lfunc_end15:
	.size	_ZL33flash_attn_stream_k_fixup_uniformILi256ELi8ELi4EEvPfPK15HIP_vector_typeIfLj2EEiiiiiiS1_IjLj3EES5_S5_, .Lfunc_end15-_ZL33flash_attn_stream_k_fixup_uniformILi256ELi8ELi4EEvPfPK15HIP_vector_typeIfLj2EEiiiiiiS1_IjLj3EES5_S5_
                                        ; -- End function
	.set _ZL33flash_attn_stream_k_fixup_uniformILi256ELi8ELi4EEvPfPK15HIP_vector_typeIfLj2EEiiiiiiS1_IjLj3EES5_S5_.num_vgpr, 17
	.set _ZL33flash_attn_stream_k_fixup_uniformILi256ELi8ELi4EEvPfPK15HIP_vector_typeIfLj2EEiiiiiiS1_IjLj3EES5_S5_.num_agpr, 0
	.set _ZL33flash_attn_stream_k_fixup_uniformILi256ELi8ELi4EEvPfPK15HIP_vector_typeIfLj2EEiiiiiiS1_IjLj3EES5_S5_.numbered_sgpr, 24
	.set _ZL33flash_attn_stream_k_fixup_uniformILi256ELi8ELi4EEvPfPK15HIP_vector_typeIfLj2EEiiiiiiS1_IjLj3EES5_S5_.num_named_barrier, 0
	.set _ZL33flash_attn_stream_k_fixup_uniformILi256ELi8ELi4EEvPfPK15HIP_vector_typeIfLj2EEiiiiiiS1_IjLj3EES5_S5_.private_seg_size, 0
	.set _ZL33flash_attn_stream_k_fixup_uniformILi256ELi8ELi4EEvPfPK15HIP_vector_typeIfLj2EEiiiiiiS1_IjLj3EES5_S5_.uses_vcc, 1
	.set _ZL33flash_attn_stream_k_fixup_uniformILi256ELi8ELi4EEvPfPK15HIP_vector_typeIfLj2EEiiiiiiS1_IjLj3EES5_S5_.uses_flat_scratch, 0
	.set _ZL33flash_attn_stream_k_fixup_uniformILi256ELi8ELi4EEvPfPK15HIP_vector_typeIfLj2EEiiiiiiS1_IjLj3EES5_S5_.has_dyn_sized_stack, 0
	.set _ZL33flash_attn_stream_k_fixup_uniformILi256ELi8ELi4EEvPfPK15HIP_vector_typeIfLj2EEiiiiiiS1_IjLj3EES5_S5_.has_recursion, 0
	.set _ZL33flash_attn_stream_k_fixup_uniformILi256ELi8ELi4EEvPfPK15HIP_vector_typeIfLj2EEiiiiiiS1_IjLj3EES5_S5_.has_indirect_call, 0
	.section	.AMDGPU.csdata,"",@progbits
; Kernel info:
; codeLenInByte = 836
; TotalNumSgprs: 30
; NumVgprs: 17
; NumAgprs: 0
; TotalNumVgprs: 17
; ScratchSize: 0
; MemoryBound: 0
; FloatMode: 240
; IeeeMode: 1
; LDSByteSize: 0 bytes/workgroup (compile time only)
; SGPRBlocks: 3
; VGPRBlocks: 2
; NumSGPRsForWavesPerEU: 30
; NumVGPRsForWavesPerEU: 17
; AccumOffset: 20
; Occupancy: 8
; WaveLimiterHint : 0
; COMPUTE_PGM_RSRC2:SCRATCH_EN: 0
; COMPUTE_PGM_RSRC2:USER_SGPR: 2
; COMPUTE_PGM_RSRC2:TRAP_HANDLER: 0
; COMPUTE_PGM_RSRC2:TGID_X_EN: 1
; COMPUTE_PGM_RSRC2:TGID_Y_EN: 1
; COMPUTE_PGM_RSRC2:TGID_Z_EN: 1
; COMPUTE_PGM_RSRC2:TIDIG_COMP_CNT: 0
; COMPUTE_PGM_RSRC3_GFX90A:ACCUM_OFFSET: 4
; COMPUTE_PGM_RSRC3_GFX90A:TG_SPLIT: 0
	.section	.text._ZL33flash_attn_stream_k_fixup_generalILi256ELi8ELi4EEvPfPK15HIP_vector_typeIfLj2EEiiiiS1_IjLj3EES5_S5_S5_,"axG",@progbits,_ZL33flash_attn_stream_k_fixup_generalILi256ELi8ELi4EEvPfPK15HIP_vector_typeIfLj2EEiiiiS1_IjLj3EES5_S5_S5_,comdat
	.globl	_ZL33flash_attn_stream_k_fixup_generalILi256ELi8ELi4EEvPfPK15HIP_vector_typeIfLj2EEiiiiS1_IjLj3EES5_S5_S5_ ; -- Begin function _ZL33flash_attn_stream_k_fixup_generalILi256ELi8ELi4EEvPfPK15HIP_vector_typeIfLj2EEiiiiS1_IjLj3EES5_S5_S5_
	.p2align	8
	.type	_ZL33flash_attn_stream_k_fixup_generalILi256ELi8ELi4EEvPfPK15HIP_vector_typeIfLj2EEiiiiS1_IjLj3EES5_S5_S5_,@function
_ZL33flash_attn_stream_k_fixup_generalILi256ELi8ELi4EEvPfPK15HIP_vector_typeIfLj2EEiiiiS1_IjLj3EES5_S5_S5_: ; @_ZL33flash_attn_stream_k_fixup_generalILi256ELi8ELi4EEvPfPK15HIP_vector_typeIfLj2EEiiiiS1_IjLj3EES5_S5_S5_
; %bb.0:
	s_load_dwordx4 s[8:11], s[0:1], 0x10
	s_load_dword s22, s[0:1], 0x50
	s_mov_b32 s12, 0
	s_waitcnt lgkmcnt(0)
	s_mul_hi_i32 s13, s11, s2
	s_cmp_lg_u64 s[12:13], 0
	s_mul_i32 s5, s11, s2
	s_cbranch_scc0 .LBB16_20
; %bb.1:
	s_add_u32 s6, s22, 0
	s_addc_u32 s7, 0, 0
	s_xor_b64 s[6:7], s[6:7], 0
	v_cvt_f32_u32_e32 v1, s6
	v_cvt_f32_u32_e32 v2, s7
	s_sub_u32 s12, 0, s6
	s_subb_u32 s18, 0, s7
	v_fmamk_f32 v1, v2, 0x4f800000, v1
	v_rcp_f32_e32 v1, v1
	s_nop 0
	v_mul_f32_e32 v1, 0x5f7ffffc, v1
	v_mul_f32_e32 v2, 0x2f800000, v1
	v_trunc_f32_e32 v2, v2
	v_fmamk_f32 v1, v2, 0xcf800000, v1
	v_cvt_u32_f32_e32 v2, v2
	v_cvt_u32_f32_e32 v1, v1
	v_readfirstlane_b32 s19, v2
	v_readfirstlane_b32 s14, v1
	s_mul_i32 s15, s12, s19
	s_mul_hi_u32 s21, s12, s14
	s_mul_i32 s20, s18, s14
	s_add_i32 s15, s21, s15
	s_add_i32 s15, s15, s20
	s_mul_i32 s23, s12, s14
	s_mul_i32 s21, s14, s15
	s_mul_hi_u32 s24, s14, s23
	s_mul_hi_u32 s20, s14, s15
	s_add_u32 s21, s24, s21
	s_addc_u32 s20, 0, s20
	s_mul_hi_u32 s25, s19, s23
	s_mul_i32 s23, s19, s23
	s_add_u32 s21, s21, s23
	s_mul_hi_u32 s24, s19, s15
	s_addc_u32 s20, s20, s25
	s_addc_u32 s21, s24, 0
	s_mul_i32 s15, s19, s15
	s_add_u32 s15, s20, s15
	s_addc_u32 s20, 0, s21
	s_add_u32 s21, s14, s15
	s_cselect_b64 s[14:15], -1, 0
	s_cmp_lg_u64 s[14:15], 0
	s_addc_u32 s19, s19, s20
	s_mul_i32 s14, s12, s19
	s_mul_hi_u32 s15, s12, s21
	s_add_i32 s14, s15, s14
	s_mul_i32 s18, s18, s21
	s_add_i32 s14, s14, s18
	s_mul_i32 s12, s12, s21
	s_mul_hi_u32 s18, s19, s12
	s_mul_i32 s20, s19, s12
	s_mul_i32 s24, s21, s14
	s_mul_hi_u32 s12, s21, s12
	s_mul_hi_u32 s23, s21, s14
	s_add_u32 s12, s12, s24
	s_addc_u32 s23, 0, s23
	s_add_u32 s12, s12, s20
	s_mul_hi_u32 s15, s19, s14
	s_addc_u32 s12, s23, s18
	s_addc_u32 s15, s15, 0
	s_mul_i32 s14, s19, s14
	s_add_u32 s12, s12, s14
	s_addc_u32 s18, 0, s15
	s_add_u32 s20, s21, s12
	s_cselect_b64 s[14:15], -1, 0
	s_cmp_lg_u64 s[14:15], 0
	s_addc_u32 s18, s19, s18
	s_ashr_i32 s14, s13, 31
	s_add_u32 s12, s5, s14
	s_mov_b32 s15, s14
	s_addc_u32 s13, s13, s14
	s_xor_b64 s[12:13], s[12:13], s[14:15]
	s_mul_i32 s21, s12, s18
	s_mul_hi_u32 s23, s12, s20
	s_mul_hi_u32 s19, s12, s18
	s_add_u32 s21, s23, s21
	s_addc_u32 s19, 0, s19
	s_mul_hi_u32 s24, s13, s20
	s_mul_i32 s20, s13, s20
	s_add_u32 s20, s21, s20
	s_mul_hi_u32 s23, s13, s18
	s_addc_u32 s19, s19, s24
	s_addc_u32 s20, s23, 0
	s_mul_i32 s18, s13, s18
	s_add_u32 s23, s19, s18
	s_addc_u32 s24, 0, s20
	s_mul_i32 s18, s6, s24
	s_mul_hi_u32 s19, s6, s23
	s_add_i32 s18, s19, s18
	s_mul_i32 s19, s7, s23
	s_add_i32 s25, s18, s19
	s_sub_i32 s20, s13, s25
	s_mul_i32 s18, s6, s23
	s_sub_u32 s12, s12, s18
	s_cselect_b64 s[18:19], -1, 0
	s_cmp_lg_u64 s[18:19], 0
	s_subb_u32 s26, s20, s7
	s_sub_u32 s27, s12, s6
	s_cselect_b64 s[20:21], -1, 0
	s_cmp_lg_u64 s[20:21], 0
	s_subb_u32 s20, s26, 0
	s_cmp_ge_u32 s20, s7
	s_cselect_b32 s21, -1, 0
	s_cmp_ge_u32 s27, s6
	s_cselect_b32 s26, -1, 0
	s_cmp_eq_u32 s20, s7
	s_cselect_b32 s20, s26, s21
	s_add_u32 s21, s23, 1
	s_addc_u32 s26, s24, 0
	s_add_u32 s27, s23, 2
	s_addc_u32 s28, s24, 0
	s_cmp_lg_u32 s20, 0
	s_cselect_b32 s20, s27, s21
	s_cselect_b32 s21, s28, s26
	s_cmp_lg_u64 s[18:19], 0
	s_subb_u32 s13, s13, s25
	s_cmp_ge_u32 s13, s7
	s_cselect_b32 s18, -1, 0
	s_cmp_ge_u32 s12, s6
	s_cselect_b32 s6, -1, 0
	s_cmp_eq_u32 s13, s7
	s_cselect_b32 s6, s6, s18
	s_cmp_lg_u32 s6, 0
	s_cselect_b32 s7, s21, s24
	s_cselect_b32 s6, s20, s23
	s_xor_b64 s[12:13], s[14:15], 0
	s_xor_b64 s[6:7], s[6:7], s[12:13]
	s_sub_u32 s6, s6, s12
	s_load_dwordx4 s[12:15], s[0:1], 0x44
	s_cbranch_execnz .LBB16_3
.LBB16_2:
	v_cvt_f32_u32_e32 v1, s22
	s_sub_i32 s6, 0, s22
	v_rcp_iflag_f32_e32 v1, v1
	s_nop 0
	v_mul_f32_e32 v1, 0x4f7ffffe, v1
	v_cvt_u32_f32_e32 v1, v1
	s_nop 0
	v_readfirstlane_b32 s7, v1
	s_mul_i32 s6, s6, s7
	s_mul_hi_u32 s6, s7, s6
	s_add_i32 s7, s7, s6
	s_mul_hi_u32 s6, s5, s7
	s_waitcnt lgkmcnt(0)
	s_mul_i32 s15, s6, s22
	s_sub_i32 s5, s5, s15
	s_add_i32 s7, s6, 1
	s_sub_i32 s15, s5, s22
	s_cmp_ge_u32 s5, s22
	s_cselect_b32 s6, s7, s6
	s_cselect_b32 s5, s15, s5
	s_add_i32 s7, s6, 1
	s_cmp_ge_u32 s5, s22
	s_cselect_b32 s6, s7, s6
.LBB16_3:
	s_add_i32 s5, s2, 1
	s_mul_hi_i32 s21, s11, s5
	s_mov_b32 s20, 0
	s_cmp_lg_u64 s[20:21], 0
	s_mul_i32 s5, s11, s5
	s_cbranch_scc0 .LBB16_21
; %bb.4:
	s_add_u32 s16, s22, 0
	s_addc_u32 s17, 0, 0
	s_xor_b64 s[18:19], s[16:17], 0
	v_cvt_f32_u32_e32 v1, s18
	v_cvt_f32_u32_e32 v2, s19
	s_sub_u32 s7, 0, s18
	s_waitcnt lgkmcnt(0)
	s_subb_u32 s15, 0, s19
	v_fmamk_f32 v1, v2, 0x4f800000, v1
	v_rcp_f32_e32 v1, v1
	s_nop 0
	v_mul_f32_e32 v1, 0x5f7ffffc, v1
	v_mul_f32_e32 v2, 0x2f800000, v1
	v_trunc_f32_e32 v2, v2
	v_fmamk_f32 v1, v2, 0xcf800000, v1
	v_cvt_u32_f32_e32 v2, v2
	v_cvt_u32_f32_e32 v1, v1
	v_readfirstlane_b32 s20, v2
	v_readfirstlane_b32 s23, v1
	s_mul_i32 s24, s7, s20
	s_mul_hi_u32 s26, s7, s23
	s_mul_i32 s25, s15, s23
	s_add_i32 s24, s26, s24
	s_add_i32 s24, s24, s25
	s_mul_i32 s27, s7, s23
	s_mul_i32 s26, s23, s24
	s_mul_hi_u32 s28, s23, s27
	s_mul_hi_u32 s25, s23, s24
	s_add_u32 s26, s28, s26
	s_addc_u32 s25, 0, s25
	s_mul_hi_u32 s29, s20, s27
	s_mul_i32 s27, s20, s27
	s_add_u32 s26, s26, s27
	s_mul_hi_u32 s28, s20, s24
	s_addc_u32 s25, s25, s29
	s_addc_u32 s26, s28, 0
	s_mul_i32 s24, s20, s24
	s_add_u32 s24, s25, s24
	s_addc_u32 s26, 0, s26
	s_add_u32 s23, s23, s24
	s_cselect_b64 s[24:25], -1, 0
	s_cmp_lg_u64 s[24:25], 0
	s_addc_u32 s20, s20, s26
	s_mul_i32 s24, s7, s20
	s_mul_hi_u32 s25, s7, s23
	s_add_i32 s24, s25, s24
	s_mul_i32 s15, s15, s23
	s_add_i32 s24, s24, s15
	s_mul_i32 s7, s7, s23
	s_mul_hi_u32 s25, s20, s7
	s_mul_i32 s26, s20, s7
	s_mul_i32 s28, s23, s24
	s_mul_hi_u32 s7, s23, s7
	s_mul_hi_u32 s27, s23, s24
	s_add_u32 s7, s7, s28
	s_addc_u32 s27, 0, s27
	s_add_u32 s7, s7, s26
	s_mul_hi_u32 s15, s20, s24
	s_addc_u32 s7, s27, s25
	s_addc_u32 s15, s15, 0
	s_mul_i32 s24, s20, s24
	s_add_u32 s7, s7, s24
	s_addc_u32 s15, 0, s15
	s_add_u32 s7, s23, s7
	s_cselect_b64 s[24:25], -1, 0
	s_cmp_lg_u64 s[24:25], 0
	s_addc_u32 s15, s20, s15
	s_ashr_i32 s24, s21, 31
	s_add_u32 s20, s5, s24
	s_mov_b32 s25, s24
	s_addc_u32 s21, s21, s24
	s_xor_b64 s[20:21], s[20:21], s[24:25]
	s_mul_i32 s26, s20, s15
	s_mul_hi_u32 s27, s20, s7
	s_mul_hi_u32 s23, s20, s15
	s_add_u32 s26, s27, s26
	s_addc_u32 s23, 0, s23
	s_mul_hi_u32 s28, s21, s7
	s_mul_i32 s7, s21, s7
	s_add_u32 s7, s26, s7
	s_mul_hi_u32 s27, s21, s15
	s_addc_u32 s7, s23, s28
	s_addc_u32 s23, s27, 0
	s_mul_i32 s15, s21, s15
	s_add_u32 s7, s7, s15
	s_addc_u32 s15, 0, s23
	s_mul_i32 s23, s18, s15
	s_mul_hi_u32 s26, s18, s7
	s_add_i32 s23, s26, s23
	s_mul_i32 s26, s19, s7
	s_add_i32 s23, s23, s26
	s_sub_i32 s28, s21, s23
	s_mul_i32 s26, s18, s7
	s_sub_u32 s20, s20, s26
	s_cselect_b64 s[26:27], -1, 0
	s_cmp_lg_u64 s[26:27], 0
	s_subb_u32 s30, s28, s19
	s_sub_u32 s31, s20, s18
	s_cselect_b64 s[28:29], -1, 0
	s_cmp_lg_u64 s[28:29], 0
	s_subb_u32 s28, s30, 0
	s_cmp_ge_u32 s28, s19
	s_cselect_b32 s29, -1, 0
	s_cmp_ge_u32 s31, s18
	s_cselect_b32 s30, -1, 0
	s_cmp_eq_u32 s28, s19
	s_cselect_b32 s28, s30, s29
	s_add_u32 s29, s7, 1
	s_addc_u32 s30, s15, 0
	s_add_u32 s31, s7, 2
	s_addc_u32 s33, s15, 0
	s_cmp_lg_u32 s28, 0
	s_cselect_b32 s28, s31, s29
	s_cselect_b32 s29, s33, s30
	s_cmp_lg_u64 s[26:27], 0
	s_subb_u32 s21, s21, s23
	s_cmp_ge_u32 s21, s19
	s_cselect_b32 s23, -1, 0
	s_cmp_ge_u32 s20, s18
	s_cselect_b32 s18, -1, 0
	s_cmp_eq_u32 s21, s19
	s_cselect_b32 s18, s18, s23
	s_cmp_lg_u32 s18, 0
	s_cselect_b32 s19, s29, s15
	s_cselect_b32 s18, s28, s7
	s_xor_b64 s[20:21], s[24:25], 0
	s_xor_b64 s[18:19], s[18:19], s[20:21]
	s_sub_u32 s18, s18, s20
	s_cbranch_execnz .LBB16_6
.LBB16_5:
	v_cvt_f32_u32_e32 v1, s22
	s_sub_i32 s7, 0, s22
	v_rcp_iflag_f32_e32 v1, v1
	s_nop 0
	v_mul_f32_e32 v1, 0x4f7ffffe, v1
	v_cvt_u32_f32_e32 v1, v1
	s_waitcnt lgkmcnt(0)
	v_readfirstlane_b32 s15, v1
	s_mul_i32 s7, s7, s15
	s_mul_hi_u32 s7, s15, s7
	s_add_i32 s15, s15, s7
	s_mul_hi_u32 s7, s5, s15
	s_mul_i32 s16, s7, s22
	s_sub_i32 s5, s5, s16
	s_add_i32 s15, s7, 1
	s_sub_i32 s16, s5, s22
	s_cmp_ge_u32 s5, s22
	s_cselect_b32 s7, s15, s7
	s_cselect_b32 s5, s16, s5
	s_add_i32 s15, s7, 1
	s_cmp_ge_u32 s5, s22
	s_cselect_b32 s18, s15, s7
.LBB16_6:
	s_cmp_eq_u32 s6, s18
	s_waitcnt lgkmcnt(0)
	s_mul_hi_u32 s5, s6, s12
	s_cselect_b64 s[16:17], -1, 0
	s_add_i32 s5, s5, s6
	s_lshr_b32 s7, s5, s13
	s_mul_i32 s5, s7, s14
	s_cmp_eq_u32 s5, s6
	s_mul_hi_u32 s5, s18, s12
	s_cselect_b64 s[20:21], -1, 0
	s_add_i32 s5, s5, s18
	s_lshr_b32 s5, s5, s13
	s_cmp_eq_u32 s7, s5
	s_mul_i32 s5, s5, s14
	s_cselect_b64 s[24:25], -1, 0
	s_cmp_lg_u32 s5, s18
	s_cselect_b64 s[18:19], -1, 0
	s_and_b64 s[18:19], s[24:25], s[18:19]
	s_or_b64 s[16:17], s[16:17], s[20:21]
	s_or_b64 s[16:17], s[16:17], s[18:19]
	s_and_b64 vcc, exec, s[16:17]
	s_cbranch_vccnz .LBB16_23
; %bb.7:
	s_load_dwordx8 s[24:31], s[0:1], 0x20
	s_load_dword s15, s[0:1], 0x40
	s_waitcnt lgkmcnt(0)
	s_mul_hi_u32 s5, s6, s24
	s_add_i32 s5, s5, s6
	s_lshr_b32 s5, s5, s25
	s_mul_i32 s16, s5, s26
	s_sub_i32 s16, s6, s16
	s_mul_hi_u32 s17, s16, s27
	s_add_i32 s17, s16, s17
	s_lshr_b32 s20, s17, s28
	s_mul_i32 s17, s20, s29
	s_sub_i32 s16, s16, s17
	;; [unrolled: 5-line block ×3, first 2 shown]
	s_mul_hi_u32 s16, s15, s12
	s_add_i32 s15, s15, s16
	s_lshr_b32 s23, s15, s13
	s_lshl_b32 s15, s23, 3
	s_lshl_b32 s21, s17, 2
	s_add_i32 s15, s15, s3
	s_cmp_lt_i32 s15, s8
	s_cselect_b64 s[16:17], -1, 0
	s_add_i32 s15, s21, s4
	s_cmp_lt_i32 s15, s10
	s_cselect_b64 s[18:19], -1, 0
	s_and_b64 s[16:17], s[16:17], s[18:19]
	s_andn2_b64 vcc, exec, s[16:17]
	s_cbranch_vccnz .LBB16_23
; %bb.8:
	s_load_dwordx4 s[16:19], s[0:1], 0x0
	s_mov_b32 s0, 0
	s_lshl_b32 s15, s3, 2
	s_lshl_b32 s24, s22, 7
	s_mov_b32 s25, s0
	s_add_i32 s15, s15, s4
	s_waitcnt lgkmcnt(0)
	v_mov_b32_e32 v2, s16
	v_mov_b32_e32 v3, s17
	s_lshl_b64 s[16:17], s[24:25], 2
	s_add_u32 s16, s18, s16
	s_mul_i32 s1, s5, s8
	s_addc_u32 s17, s19, s17
	s_add_i32 s1, s1, s3
	s_mul_i32 s1, s1, s9
	s_mul_i32 s20, s20, s10
	s_add_i32 s1, s1, s4
	s_add_i32 s1, s1, s20
	s_mul_i32 s5, s9, s23
	s_add_i32 s1, s1, s21
	s_lshl_b32 s5, s5, 11
	s_lshl_b32 s1, s1, 8
	s_add_i32 s5, s5, s1
	v_or_b32_e32 v4, s5, v0
	v_ashrrev_i32_e32 v5, 31, v4
	v_lshl_add_u64 v[2:3], v[4:5], 2, v[2:3]
	global_load_dword v1, v[2:3], off
	v_cvt_f32_u32_e32 v4, s22
	s_lshl_b32 s1, s2, 5
	s_add_i32 s4, s15, s1
	s_ashr_i32 s5, s4, 31
	s_lshl_b64 s[4:5], s[4:5], 3
	v_rcp_iflag_f32_e32 v4, v4
	s_add_u32 s4, s18, s4
	s_addc_u32 s5, s19, s5
	s_load_dwordx2 s[4:5], s[4:5], 0x0
	v_mul_f32_e32 v4, 0x4f7ffffe, v4
	v_cvt_u32_f32_e32 v7, v4
	s_add_i32 s24, s2, -1
	v_lshl_or_b32 v6, s15, 8, v0
	s_waitcnt lgkmcnt(0)
	v_mov_b32_e32 v0, s5
	v_mov_b32_e32 v9, s4
	s_mov_b32 s10, 0x3fb8aa3b
	s_mov_b32 s20, 0xc2ce8ed0
	;; [unrolled: 1-line block ×4, first 2 shown]
	v_mov_b32_e32 v8, 0x7f800000
	s_mul_hi_i32 s1, s24, s11
	s_cmp_lg_u64 s[0:1], 0
	s_mul_i32 s8, s24, s11
	s_cbranch_scc0 .LBB16_19
.LBB16_9:
	s_add_u32 s2, s22, 0
	s_addc_u32 s3, 0, 0
	s_xor_b64 s[2:3], s[2:3], 0
	v_cvt_f32_u32_e32 v4, s2
	v_cvt_f32_u32_e32 v5, s3
	s_sub_u32 s9, 0, s2
	s_subb_u32 s25, 0, s3
	v_fmac_f32_e32 v4, 0x4f800000, v5
	v_rcp_f32_e32 v4, v4
	s_nop 0
	v_mul_f32_e32 v4, 0x5f7ffffc, v4
	v_mul_f32_e32 v5, 0x2f800000, v4
	v_trunc_f32_e32 v5, v5
	v_fmac_f32_e32 v4, 0xcf800000, v5
	v_cvt_u32_f32_e32 v5, v5
	v_cvt_u32_f32_e32 v4, v4
	v_readfirstlane_b32 s26, v5
	v_readfirstlane_b32 s4, v4
	s_mul_i32 s5, s9, s26
	s_mul_hi_u32 s28, s9, s4
	s_mul_i32 s27, s25, s4
	s_add_i32 s5, s28, s5
	s_mul_i32 s29, s9, s4
	s_add_i32 s5, s5, s27
	s_mul_i32 s28, s4, s5
	s_mul_hi_u32 s30, s4, s29
	s_mul_hi_u32 s27, s4, s5
	s_add_u32 s28, s30, s28
	s_addc_u32 s27, 0, s27
	s_mul_hi_u32 s31, s26, s29
	s_mul_i32 s29, s26, s29
	s_add_u32 s28, s28, s29
	s_mul_hi_u32 s30, s26, s5
	s_addc_u32 s27, s27, s31
	s_addc_u32 s28, s30, 0
	s_mul_i32 s5, s26, s5
	s_add_u32 s5, s27, s5
	s_addc_u32 s27, 0, s28
	s_add_u32 s28, s4, s5
	s_cselect_b64 s[4:5], -1, 0
	s_cmp_lg_u64 s[4:5], 0
	s_addc_u32 s26, s26, s27
	s_mul_i32 s4, s9, s26
	s_mul_hi_u32 s5, s9, s28
	s_add_i32 s4, s5, s4
	s_mul_i32 s25, s25, s28
	s_add_i32 s4, s4, s25
	s_mul_i32 s9, s9, s28
	s_mul_hi_u32 s25, s26, s9
	s_mul_i32 s27, s26, s9
	s_mul_i32 s30, s28, s4
	s_mul_hi_u32 s9, s28, s9
	s_mul_hi_u32 s29, s28, s4
	s_add_u32 s9, s9, s30
	s_addc_u32 s29, 0, s29
	s_add_u32 s9, s9, s27
	s_mul_hi_u32 s5, s26, s4
	s_addc_u32 s9, s29, s25
	s_addc_u32 s5, s5, 0
	s_mul_i32 s4, s26, s4
	s_add_u32 s4, s9, s4
	s_addc_u32 s9, 0, s5
	s_add_u32 s25, s28, s4
	s_cselect_b64 s[4:5], -1, 0
	s_cmp_lg_u64 s[4:5], 0
	s_addc_u32 s9, s26, s9
	s_ashr_i32 s4, s1, 31
	s_add_u32 s26, s8, s4
	s_mov_b32 s5, s4
	s_addc_u32 s27, s1, s4
	s_xor_b64 s[26:27], s[26:27], s[4:5]
	s_mul_i32 s28, s26, s9
	s_mul_hi_u32 s29, s26, s25
	s_mul_hi_u32 s1, s26, s9
	s_add_u32 s28, s29, s28
	s_addc_u32 s1, 0, s1
	s_mul_hi_u32 s30, s27, s25
	s_mul_i32 s25, s27, s25
	s_add_u32 s25, s28, s25
	s_mul_hi_u32 s29, s27, s9
	s_addc_u32 s1, s1, s30
	s_addc_u32 s25, s29, 0
	s_mul_i32 s9, s27, s9
	s_add_u32 s1, s1, s9
	s_addc_u32 s9, 0, s25
	s_mul_i32 s25, s2, s9
	s_mul_hi_u32 s28, s2, s1
	s_add_i32 s25, s28, s25
	s_mul_i32 s28, s3, s1
	s_add_i32 s25, s25, s28
	s_sub_i32 s30, s27, s25
	s_mul_i32 s28, s2, s1
	s_sub_u32 s26, s26, s28
	s_cselect_b64 s[28:29], -1, 0
	s_cmp_lg_u64 s[28:29], 0
	s_subb_u32 s33, s30, s3
	s_sub_u32 s34, s26, s2
	s_cselect_b64 s[30:31], -1, 0
	s_cmp_lg_u64 s[30:31], 0
	s_subb_u32 s30, s33, 0
	s_cmp_ge_u32 s30, s3
	s_cselect_b32 s31, -1, 0
	s_cmp_ge_u32 s34, s2
	s_cselect_b32 s33, -1, 0
	s_cmp_eq_u32 s30, s3
	s_cselect_b32 s30, s33, s31
	s_add_u32 s31, s1, 1
	s_addc_u32 s33, s9, 0
	s_add_u32 s34, s1, 2
	s_addc_u32 s35, s9, 0
	s_cmp_lg_u32 s30, 0
	s_cselect_b32 s30, s34, s31
	s_cselect_b32 s31, s35, s33
	s_cmp_lg_u64 s[28:29], 0
	s_subb_u32 s25, s27, s25
	s_cmp_ge_u32 s25, s3
	s_cselect_b32 s27, -1, 0
	s_cmp_ge_u32 s26, s2
	s_cselect_b32 s2, -1, 0
	s_cmp_eq_u32 s25, s3
	s_cselect_b32 s2, s2, s27
	s_cmp_lg_u32 s2, 0
	s_cselect_b32 s3, s31, s9
	s_cselect_b32 s2, s30, s1
	s_xor_b64 s[4:5], s[4:5], 0
	s_xor_b64 s[2:3], s[2:3], s[4:5]
	s_sub_u32 s4, s2, s4
	s_cbranch_execnz .LBB16_11
.LBB16_10:
	s_sub_i32 s1, 0, s22
	v_readfirstlane_b32 s2, v7
	s_mul_i32 s1, s1, s2
	s_mul_hi_u32 s1, s2, s1
	s_add_i32 s2, s2, s1
	s_mul_hi_u32 s1, s8, s2
	s_mul_i32 s3, s1, s22
	s_sub_i32 s3, s8, s3
	s_add_i32 s2, s1, 1
	s_sub_i32 s4, s3, s22
	s_cmp_ge_u32 s3, s22
	s_cselect_b32 s1, s2, s1
	s_cselect_b32 s3, s4, s3
	s_add_i32 s2, s1, 1
	s_cmp_ge_u32 s3, s22
	s_cselect_b32 s4, s2, s1
.LBB16_11:
	s_cmp_lg_u32 s6, s4
	s_cbranch_scc0 .LBB16_15
; %bb.12:
	s_add_i32 s1, s24, s22
	s_lshl_b32 s1, s1, 5
	s_add_i32 s2, s1, s15
	s_mov_b32 s3, s0
	s_lshl_b64 s[2:3], s[2:3], 3
	s_add_u32 s8, s18, s2
	s_mul_hi_u32 s1, s4, s12
	s_addc_u32 s9, s19, s3
	s_add_i32 s1, s1, s4
	s_lshr_b32 s1, s1, s13
	s_mul_i32 s2, s1, s14
	s_cmp_eq_u32 s2, s4
	s_cselect_b64 s[2:3], -1, 0
	s_cmp_lt_u32 s1, s7
	s_cselect_b64 s[26:27], -1, 0
	s_or_b64 s[26:27], s[26:27], s[2:3]
	s_mov_b64 s[2:3], -1
	s_and_b64 vcc, exec, s[26:27]
	s_mov_b32 s1, s24
	s_mov_b32 s25, s6
	s_cbranch_vccnz .LBB16_14
; %bb.13:
	s_add_i32 s1, s24, -1
	s_mov_b64 s[2:3], 0
	s_mov_b32 s25, s4
.LBB16_14:
	v_lshl_add_u32 v4, s24, 13, v6
	v_ashrrev_i32_e32 v5, 31, v4
	v_lshl_add_u64 v[4:5], v[4:5], 2, s[16:17]
	global_load_dword v5, v[4:5], off
	s_load_dwordx2 s[4:5], s[8:9], 0x0
	v_max_f32_e32 v4, v9, v9
	s_waitcnt lgkmcnt(0)
	v_max_f32_e64 v10, s4, s4
	v_max_f32_e32 v10, v4, v10
	v_sub_f32_e32 v11, v9, v10
	v_sub_f32_e32 v13, s4, v10
	v_mul_f32_e32 v4, 0x3fb8aa3b, v11
	v_mul_f32_e32 v12, 0x3fb8aa3b, v13
	v_fma_f32 v14, v11, s10, -v4
	v_rndne_f32_e32 v15, v4
	v_fma_f32 v16, v13, s10, -v12
	v_rndne_f32_e32 v17, v12
	v_fmac_f32_e32 v14, 0x32a5705f, v11
	v_sub_f32_e32 v4, v4, v15
	v_fmac_f32_e32 v16, 0x32a5705f, v13
	v_sub_f32_e32 v12, v12, v17
	v_add_f32_e32 v4, v4, v14
	v_cvt_i32_f32_e32 v15, v15
	v_add_f32_e32 v12, v12, v16
	v_exp_f32_e32 v14, v4
	v_cvt_i32_f32_e32 v17, v17
	v_exp_f32_e32 v12, v12
	v_cmp_ngt_f32_e32 vcc, s20, v11
	v_ldexp_f32 v14, v14, v15
	v_mov_b32_e32 v4, s5
	v_ldexp_f32 v12, v12, v17
	v_cndmask_b32_e32 v14, 0, v14, vcc
	v_cmp_ngt_f32_e32 vcc, s20, v13
	s_nop 1
	v_cndmask_b32_e32 v12, 0, v12, vcc
	v_cmp_nlt_f32_e32 vcc, s21, v11
	s_nop 1
	v_cndmask_b32_e32 v14, v8, v14, vcc
	v_cmp_nlt_f32_e32 vcc, s21, v13
	s_nop 1
	v_cndmask_b32_e32 v15, v8, v12, vcc
	v_cmp_le_f32_e32 vcc, s23, v11
	s_nop 1
	v_cndmask_b32_e32 v12, 0, v14, vcc
	v_cmp_le_f32_e32 vcc, s23, v13
	s_nop 1
	v_cndmask_b32_e32 v14, 0, v15, vcc
	s_waitcnt vmcnt(0)
	v_pk_mul_f32 v[4:5], v[4:5], v[14:15] op_sel_hi:[1,0]
	s_nop 0
	v_pk_fma_f32 v[4:5], v[0:1], v[12:13], v[4:5] op_sel_hi:[1,0,1]
	s_cbranch_execz .LBB16_16
	s_branch .LBB16_17
.LBB16_15:
                                        ; implicit-def: $vgpr4_vgpr5
                                        ; implicit-def: $sgpr2_sgpr3
                                        ; implicit-def: $vgpr10
                                        ; implicit-def: $sgpr1
                                        ; implicit-def: $sgpr25
.LBB16_16:
	s_add_i32 s1, s24, -1
	s_mov_b64 s[2:3], 0
	s_mov_b32 s25, s6
	v_mov_b32_e32 v10, v9
	s_waitcnt vmcnt(0)
	v_mov_b64_e32 v[4:5], v[0:1]
.LBB16_17:
	s_andn2_b64 vcc, exec, s[2:3]
	s_cbranch_vccz .LBB16_22
; %bb.18:
	s_mov_b32 s6, s25
	s_mov_b32 s24, s1
	v_mov_b32_e32 v9, v10
	s_waitcnt vmcnt(0)
	v_mov_b64_e32 v[0:1], v[4:5]
	s_mul_hi_i32 s1, s24, s11
	s_cmp_lg_u64 s[0:1], 0
	s_mul_i32 s8, s24, s11
	s_cbranch_scc1 .LBB16_9
.LBB16_19:
                                        ; implicit-def: $sgpr4_sgpr5
	s_branch .LBB16_10
.LBB16_20:
                                        ; implicit-def: $sgpr6_sgpr7
	s_load_dwordx4 s[12:15], s[0:1], 0x44
	s_branch .LBB16_2
.LBB16_21:
                                        ; implicit-def: $sgpr18_sgpr19
	s_branch .LBB16_5
.LBB16_22:
	v_div_scale_f32 v0, s[0:1], v4, v4, v5
	s_waitcnt vmcnt(0)
	v_rcp_f32_e32 v1, v0
	v_div_scale_f32 v6, vcc, v5, v4, v5
	v_fma_f32 v7, -v0, v1, 1.0
	v_fmac_f32_e32 v1, v7, v1
	v_mul_f32_e32 v7, v6, v1
	v_fma_f32 v8, -v0, v7, v6
	v_fmac_f32_e32 v7, v8, v1
	v_fma_f32 v0, -v0, v7, v6
	v_div_fmas_f32 v0, v0, v1, v7
	v_div_fixup_f32 v0, v0, v4, v5
	global_store_dword v[2:3], v0, off
.LBB16_23:
	s_endpgm
	.section	.rodata,"a",@progbits
	.p2align	6, 0x0
	.amdhsa_kernel _ZL33flash_attn_stream_k_fixup_generalILi256ELi8ELi4EEvPfPK15HIP_vector_typeIfLj2EEiiiiS1_IjLj3EES5_S5_S5_
		.amdhsa_group_segment_fixed_size 0
		.amdhsa_private_segment_fixed_size 0
		.amdhsa_kernarg_size 336
		.amdhsa_user_sgpr_count 2
		.amdhsa_user_sgpr_dispatch_ptr 0
		.amdhsa_user_sgpr_queue_ptr 0
		.amdhsa_user_sgpr_kernarg_segment_ptr 1
		.amdhsa_user_sgpr_dispatch_id 0
		.amdhsa_user_sgpr_kernarg_preload_length 0
		.amdhsa_user_sgpr_kernarg_preload_offset 0
		.amdhsa_user_sgpr_private_segment_size 0
		.amdhsa_uses_dynamic_stack 0
		.amdhsa_enable_private_segment 0
		.amdhsa_system_sgpr_workgroup_id_x 1
		.amdhsa_system_sgpr_workgroup_id_y 1
		.amdhsa_system_sgpr_workgroup_id_z 1
		.amdhsa_system_sgpr_workgroup_info 0
		.amdhsa_system_vgpr_workitem_id 0
		.amdhsa_next_free_vgpr 18
		.amdhsa_next_free_sgpr 36
		.amdhsa_accum_offset 20
		.amdhsa_reserve_vcc 1
		.amdhsa_float_round_mode_32 0
		.amdhsa_float_round_mode_16_64 0
		.amdhsa_float_denorm_mode_32 3
		.amdhsa_float_denorm_mode_16_64 3
		.amdhsa_dx10_clamp 1
		.amdhsa_ieee_mode 1
		.amdhsa_fp16_overflow 0
		.amdhsa_tg_split 0
		.amdhsa_exception_fp_ieee_invalid_op 0
		.amdhsa_exception_fp_denorm_src 0
		.amdhsa_exception_fp_ieee_div_zero 0
		.amdhsa_exception_fp_ieee_overflow 0
		.amdhsa_exception_fp_ieee_underflow 0
		.amdhsa_exception_fp_ieee_inexact 0
		.amdhsa_exception_int_div_zero 0
	.end_amdhsa_kernel
	.section	.text._ZL33flash_attn_stream_k_fixup_generalILi256ELi8ELi4EEvPfPK15HIP_vector_typeIfLj2EEiiiiS1_IjLj3EES5_S5_S5_,"axG",@progbits,_ZL33flash_attn_stream_k_fixup_generalILi256ELi8ELi4EEvPfPK15HIP_vector_typeIfLj2EEiiiiS1_IjLj3EES5_S5_S5_,comdat
.Lfunc_end16:
	.size	_ZL33flash_attn_stream_k_fixup_generalILi256ELi8ELi4EEvPfPK15HIP_vector_typeIfLj2EEiiiiS1_IjLj3EES5_S5_S5_, .Lfunc_end16-_ZL33flash_attn_stream_k_fixup_generalILi256ELi8ELi4EEvPfPK15HIP_vector_typeIfLj2EEiiiiS1_IjLj3EES5_S5_S5_
                                        ; -- End function
	.set _ZL33flash_attn_stream_k_fixup_generalILi256ELi8ELi4EEvPfPK15HIP_vector_typeIfLj2EEiiiiS1_IjLj3EES5_S5_S5_.num_vgpr, 18
	.set _ZL33flash_attn_stream_k_fixup_generalILi256ELi8ELi4EEvPfPK15HIP_vector_typeIfLj2EEiiiiS1_IjLj3EES5_S5_S5_.num_agpr, 0
	.set _ZL33flash_attn_stream_k_fixup_generalILi256ELi8ELi4EEvPfPK15HIP_vector_typeIfLj2EEiiiiS1_IjLj3EES5_S5_S5_.numbered_sgpr, 36
	.set _ZL33flash_attn_stream_k_fixup_generalILi256ELi8ELi4EEvPfPK15HIP_vector_typeIfLj2EEiiiiS1_IjLj3EES5_S5_S5_.num_named_barrier, 0
	.set _ZL33flash_attn_stream_k_fixup_generalILi256ELi8ELi4EEvPfPK15HIP_vector_typeIfLj2EEiiiiS1_IjLj3EES5_S5_S5_.private_seg_size, 0
	.set _ZL33flash_attn_stream_k_fixup_generalILi256ELi8ELi4EEvPfPK15HIP_vector_typeIfLj2EEiiiiS1_IjLj3EES5_S5_S5_.uses_vcc, 1
	.set _ZL33flash_attn_stream_k_fixup_generalILi256ELi8ELi4EEvPfPK15HIP_vector_typeIfLj2EEiiiiS1_IjLj3EES5_S5_S5_.uses_flat_scratch, 0
	.set _ZL33flash_attn_stream_k_fixup_generalILi256ELi8ELi4EEvPfPK15HIP_vector_typeIfLj2EEiiiiS1_IjLj3EES5_S5_S5_.has_dyn_sized_stack, 0
	.set _ZL33flash_attn_stream_k_fixup_generalILi256ELi8ELi4EEvPfPK15HIP_vector_typeIfLj2EEiiiiS1_IjLj3EES5_S5_S5_.has_recursion, 0
	.set _ZL33flash_attn_stream_k_fixup_generalILi256ELi8ELi4EEvPfPK15HIP_vector_typeIfLj2EEiiiiS1_IjLj3EES5_S5_S5_.has_indirect_call, 0
	.section	.AMDGPU.csdata,"",@progbits
; Kernel info:
; codeLenInByte = 2940
; TotalNumSgprs: 42
; NumVgprs: 18
; NumAgprs: 0
; TotalNumVgprs: 18
; ScratchSize: 0
; MemoryBound: 0
; FloatMode: 240
; IeeeMode: 1
; LDSByteSize: 0 bytes/workgroup (compile time only)
; SGPRBlocks: 5
; VGPRBlocks: 2
; NumSGPRsForWavesPerEU: 42
; NumVGPRsForWavesPerEU: 18
; AccumOffset: 20
; Occupancy: 8
; WaveLimiterHint : 0
; COMPUTE_PGM_RSRC2:SCRATCH_EN: 0
; COMPUTE_PGM_RSRC2:USER_SGPR: 2
; COMPUTE_PGM_RSRC2:TRAP_HANDLER: 0
; COMPUTE_PGM_RSRC2:TGID_X_EN: 1
; COMPUTE_PGM_RSRC2:TGID_Y_EN: 1
; COMPUTE_PGM_RSRC2:TGID_Z_EN: 1
; COMPUTE_PGM_RSRC2:TIDIG_COMP_CNT: 0
; COMPUTE_PGM_RSRC3_GFX90A:ACCUM_OFFSET: 4
; COMPUTE_PGM_RSRC3_GFX90A:TG_SPLIT: 0
	.section	.text._ZL15flash_attn_tileILi256ELi256ELi4ELi4ELb0EEvPKcS1_S1_S1_S1_PKiPfP15HIP_vector_typeIfLj2EEffffjfiS5_IjLj3EEiiiiiiiiiiiliiliiiiil,"axG",@progbits,_ZL15flash_attn_tileILi256ELi256ELi4ELi4ELb0EEvPKcS1_S1_S1_S1_PKiPfP15HIP_vector_typeIfLj2EEffffjfiS5_IjLj3EEiiiiiiiiiiiliiliiiiil,comdat
	.globl	_ZL15flash_attn_tileILi256ELi256ELi4ELi4ELb0EEvPKcS1_S1_S1_S1_PKiPfP15HIP_vector_typeIfLj2EEffffjfiS5_IjLj3EEiiiiiiiiiiiliiliiiiil ; -- Begin function _ZL15flash_attn_tileILi256ELi256ELi4ELi4ELb0EEvPKcS1_S1_S1_S1_PKiPfP15HIP_vector_typeIfLj2EEffffjfiS5_IjLj3EEiiiiiiiiiiiliiliiiiil
	.p2align	8
	.type	_ZL15flash_attn_tileILi256ELi256ELi4ELi4ELb0EEvPKcS1_S1_S1_S1_PKiPfP15HIP_vector_typeIfLj2EEffffjfiS5_IjLj3EEiiiiiiiiiiiliiliiiiil,@function
_ZL15flash_attn_tileILi256ELi256ELi4ELi4ELb0EEvPKcS1_S1_S1_S1_PKiPfP15HIP_vector_typeIfLj2EEffffjfiS5_IjLj3EEiiiiiiiiiiiliiliiiiil: ; @_ZL15flash_attn_tileILi256ELi256ELi4ELi4ELb0EEvPKcS1_S1_S1_S1_PKiPfP15HIP_vector_typeIfLj2EEffffjfiS5_IjLj3EEiiiiiiiiiiiliiliiiiil
; %bb.0:
	s_load_dwordx4 s[20:23], s[0:1], 0x5c
	s_load_dwordx2 s[24:25], s[0:1], 0x80
	s_load_dwordx2 s[28:29], s[0:1], 0xb8
	s_mov_b64 s[26:27], 0
	s_waitcnt lgkmcnt(0)
	s_ashr_i32 s5, s23, 31
	s_lshr_b32 s5, s5, 30
	s_add_i32 s5, s23, s5
	s_ashr_i32 s5, s5, 2
	v_cvt_f32_u32_e32 v1, s5
	s_sub_i32 s6, 0, s5
	v_rcp_iflag_f32_e32 v1, v1
	s_nop 0
	v_mul_f32_e32 v1, 0x4f7ffffe, v1
	v_cvt_u32_f32_e32 v1, v1
	s_nop 0
	v_readfirstlane_b32 s7, v1
	s_mul_i32 s6, s6, s7
	s_mul_hi_u32 s6, s7, s6
	s_add_i32 s7, s7, s6
	s_mul_hi_u32 s6, s4, s7
	s_mul_i32 s7, s6, s5
	s_sub_i32 s7, s4, s7
	s_add_i32 s8, s6, 1
	s_sub_i32 s9, s7, s5
	s_cmp_ge_u32 s7, s5
	s_cselect_b32 s6, s8, s6
	s_cselect_b32 s7, s9, s7
	s_add_i32 s8, s6, 1
	s_cmp_ge_u32 s7, s5
	s_cselect_b32 s30, s8, s6
	s_abs_i32 s5, s25
	v_cvt_f32_u32_e32 v1, s5
	s_lshl_b32 s4, s4, 2
	s_mul_i32 s8, s30, s23
	s_xor_b32 s6, s23, s25
	v_rcp_iflag_f32_e32 v1, v1
	s_sub_i32 s9, 0, s5
	s_sub_i32 s25, s4, s8
	s_abs_i32 s7, s23
	v_mul_f32_e32 v1, 0x4f7ffffe, v1
	v_cvt_u32_f32_e32 v1, v1
	s_ashr_i32 s6, s6, 31
	v_readfirstlane_b32 s4, v1
	s_mul_i32 s9, s9, s4
	s_mul_hi_u32 s8, s4, s9
	s_add_i32 s4, s4, s8
	s_mul_hi_u32 s4, s7, s4
	s_mul_i32 s8, s4, s5
	s_sub_i32 s7, s7, s8
	s_add_i32 s9, s4, 1
	s_sub_i32 s8, s7, s5
	s_cmp_ge_u32 s7, s5
	s_cselect_b32 s4, s9, s4
	s_cselect_b32 s7, s8, s7
	s_add_i32 s8, s4, 1
	s_cmp_ge_u32 s7, s5
	s_cselect_b32 s4, s8, s4
	s_xor_b32 s4, s4, s6
	s_sub_i32 s33, s4, s6
	s_abs_i32 s31, s33
	v_cvt_f32_u32_e32 v1, s31
	s_load_dwordx16 s[4:19], s[0:1], 0x0
	v_rcp_iflag_f32_e32 v1, v1
	s_waitcnt lgkmcnt(0)
	s_cmp_eq_u64 s[10:11], 0
	v_mul_f32_e32 v1, 0x4f7ffffe, v1
	v_cvt_u32_f32_e32 v1, v1
	s_nop 0
	v_readfirstlane_b32 s34, v1
	s_cbranch_scc1 .LBB17_2
; %bb.1:
	s_abs_i32 s28, s28
	v_cvt_f32_u32_e32 v1, s28
	s_sub_i32 s37, 0, s28
	s_abs_i32 s36, s30
	s_ashr_i32 s35, s30, 31
	v_rcp_iflag_f32_e32 v1, v1
	s_load_dwordx2 s[26:27], s[0:1], 0xc8
	v_mul_f32_e32 v1, 0x4f7ffffe, v1
	v_cvt_u32_f32_e32 v1, v1
	s_nop 0
	v_readfirstlane_b32 s38, v1
	s_mul_i32 s37, s37, s38
	s_mul_hi_u32 s37, s38, s37
	s_add_i32 s38, s38, s37
	s_mul_hi_u32 s37, s36, s38
	s_mul_i32 s37, s37, s28
	s_sub_i32 s36, s36, s37
	s_sub_i32 s37, s36, s28
	s_cmp_ge_u32 s36, s28
	s_cselect_b32 s36, s37, s36
	s_sub_i32 s37, s36, s28
	s_cmp_ge_u32 s36, s28
	s_cselect_b32 s28, s37, s36
	s_xor_b32 s28, s28, s35
	s_sub_i32 s28, s28, s35
	s_ashr_i32 s35, s28, 31
	s_waitcnt lgkmcnt(0)
	s_mul_hi_u32 s36, s26, s28
	s_mul_i32 s35, s26, s35
	s_mul_i32 s27, s27, s28
	s_add_i32 s35, s36, s35
	s_add_i32 s35, s35, s27
	s_mul_i32 s26, s26, s28
	s_add_u32 s26, s10, s26
	s_addc_u32 s27, s11, s35
.LBB17_2:
	s_load_dwordx4 s[36:39], s[0:1], 0x70
	v_lshrrev_b32_e32 v3, 10, v0
	v_bfe_u32 v3, v3, 1, 9
	v_lshl_add_u32 v9, s2, 2, v3
	v_mul_hi_u32 v3, s20, v9
	s_waitcnt lgkmcnt(0)
	s_mul_i32 s10, s30, s38
	s_ashr_i32 s28, s10, 31
	s_mul_i32 s11, s25, s37
	s_add_u32 s4, s4, s10
	s_addc_u32 s5, s5, s28
	s_ashr_i32 s10, s11, 31
	v_add_u32_e32 v3, v9, v3
	s_add_u32 s4, s4, s11
	v_lshrrev_b32_e32 v3, s21, v3
	s_addc_u32 s5, s5, s10
	s_ashr_i32 s11, s37, 31
	s_mov_b32 s10, s37
	v_mul_lo_u32 v3, v3, s22
	s_ashr_i32 s37, s36, 31
	v_sub_u32_e32 v3, v9, v3
	s_lshr_b64 s[20:21], s[36:37], 2
	v_mad_u64_u32 v[4:5], s[20:21], s20, v3, 0
	s_lshr_b64 s[38:39], s[10:11], 2
	v_mov_b32_e32 v6, v5
	s_lshr_b32 s10, s37, 2
	v_bfe_u32 v1, v0, 10, 10
	v_mad_u64_u32 v[6:7], s[20:21], s10, v3, v[6:7]
	v_lshlrev_b32_e32 v2, 1, v1
	v_mov_b32_e32 v5, v6
	v_and_b32_e32 v8, 0x3ff, v0
	v_mov_b32_e32 v7, 0
	v_lshl_add_u64 v[4:5], v[4:5], 2, s[4:5]
	v_lshlrev_b32_e32 v6, 4, v8
	v_and_b32_e32 v32, 2, v2
	s_lshr_b32 s10, s11, 2
	v_lshl_add_u64 v[14:15], v[4:5], 0, v[6:7]
	v_mul_lo_u32 v0, s10, v32
	v_mad_u64_u32 v[4:5], s[4:5], s38, v32, 0
	v_or_b32_e32 v5, v5, v0
	v_lshl_add_u64 v[16:17], v[4:5], 2, v[14:15]
	v_bitop3_b32 v18, v2, 3, 1 bitop3:0xc8
	global_load_dwordx4 v[4:7], v[16:17], off
	global_load_dwordx4 v[10:13], v[16:17], off offset:512
	v_mad_u64_u32 v[16:17], s[4:5], s38, v18, 0
	v_mov_b32_e32 v0, v17
	v_mad_u64_u32 v[18:19], s[4:5], s10, v18, v[0:1]
	v_mov_b32_e32 v17, v18
	v_lshl_add_u64 v[22:23], v[16:17], 2, v[14:15]
	global_load_dwordx4 v[14:17], v[22:23], off
	global_load_dwordx4 v[18:21], v[22:23], off offset:512
	s_load_dword s4, s[0:1], 0x40
	v_lshlrev_b32_e32 v34, 3, v8
	v_lshlrev_b32_e32 v0, 10, v1
	v_add_u32_e32 v22, 0x2200, v34
	v_add_u32_e32 v24, v22, v0
	v_or_b32_e32 v23, 1, v2
	v_lshl_add_u32 v22, v23, 9, v22
	s_cmp_eq_u64 s[14:15], 0
	s_waitcnt vmcnt(3) lgkmcnt(0)
	v_fma_mixlo_f16 v4, s4, v4, 0
	v_fma_mixlo_f16 v5, s4, v5, 0
	;; [unrolled: 1-line block ×4, first 2 shown]
	s_waitcnt vmcnt(2)
	v_fma_mixlo_f16 v10, s4, v10, 0
	v_fma_mixlo_f16 v11, s4, v11, 0
	;; [unrolled: 1-line block ×4, first 2 shown]
	v_lshlrev_b32_e32 v5, 16, v5
	v_and_b32_e32 v4, 0xffff, v4
	v_lshlrev_b32_e32 v7, 16, v7
	v_and_b32_e32 v6, 0xffff, v6
	;; [unrolled: 2-line block ×3, first 2 shown]
	s_waitcnt vmcnt(1)
	v_fma_mixlo_f16 v14, s4, v14, 0
	v_fma_mixlo_f16 v15, s4, v15, 0
	s_waitcnt vmcnt(0)
	v_fma_mixlo_f16 v18, s4, v18, 0
	v_fma_mixlo_f16 v19, s4, v19, 0
	v_lshlrev_b32_e32 v13, 16, v13
	v_and_b32_e32 v12, 0xffff, v12
	v_or_b32_e32 v4, v5, v4
	v_or3_b32 v5, v7, v6, 0
	v_or_b32_e32 v6, v11, v10
	v_fma_mixlo_f16 v16, s4, v16, 0
	v_fma_mixlo_f16 v17, s4, v17, 0
	;; [unrolled: 1-line block ×4, first 2 shown]
	v_lshlrev_b32_e32 v15, 16, v15
	v_and_b32_e32 v14, 0xffff, v14
	v_lshlrev_b32_e32 v19, 16, v19
	v_and_b32_e32 v18, 0xffff, v18
	v_or3_b32 v7, v13, v12, 0
	v_or3_b32 v4, 0, 0, v4
	;; [unrolled: 1-line block ×3, first 2 shown]
	v_lshlrev_b32_e32 v17, 16, v17
	v_and_b32_e32 v16, 0xffff, v16
	v_lshlrev_b32_e32 v21, 16, v21
	v_or_b32_e32 v10, v15, v14
	v_or_b32_e32 v12, v19, v18
	ds_write2_b64 v24, v[4:5], v[6:7] offset1:32
	v_and_b32_e32 v4, 0xffff, v20
	v_or3_b32 v11, v17, v16, 0
	v_or3_b32 v10, 0, 0, v10
	;; [unrolled: 1-line block ×4, first 2 shown]
	ds_write2_b64 v22, v[10:11], v[4:5] offset1:32
	s_waitcnt lgkmcnt(0)
	s_barrier
	s_cbranch_scc1 .LBB17_4
; %bb.3:
	s_load_dword s4, s[0:1], 0xd0
	s_mov_b32 s5, 0
	s_waitcnt lgkmcnt(0)
	s_mul_i32 s4, s4, s30
	s_add_i32 s4, s4, s2
	s_lshl_b64 s[4:5], s[4:5], 2
	s_add_u32 s4, s14, s4
	s_addc_u32 s5, s15, s5
	s_load_dword s24, s[4:5], 0x0
.LBB17_4:
	s_lshl_b32 s2, s3, 5
	v_lshlrev_b32_e32 v33, 2, v8
	s_waitcnt lgkmcnt(0)
	s_cmp_lt_i32 s2, s24
	v_mbcnt_lo_u32_b32 v5, -1, 0
	s_cbranch_scc1 .LBB17_7
; %bb.5:
	v_mbcnt_hi_u32_b32 v19, -1, v5
	v_and_b32_e32 v4, 0x60, v19
	v_add_u32_e32 v35, 32, v4
	v_xor_b32_e32 v40, 16, v19
	v_xor_b32_e32 v39, 8, v19
	;; [unrolled: 1-line block ×5, first 2 shown]
	s_cbranch_execz .LBB17_8
; %bb.6:
	v_mov_b32_e32 v11, 0
	v_mov_b32_e32 v5, 0xfeffffff
	;; [unrolled: 1-line block ×12, first 2 shown]
	s_branch .LBB17_10
.LBB17_7:
                                        ; implicit-def: $vgpr19
                                        ; implicit-def: $vgpr35
                                        ; implicit-def: $vgpr40
                                        ; implicit-def: $vgpr39
                                        ; implicit-def: $vgpr38
                                        ; implicit-def: $vgpr37
                                        ; implicit-def: $vgpr36
.LBB17_8:
	s_sub_i32 s4, 0, s31
	s_mul_i32 s4, s4, s34
	s_mul_hi_u32 s4, s34, s4
	s_add_i32 s34, s34, s4
	s_load_dwordx2 s[4:5], s[0:1], 0x8c
	s_load_dwordx4 s[36:39], s[0:1], 0x98
	s_abs_i32 s20, s25
	s_mul_hi_u32 s21, s20, s34
	s_ashr_i32 s34, s29, 1
	s_waitcnt lgkmcnt(0)
	s_ashr_i32 s15, s4, 2
	s_ashr_i32 s4, s30, 31
	s_mul_hi_u32 s29, s36, s30
	s_mul_i32 s35, s36, s4
	s_add_i32 s29, s29, s35
	s_mul_i32 s35, s37, s30
	s_ashr_i32 s28, s25, 31
	s_ashr_i32 s33, s33, 31
	;; [unrolled: 1-line block ×3, first 2 shown]
	s_add_i32 s29, s29, s35
	s_mul_i32 s35, s36, s30
	s_add_u32 s6, s6, s35
	s_addc_u32 s7, s7, s29
	s_mul_i32 s29, s21, s31
	s_sub_i32 s20, s20, s29
	s_xor_b32 s28, s28, s33
	s_add_i32 s29, s21, 1
	s_sub_i32 s33, s20, s31
	s_cmp_ge_u32 s20, s31
	s_cselect_b32 s21, s29, s21
	s_cselect_b32 s20, s33, s20
	s_add_i32 s29, s21, 1
	s_cmp_ge_u32 s20, s31
	s_load_dwordx2 s[10:11], s[0:1], 0xa8
	s_cselect_b32 s20, s29, s21
	s_xor_b32 s20, s20, s28
	s_sub_i32 s28, s20, s28
	s_mul_i32 s5, s28, s5
	s_ashr_i32 s21, s5, 31
	s_add_u32 s20, s6, s5
	s_waitcnt lgkmcnt(0)
	s_mul_hi_u32 s5, s10, s30
	s_mul_i32 s4, s10, s4
	s_addc_u32 s21, s7, s21
	s_add_i32 s4, s5, s4
	s_mul_i32 s5, s11, s30
	s_add_i32 s4, s4, s5
	s_mul_i32 s5, s10, s30
	s_add_u32 s5, s8, s5
	s_mul_i32 s28, s28, s39
	s_addc_u32 s4, s9, s4
	s_ashr_i32 s6, s28, 31
	v_lshrrev_b32_e32 v4, 4, v8
	s_add_u32 s28, s5, s28
	v_add_u32_e32 v4, v4, v2
	v_and_b32_e32 v2, 60, v33
	s_addc_u32 s29, s4, s6
	v_lshlrev_b32_e32 v6, 2, v2
	s_movk_i32 s4, 0x110
	v_add_u32_e32 v44, 0x2200, v0
	v_mov_b32_e32 v0, 0x4200
	v_mad_u32_u24 v41, v4, s4, v6
	v_mad_u64_u32 v[18:19], s[4:5], v3, s34, v[8:9]
	v_lshl_add_u32 v45, v1, 7, v0
	v_mul_lo_u32 v0, s14, v1
	v_mul_lo_u32 v14, s15, v4
	v_lshlrev_b32_e32 v20, 2, v33
	v_lshl_add_u32 v6, s14, 3, v0
	v_mbcnt_hi_u32_b32 v19, -1, v5
	v_mov_b32_e32 v13, 0
	v_lshl_add_u32 v16, s15, 4, v14
	v_lshl_add_u32 v46, v1, 9, v20
	v_ashrrev_i32_e32 v1, 31, v0
	v_ashrrev_i32_e32 v7, 31, v6
	s_add_u32 s10, s0, 0xd0
	v_mov_b32_e32 v4, 0xfeffffff
	v_lshlrev_b32_e32 v12, 2, v2
	v_and_b32_e32 v2, 0x60, v19
	v_ashrrev_i32_e32 v15, 31, v14
	v_add_u32_e32 v42, 0x1100, v41
	v_ashrrev_i32_e32 v17, 31, v16
	v_mul_u32_u24_e32 v43, 0x110, v8
	v_add_u32_e32 v47, 0x1000, v46
	s_addc_u32 s11, s1, 0
	v_add_u32_e32 v35, 32, v2
	v_xor_b32_e32 v40, 16, v19
	v_xor_b32_e32 v39, 8, v19
	;; [unrolled: 1-line block ×5, first 2 shown]
	s_mov_b32 s31, 0x3fb8aa3b
	s_mov_b32 s33, 0xc2ce8ed0
	;; [unrolled: 1-line block ×3, first 2 shown]
	v_mov_b32_e32 v48, 0x7f800000
	s_mov_b32 s35, 0x10001
	v_lshlrev_b64 v[22:23], 2, v[0:1]
	v_mov_b32_e32 v21, v13
	v_lshlrev_b64 v[24:25], 2, v[6:7]
	v_add_u32_e32 v49, 0x800, v34
	v_add_u32_e32 v50, 0x1000, v34
	;; [unrolled: 1-line block ×3, first 2 shown]
	v_mov_b32_e32 v52, v13
	v_mov_b32_e32 v53, v13
	;; [unrolled: 1-line block ×11, first 2 shown]
.LBB17_9:                               ; =>This Inner Loop Header: Depth=1
	s_mul_hi_i32 s5, s2, s15
	s_mul_i32 s4, s2, s15
	s_lshl_b64 s[4:5], s[4:5], 2
	s_add_u32 s4, s20, s4
	s_addc_u32 s5, s21, s5
	v_lshl_add_u64 v[0:1], v[14:15], 2, s[4:5]
	v_lshl_add_u64 v[2:3], v[16:17], 2, s[4:5]
	;; [unrolled: 1-line block ×3, first 2 shown]
	v_mov_b32_e32 v62, v5
	v_mov_b32_e32 v63, v4
	v_lshl_add_u64 v[30:31], v[2:3], 0, v[12:13]
	global_load_dwordx4 v[0:3], v[28:29], off
	global_load_dwordx4 v[4:7], v[30:31], off
	v_mov_b32_e32 v60, 0
	v_mov_b32_e32 v61, 0
	s_mul_hi_i32 s5, s2, s14
	s_mul_i32 s4, s2, s14
	s_lshl_b64 s[4:5], s[4:5], 2
	s_add_u32 s4, s28, s4
	s_addc_u32 s5, s29, s5
	s_or_b32 s6, s2, 16
	v_add_u32_e32 v26, s2, v18
	v_ashrrev_i32_e32 v27, 31, v26
	v_cmp_lt_i32_e32 vcc, v40, v35
	v_max_f32_e32 v70, v63, v63
	v_max_f32_e32 v71, v62, v62
	v_cndmask_b32_e32 v64, v19, v40, vcc
	v_lshlrev_b32_e32 v64, 2, v64
	v_cmp_lt_i32_e32 vcc, v39, v35
	s_waitcnt vmcnt(1)
	ds_write_b128 v41, v[0:3]
	s_waitcnt vmcnt(0)
	ds_write_b128 v42, v[4:7]
	s_waitcnt lgkmcnt(0)
	s_barrier
	ds_read_b128 v[0:3], v43
	ds_read_b128 v[4:7], v44
	ds_read_b128 v[66:69], v44 offset:512
	s_waitcnt lgkmcnt(1)
	;;#ASMSTART
	v_dot2_f32_f16 v60, v0, v4, v60
	;;#ASMEND
	s_nop 0
	;;#ASMSTART
	v_dot2_f32_f16 v60, v1, v5, v60
	;;#ASMEND
	v_cndmask_b32_e32 v65, v19, v39, vcc
	;;#ASMSTART
	v_dot2_f32_f16 v60, v2, v6, v60
	;;#ASMEND
	v_lshlrev_b32_e32 v65, 2, v65
	;;#ASMSTART
	v_dot2_f32_f16 v60, v3, v7, v60
	;;#ASMEND
	s_waitcnt lgkmcnt(0)
	;;#ASMSTART
	v_dot2_f32_f16 v61, v0, v66, v61
	;;#ASMEND
	v_cmp_lt_i32_e32 vcc, v38, v35
	;;#ASMSTART
	v_dot2_f32_f16 v61, v1, v67, v61
	;;#ASMEND
	s_nop 0
	;;#ASMSTART
	v_dot2_f32_f16 v61, v2, v68, v61
	;;#ASMEND
	s_nop 0
	;;#ASMSTART
	v_dot2_f32_f16 v61, v3, v69, v61
	;;#ASMEND
	ds_read_b128 v[0:3], v43 offset:16
	ds_read_b128 v[4:7], v44 offset:16
	ds_read_b128 v[66:69], v44 offset:528
	s_waitcnt lgkmcnt(1)
	;;#ASMSTART
	v_dot2_f32_f16 v60, v0, v4, v60
	;;#ASMEND
	s_nop 0
	;;#ASMSTART
	v_dot2_f32_f16 v60, v1, v5, v60
	;;#ASMEND
	s_nop 0
	;;#ASMSTART
	v_dot2_f32_f16 v60, v2, v6, v60
	;;#ASMEND
	s_nop 0
	;;#ASMSTART
	v_dot2_f32_f16 v60, v3, v7, v60
	;;#ASMEND
	s_waitcnt lgkmcnt(0)
	;;#ASMSTART
	v_dot2_f32_f16 v61, v0, v66, v61
	;;#ASMEND
	s_nop 0
	;;#ASMSTART
	v_dot2_f32_f16 v61, v1, v67, v61
	;;#ASMEND
	s_nop 0
	;;#ASMSTART
	v_dot2_f32_f16 v61, v2, v68, v61
	;;#ASMEND
	s_nop 0
	;;#ASMSTART
	v_dot2_f32_f16 v61, v3, v69, v61
	;;#ASMEND
	ds_read_b128 v[0:3], v43 offset:32
	ds_read_b128 v[4:7], v44 offset:32
	ds_read_b128 v[66:69], v44 offset:544
	s_waitcnt lgkmcnt(1)
	;;#ASMSTART
	v_dot2_f32_f16 v60, v0, v4, v60
	;;#ASMEND
	s_nop 0
	;;#ASMSTART
	v_dot2_f32_f16 v60, v1, v5, v60
	;;#ASMEND
	s_nop 0
	;;#ASMSTART
	v_dot2_f32_f16 v60, v2, v6, v60
	;;#ASMEND
	s_nop 0
	;;#ASMSTART
	v_dot2_f32_f16 v60, v3, v7, v60
	;;#ASMEND
	s_waitcnt lgkmcnt(0)
	;;#ASMSTART
	v_dot2_f32_f16 v61, v0, v66, v61
	;;#ASMEND
	s_nop 0
	;;#ASMSTART
	v_dot2_f32_f16 v61, v1, v67, v61
	;;#ASMEND
	s_nop 0
	;;#ASMSTART
	v_dot2_f32_f16 v61, v2, v68, v61
	;;#ASMEND
	s_nop 0
	;;#ASMSTART
	v_dot2_f32_f16 v61, v3, v69, v61
	;;#ASMEND
	ds_read_b128 v[0:3], v43 offset:48
	ds_read_b128 v[4:7], v44 offset:48
	ds_read_b128 v[66:69], v44 offset:560
	s_waitcnt lgkmcnt(1)
	;;#ASMSTART
	v_dot2_f32_f16 v60, v0, v4, v60
	;;#ASMEND
	s_nop 0
	;;#ASMSTART
	v_dot2_f32_f16 v60, v1, v5, v60
	;;#ASMEND
	s_nop 0
	;;#ASMSTART
	v_dot2_f32_f16 v60, v2, v6, v60
	;;#ASMEND
	s_nop 0
	;;#ASMSTART
	v_dot2_f32_f16 v60, v3, v7, v60
	;;#ASMEND
	s_waitcnt lgkmcnt(0)
	;;#ASMSTART
	v_dot2_f32_f16 v61, v0, v66, v61
	;;#ASMEND
	s_nop 0
	;;#ASMSTART
	v_dot2_f32_f16 v61, v1, v67, v61
	;;#ASMEND
	s_nop 0
	;;#ASMSTART
	v_dot2_f32_f16 v61, v2, v68, v61
	;;#ASMEND
	s_nop 0
	;;#ASMSTART
	v_dot2_f32_f16 v61, v3, v69, v61
	;;#ASMEND
	ds_read_b128 v[0:3], v43 offset:64
	ds_read_b128 v[4:7], v44 offset:64
	ds_read_b128 v[66:69], v44 offset:576
	s_waitcnt lgkmcnt(1)
	;;#ASMSTART
	v_dot2_f32_f16 v60, v0, v4, v60
	;;#ASMEND
	s_nop 0
	;;#ASMSTART
	v_dot2_f32_f16 v60, v1, v5, v60
	;;#ASMEND
	s_nop 0
	;;#ASMSTART
	v_dot2_f32_f16 v60, v2, v6, v60
	;;#ASMEND
	s_nop 0
	;;#ASMSTART
	v_dot2_f32_f16 v60, v3, v7, v60
	;;#ASMEND
	s_waitcnt lgkmcnt(0)
	;;#ASMSTART
	v_dot2_f32_f16 v61, v0, v66, v61
	;;#ASMEND
	s_nop 0
	;;#ASMSTART
	v_dot2_f32_f16 v61, v1, v67, v61
	;;#ASMEND
	s_nop 0
	;;#ASMSTART
	v_dot2_f32_f16 v61, v2, v68, v61
	;;#ASMEND
	s_nop 0
	;;#ASMSTART
	v_dot2_f32_f16 v61, v3, v69, v61
	;;#ASMEND
	ds_read_b128 v[0:3], v43 offset:80
	ds_read_b128 v[4:7], v44 offset:80
	ds_read_b128 v[66:69], v44 offset:592
	s_waitcnt lgkmcnt(1)
	;;#ASMSTART
	v_dot2_f32_f16 v60, v0, v4, v60
	;;#ASMEND
	s_nop 0
	;;#ASMSTART
	v_dot2_f32_f16 v60, v1, v5, v60
	;;#ASMEND
	s_nop 0
	;;#ASMSTART
	v_dot2_f32_f16 v60, v2, v6, v60
	;;#ASMEND
	s_nop 0
	;;#ASMSTART
	v_dot2_f32_f16 v60, v3, v7, v60
	;;#ASMEND
	s_waitcnt lgkmcnt(0)
	;;#ASMSTART
	v_dot2_f32_f16 v61, v0, v66, v61
	;;#ASMEND
	s_nop 0
	;;#ASMSTART
	v_dot2_f32_f16 v61, v1, v67, v61
	;;#ASMEND
	s_nop 0
	;;#ASMSTART
	v_dot2_f32_f16 v61, v2, v68, v61
	;;#ASMEND
	s_nop 0
	;;#ASMSTART
	v_dot2_f32_f16 v61, v3, v69, v61
	;;#ASMEND
	ds_read_b128 v[0:3], v43 offset:96
	ds_read_b128 v[4:7], v44 offset:96
	ds_read_b128 v[66:69], v44 offset:608
	s_waitcnt lgkmcnt(1)
	;;#ASMSTART
	v_dot2_f32_f16 v60, v0, v4, v60
	;;#ASMEND
	s_nop 0
	;;#ASMSTART
	v_dot2_f32_f16 v60, v1, v5, v60
	;;#ASMEND
	s_nop 0
	;;#ASMSTART
	v_dot2_f32_f16 v60, v2, v6, v60
	;;#ASMEND
	s_nop 0
	;;#ASMSTART
	v_dot2_f32_f16 v60, v3, v7, v60
	;;#ASMEND
	s_waitcnt lgkmcnt(0)
	;;#ASMSTART
	v_dot2_f32_f16 v61, v0, v66, v61
	;;#ASMEND
	s_nop 0
	;;#ASMSTART
	v_dot2_f32_f16 v61, v1, v67, v61
	;;#ASMEND
	s_nop 0
	;;#ASMSTART
	v_dot2_f32_f16 v61, v2, v68, v61
	;;#ASMEND
	s_nop 0
	;;#ASMSTART
	v_dot2_f32_f16 v61, v3, v69, v61
	;;#ASMEND
	ds_read_b128 v[0:3], v43 offset:112
	ds_read_b128 v[4:7], v44 offset:112
	ds_read_b128 v[66:69], v44 offset:624
	s_waitcnt lgkmcnt(1)
	;;#ASMSTART
	v_dot2_f32_f16 v60, v0, v4, v60
	;;#ASMEND
	s_nop 0
	;;#ASMSTART
	v_dot2_f32_f16 v60, v1, v5, v60
	;;#ASMEND
	s_nop 0
	;;#ASMSTART
	v_dot2_f32_f16 v60, v2, v6, v60
	;;#ASMEND
	s_nop 0
	;;#ASMSTART
	v_dot2_f32_f16 v60, v3, v7, v60
	;;#ASMEND
	s_waitcnt lgkmcnt(0)
	;;#ASMSTART
	v_dot2_f32_f16 v61, v0, v66, v61
	;;#ASMEND
	s_nop 0
	;;#ASMSTART
	v_dot2_f32_f16 v61, v1, v67, v61
	;;#ASMEND
	s_nop 0
	;;#ASMSTART
	v_dot2_f32_f16 v61, v2, v68, v61
	;;#ASMEND
	s_nop 0
	;;#ASMSTART
	v_dot2_f32_f16 v61, v3, v69, v61
	;;#ASMEND
	ds_read_b128 v[0:3], v43 offset:128
	ds_read_b128 v[4:7], v44 offset:128
	ds_read_b128 v[66:69], v44 offset:640
	s_waitcnt lgkmcnt(1)
	;;#ASMSTART
	v_dot2_f32_f16 v60, v0, v4, v60
	;;#ASMEND
	s_nop 0
	;;#ASMSTART
	v_dot2_f32_f16 v60, v1, v5, v60
	;;#ASMEND
	s_nop 0
	;;#ASMSTART
	v_dot2_f32_f16 v60, v2, v6, v60
	;;#ASMEND
	s_nop 0
	;;#ASMSTART
	v_dot2_f32_f16 v60, v3, v7, v60
	;;#ASMEND
	s_waitcnt lgkmcnt(0)
	;;#ASMSTART
	v_dot2_f32_f16 v61, v0, v66, v61
	;;#ASMEND
	s_nop 0
	;;#ASMSTART
	v_dot2_f32_f16 v61, v1, v67, v61
	;;#ASMEND
	s_nop 0
	;;#ASMSTART
	v_dot2_f32_f16 v61, v2, v68, v61
	;;#ASMEND
	s_nop 0
	;;#ASMSTART
	v_dot2_f32_f16 v61, v3, v69, v61
	;;#ASMEND
	ds_read_b128 v[0:3], v43 offset:144
	ds_read_b128 v[4:7], v44 offset:144
	ds_read_b128 v[66:69], v44 offset:656
	s_waitcnt lgkmcnt(1)
	;;#ASMSTART
	v_dot2_f32_f16 v60, v0, v4, v60
	;;#ASMEND
	s_nop 0
	;;#ASMSTART
	v_dot2_f32_f16 v60, v1, v5, v60
	;;#ASMEND
	s_nop 0
	;;#ASMSTART
	v_dot2_f32_f16 v60, v2, v6, v60
	;;#ASMEND
	s_nop 0
	;;#ASMSTART
	v_dot2_f32_f16 v60, v3, v7, v60
	;;#ASMEND
	s_waitcnt lgkmcnt(0)
	;;#ASMSTART
	v_dot2_f32_f16 v61, v0, v66, v61
	;;#ASMEND
	s_nop 0
	;;#ASMSTART
	v_dot2_f32_f16 v61, v1, v67, v61
	;;#ASMEND
	s_nop 0
	;;#ASMSTART
	v_dot2_f32_f16 v61, v2, v68, v61
	;;#ASMEND
	s_nop 0
	;;#ASMSTART
	v_dot2_f32_f16 v61, v3, v69, v61
	;;#ASMEND
	ds_read_b128 v[0:3], v43 offset:160
	ds_read_b128 v[4:7], v44 offset:160
	ds_read_b128 v[66:69], v44 offset:672
	s_waitcnt lgkmcnt(1)
	;;#ASMSTART
	v_dot2_f32_f16 v60, v0, v4, v60
	;;#ASMEND
	s_nop 0
	;;#ASMSTART
	v_dot2_f32_f16 v60, v1, v5, v60
	;;#ASMEND
	s_nop 0
	;;#ASMSTART
	v_dot2_f32_f16 v60, v2, v6, v60
	;;#ASMEND
	s_nop 0
	;;#ASMSTART
	v_dot2_f32_f16 v60, v3, v7, v60
	;;#ASMEND
	s_waitcnt lgkmcnt(0)
	;;#ASMSTART
	v_dot2_f32_f16 v61, v0, v66, v61
	;;#ASMEND
	s_nop 0
	;;#ASMSTART
	v_dot2_f32_f16 v61, v1, v67, v61
	;;#ASMEND
	s_nop 0
	;;#ASMSTART
	v_dot2_f32_f16 v61, v2, v68, v61
	;;#ASMEND
	s_nop 0
	;;#ASMSTART
	v_dot2_f32_f16 v61, v3, v69, v61
	;;#ASMEND
	ds_read_b128 v[0:3], v43 offset:176
	ds_read_b128 v[4:7], v44 offset:176
	ds_read_b128 v[66:69], v44 offset:688
	s_waitcnt lgkmcnt(1)
	;;#ASMSTART
	v_dot2_f32_f16 v60, v0, v4, v60
	;;#ASMEND
	s_nop 0
	;;#ASMSTART
	v_dot2_f32_f16 v60, v1, v5, v60
	;;#ASMEND
	s_nop 0
	;;#ASMSTART
	v_dot2_f32_f16 v60, v2, v6, v60
	;;#ASMEND
	s_nop 0
	;;#ASMSTART
	v_dot2_f32_f16 v60, v3, v7, v60
	;;#ASMEND
	s_waitcnt lgkmcnt(0)
	;;#ASMSTART
	v_dot2_f32_f16 v61, v0, v66, v61
	;;#ASMEND
	s_nop 0
	;;#ASMSTART
	v_dot2_f32_f16 v61, v1, v67, v61
	;;#ASMEND
	s_nop 0
	;;#ASMSTART
	v_dot2_f32_f16 v61, v2, v68, v61
	;;#ASMEND
	s_nop 0
	;;#ASMSTART
	v_dot2_f32_f16 v61, v3, v69, v61
	;;#ASMEND
	ds_read_b128 v[0:3], v43 offset:192
	ds_read_b128 v[4:7], v44 offset:192
	ds_read_b128 v[66:69], v44 offset:704
	s_waitcnt lgkmcnt(1)
	;;#ASMSTART
	v_dot2_f32_f16 v60, v0, v4, v60
	;;#ASMEND
	s_nop 0
	;;#ASMSTART
	v_dot2_f32_f16 v60, v1, v5, v60
	;;#ASMEND
	s_nop 0
	;;#ASMSTART
	v_dot2_f32_f16 v60, v2, v6, v60
	;;#ASMEND
	s_nop 0
	;;#ASMSTART
	v_dot2_f32_f16 v60, v3, v7, v60
	;;#ASMEND
	s_waitcnt lgkmcnt(0)
	;;#ASMSTART
	v_dot2_f32_f16 v61, v0, v66, v61
	;;#ASMEND
	s_nop 0
	;;#ASMSTART
	v_dot2_f32_f16 v61, v1, v67, v61
	;;#ASMEND
	s_nop 0
	;;#ASMSTART
	v_dot2_f32_f16 v61, v2, v68, v61
	;;#ASMEND
	s_nop 0
	;;#ASMSTART
	v_dot2_f32_f16 v61, v3, v69, v61
	;;#ASMEND
	ds_read_b128 v[0:3], v43 offset:208
	ds_read_b128 v[4:7], v44 offset:208
	ds_read_b128 v[66:69], v44 offset:720
	s_waitcnt lgkmcnt(1)
	;;#ASMSTART
	v_dot2_f32_f16 v60, v0, v4, v60
	;;#ASMEND
	s_nop 0
	;;#ASMSTART
	v_dot2_f32_f16 v60, v1, v5, v60
	;;#ASMEND
	s_nop 0
	;;#ASMSTART
	v_dot2_f32_f16 v60, v2, v6, v60
	;;#ASMEND
	s_nop 0
	;;#ASMSTART
	v_dot2_f32_f16 v60, v3, v7, v60
	;;#ASMEND
	s_waitcnt lgkmcnt(0)
	;;#ASMSTART
	v_dot2_f32_f16 v61, v0, v66, v61
	;;#ASMEND
	s_nop 0
	;;#ASMSTART
	v_dot2_f32_f16 v61, v1, v67, v61
	;;#ASMEND
	s_nop 0
	;;#ASMSTART
	v_dot2_f32_f16 v61, v2, v68, v61
	;;#ASMEND
	s_nop 0
	;;#ASMSTART
	v_dot2_f32_f16 v61, v3, v69, v61
	;;#ASMEND
	ds_read_b128 v[0:3], v43 offset:224
	ds_read_b128 v[4:7], v44 offset:224
	ds_read_b128 v[66:69], v44 offset:736
	s_waitcnt lgkmcnt(1)
	;;#ASMSTART
	v_dot2_f32_f16 v60, v0, v4, v60
	;;#ASMEND
	s_nop 0
	;;#ASMSTART
	v_dot2_f32_f16 v60, v1, v5, v60
	;;#ASMEND
	s_nop 0
	;;#ASMSTART
	v_dot2_f32_f16 v60, v2, v6, v60
	;;#ASMEND
	s_nop 0
	;;#ASMSTART
	v_dot2_f32_f16 v60, v3, v7, v60
	;;#ASMEND
	s_waitcnt lgkmcnt(0)
	;;#ASMSTART
	v_dot2_f32_f16 v61, v0, v66, v61
	;;#ASMEND
	s_nop 0
	;;#ASMSTART
	v_dot2_f32_f16 v61, v1, v67, v61
	;;#ASMEND
	s_nop 0
	;;#ASMSTART
	v_dot2_f32_f16 v61, v2, v68, v61
	;;#ASMEND
	s_nop 0
	;;#ASMSTART
	v_dot2_f32_f16 v61, v3, v69, v61
	;;#ASMEND
	ds_read_b128 v[0:3], v43 offset:240
	ds_read_b128 v[66:69], v44 offset:240
	;; [unrolled: 1-line block ×3, first 2 shown]
	s_waitcnt lgkmcnt(1)
	;;#ASMSTART
	v_dot2_f32_f16 v60, v0, v66, v60
	;;#ASMEND
	s_nop 0
	;;#ASMSTART
	v_dot2_f32_f16 v60, v1, v67, v60
	;;#ASMEND
	v_cndmask_b32_e32 v66, v19, v38, vcc
	;;#ASMSTART
	v_dot2_f32_f16 v60, v2, v68, v60
	;;#ASMEND
	v_lshlrev_b32_e32 v66, 2, v66
	;;#ASMSTART
	v_dot2_f32_f16 v60, v3, v69, v60
	;;#ASMEND
	s_waitcnt lgkmcnt(0)
	;;#ASMSTART
	v_dot2_f32_f16 v61, v0, v4, v61
	;;#ASMEND
	v_cmp_lt_i32_e32 vcc, v37, v35
	;;#ASMSTART
	v_dot2_f32_f16 v61, v1, v5, v61
	;;#ASMEND
	v_add_u32_e32 v69, v45, v33
	;;#ASMSTART
	v_dot2_f32_f16 v61, v2, v6, v61
	;;#ASMEND
	s_nop 0
	;;#ASMSTART
	v_dot2_f32_f16 v61, v3, v7, v61
	;;#ASMEND
	s_barrier
	global_load_dwordx4 v[0:3], v[28:29], off offset:256
	global_load_dwordx4 v[4:7], v[30:31], off offset:256
	s_waitcnt vmcnt(1)
	ds_write_b128 v41, v[0:3]
	s_waitcnt vmcnt(0)
	ds_write_b128 v42, v[4:7]
	s_waitcnt lgkmcnt(0)
	s_barrier
	ds_read_b128 v[0:3], v43
	ds_read_b128 v[4:7], v44 offset:256
	ds_read_b128 v[28:31], v44 offset:768
	s_waitcnt lgkmcnt(1)
	;;#ASMSTART
	v_dot2_f32_f16 v60, v0, v4, v60
	;;#ASMEND
	s_nop 0
	;;#ASMSTART
	v_dot2_f32_f16 v60, v1, v5, v60
	;;#ASMEND
	v_cndmask_b32_e32 v67, v19, v37, vcc
	;;#ASMSTART
	v_dot2_f32_f16 v60, v2, v6, v60
	;;#ASMEND
	v_lshlrev_b32_e32 v67, 2, v67
	;;#ASMSTART
	v_dot2_f32_f16 v60, v3, v7, v60
	;;#ASMEND
	s_waitcnt lgkmcnt(0)
	;;#ASMSTART
	v_dot2_f32_f16 v61, v0, v28, v61
	;;#ASMEND
	v_cmp_lt_i32_e32 vcc, v36, v35
	;;#ASMSTART
	v_dot2_f32_f16 v61, v1, v29, v61
	;;#ASMEND
	s_nop 0
	;;#ASMSTART
	v_dot2_f32_f16 v61, v2, v30, v61
	;;#ASMEND
	s_nop 0
	;;#ASMSTART
	v_dot2_f32_f16 v61, v3, v31, v61
	;;#ASMEND
	ds_read_b128 v[0:3], v43 offset:16
	ds_read_b128 v[4:7], v44 offset:272
	;; [unrolled: 1-line block ×3, first 2 shown]
	s_waitcnt lgkmcnt(1)
	;;#ASMSTART
	v_dot2_f32_f16 v60, v0, v4, v60
	;;#ASMEND
	s_nop 0
	;;#ASMSTART
	v_dot2_f32_f16 v60, v1, v5, v60
	;;#ASMEND
	v_cndmask_b32_e32 v68, v19, v36, vcc
	;;#ASMSTART
	v_dot2_f32_f16 v60, v2, v6, v60
	;;#ASMEND
	v_lshlrev_b32_e32 v68, 2, v68
	;;#ASMSTART
	v_dot2_f32_f16 v60, v3, v7, v60
	;;#ASMEND
	s_waitcnt lgkmcnt(0)
	;;#ASMSTART
	v_dot2_f32_f16 v61, v0, v28, v61
	;;#ASMEND
	s_nop 0
	;;#ASMSTART
	v_dot2_f32_f16 v61, v1, v29, v61
	;;#ASMEND
	s_nop 0
	;;#ASMSTART
	v_dot2_f32_f16 v61, v2, v30, v61
	;;#ASMEND
	s_nop 0
	;;#ASMSTART
	v_dot2_f32_f16 v61, v3, v31, v61
	;;#ASMEND
	ds_read_b128 v[0:3], v43 offset:32
	ds_read_b128 v[4:7], v44 offset:288
	ds_read_b128 v[28:31], v44 offset:800
	s_waitcnt lgkmcnt(1)
	;;#ASMSTART
	v_dot2_f32_f16 v60, v0, v4, v60
	;;#ASMEND
	s_nop 0
	;;#ASMSTART
	v_dot2_f32_f16 v60, v1, v5, v60
	;;#ASMEND
	s_nop 0
	;;#ASMSTART
	v_dot2_f32_f16 v60, v2, v6, v60
	;;#ASMEND
	s_nop 0
	;;#ASMSTART
	v_dot2_f32_f16 v60, v3, v7, v60
	;;#ASMEND
	s_waitcnt lgkmcnt(0)
	;;#ASMSTART
	v_dot2_f32_f16 v61, v0, v28, v61
	;;#ASMEND
	s_nop 0
	;;#ASMSTART
	v_dot2_f32_f16 v61, v1, v29, v61
	;;#ASMEND
	s_nop 0
	;;#ASMSTART
	v_dot2_f32_f16 v61, v2, v30, v61
	;;#ASMEND
	s_nop 0
	;;#ASMSTART
	v_dot2_f32_f16 v61, v3, v31, v61
	;;#ASMEND
	ds_read_b128 v[0:3], v43 offset:48
	ds_read_b128 v[4:7], v44 offset:304
	ds_read_b128 v[28:31], v44 offset:816
	s_waitcnt lgkmcnt(1)
	;;#ASMSTART
	v_dot2_f32_f16 v60, v0, v4, v60
	;;#ASMEND
	s_nop 0
	;;#ASMSTART
	v_dot2_f32_f16 v60, v1, v5, v60
	;;#ASMEND
	s_nop 0
	;;#ASMSTART
	v_dot2_f32_f16 v60, v2, v6, v60
	;;#ASMEND
	s_nop 0
	;; [unrolled: 35-line block ×13, first 2 shown]
	;;#ASMSTART
	v_dot2_f32_f16 v60, v3, v7, v60
	;;#ASMEND
	s_waitcnt lgkmcnt(0)
	;;#ASMSTART
	v_dot2_f32_f16 v61, v0, v28, v61
	;;#ASMEND
	s_nop 0
	;;#ASMSTART
	v_dot2_f32_f16 v61, v1, v29, v61
	;;#ASMEND
	s_nop 0
	;; [unrolled: 4-line block ×3, first 2 shown]
	;;#ASMSTART
	v_dot2_f32_f16 v61, v3, v31, v61
	;;#ASMEND
	ds_read_b128 v[0:3], v43 offset:240
	ds_read_b128 v[4:7], v44 offset:496
	;; [unrolled: 1-line block ×3, first 2 shown]
	s_waitcnt lgkmcnt(1)
	;;#ASMSTART
	v_dot2_f32_f16 v60, v0, v4, v60
	;;#ASMEND
	s_nop 0
	;;#ASMSTART
	v_dot2_f32_f16 v60, v1, v5, v60
	;;#ASMEND
	v_lshl_add_u64 v[4:5], v[26:27], 1, s[26:27]
	;;#ASMSTART
	v_dot2_f32_f16 v60, v2, v6, v60
	;;#ASMEND
	s_nop 0
	;;#ASMSTART
	v_dot2_f32_f16 v60, v3, v7, v60
	;;#ASMEND
	s_waitcnt lgkmcnt(0)
	;;#ASMSTART
	v_dot2_f32_f16 v61, v0, v28, v61
	;;#ASMEND
	v_lshl_add_u64 v[6:7], s[4:5], 0, v[22:23]
	;;#ASMSTART
	v_dot2_f32_f16 v61, v1, v29, v61
	;;#ASMEND
	v_lshl_add_u64 v[0:1], s[4:5], 0, v[24:25]
	s_mul_hi_i32 s5, s6, s14
	s_mul_i32 s4, s6, s14
	s_lshl_b64 s[4:5], s[4:5], 2
	s_add_u32 s4, s28, s4
	s_addc_u32 s5, s29, s5
	;;#ASMSTART
	v_dot2_f32_f16 v61, v2, v30, v61
	;;#ASMEND
	v_lshl_add_u64 v[28:29], v[0:1], 0, v[20:21]
	v_lshl_add_u64 v[0:1], s[4:5], 0, v[22:23]
	;;#ASMSTART
	v_dot2_f32_f16 v61, v3, v31, v61
	;;#ASMEND
	v_lshl_add_u64 v[26:27], v[0:1], 0, v[20:21]
	global_load_ushort v0, v[4:5], off
	v_lshl_add_u64 v[2:3], v[6:7], 0, v[20:21]
	s_barrier
	v_lshl_add_u64 v[6:7], s[4:5], 0, v[24:25]
	v_lshl_add_u64 v[6:7], v[6:7], 0, v[20:21]
	s_waitcnt vmcnt(0)
	v_cvt_f32_f16_e32 v0, v0
	v_add_f32_e32 v1, v60, v0
	v_add_f32_e32 v0, v61, v0
	v_add_f32_e32 v4, 0x40051340, v1
	v_add_f32_e32 v5, 0x40051340, v0
	v_max_f32_e32 v4, v70, v4
	v_max_f32_e32 v5, v71, v5
	ds_bpermute_b32 v30, v64, v4
	ds_bpermute_b32 v31, v64, v5
	s_waitcnt lgkmcnt(1)
	v_max_f32_e32 v30, v30, v30
	s_waitcnt lgkmcnt(0)
	v_max_f32_e32 v31, v31, v31
	v_max_f32_e32 v4, v4, v30
	v_max_f32_e32 v5, v5, v31
	ds_bpermute_b32 v30, v65, v4
	ds_bpermute_b32 v31, v65, v5
	s_waitcnt lgkmcnt(1)
	v_max_f32_e32 v30, v30, v30
	s_waitcnt lgkmcnt(0)
	v_max_f32_e32 v31, v31, v31
	;; [unrolled: 8-line block ×5, first 2 shown]
	v_max_f32_e32 v4, v4, v30
	v_max_f32_e32 v5, v5, v31
	v_sub_f32_e32 v60, v63, v4
	v_sub_f32_e32 v63, v0, v5
	v_mul_f32_e32 v0, 0x3fb8aa3b, v60
	v_sub_f32_e32 v61, v1, v4
	v_sub_f32_e32 v62, v62, v5
	v_fma_f32 v64, v60, s31, -v0
	v_rndne_f32_e32 v65, v0
	v_mul_f32_e32 v1, 0x3fb8aa3b, v61
	v_mul_f32_e32 v30, 0x3fb8aa3b, v62
	v_fmac_f32_e32 v64, 0x32a5705f, v60
	v_sub_f32_e32 v0, v0, v65
	v_fma_f32 v66, v61, s31, -v1
	v_rndne_f32_e32 v67, v1
	v_fma_f32 v68, v62, s31, -v30
	v_add_f32_e32 v0, v0, v64
	v_rndne_f32_e32 v64, v30
	v_mul_f32_e32 v31, 0x3fb8aa3b, v63
	v_fmac_f32_e32 v66, 0x32a5705f, v61
	v_sub_f32_e32 v1, v1, v67
	v_fmac_f32_e32 v68, 0x32a5705f, v62
	v_sub_f32_e32 v30, v30, v64
	v_add_f32_e32 v66, v1, v66
	v_fma_f32 v1, v63, s31, -v31
	v_add_f32_e32 v30, v30, v68
	v_rndne_f32_e32 v68, v31
	v_fmac_f32_e32 v1, 0x32a5705f, v63
	v_sub_f32_e32 v31, v31, v68
	v_cvt_i32_f32_e32 v65, v65
	v_exp_f32_e32 v0, v0
	v_add_f32_e32 v70, v31, v1
	v_cvt_i32_f32_e32 v31, v67
	v_cvt_i32_f32_e32 v64, v64
	v_exp_f32_e32 v66, v66
	v_exp_f32_e32 v30, v30
	v_ldexp_f32 v65, v0, v65
	global_load_dwordx4 v[0:3], v[2:3], off
	v_ldexp_f32 v66, v66, v31
	v_ldexp_f32 v64, v30, v64
	global_load_dwordx4 v[28:31], v[28:29], off
	v_cvt_i32_f32_e32 v67, v68
	v_exp_f32_e32 v68, v70
	v_cmp_ngt_f32_e32 vcc, s33, v62
	v_cmp_ngt_f32_e64 s[4:5], s33, v63
	v_cmp_ngt_f32_e64 s[6:7], s33, v60
	v_ldexp_f32 v67, v68, v67
	v_cmp_ngt_f32_e64 s[8:9], s33, v61
	s_nop 1
	v_cndmask_b32_e64 v66, 0, v66, s[8:9]
	v_cmp_nlt_f32_e64 s[8:9], s34, v61
	v_cndmask_b32_e32 v61, 0, v64, vcc
	v_cmp_nlt_f32_e32 vcc, s34, v62
	v_cndmask_b32_e64 v62, 0, v65, s[6:7]
	v_cndmask_b32_e64 v64, 0, v67, s[4:5]
	v_cmp_nlt_f32_e64 s[4:5], s34, v63
	v_cmp_nlt_f32_e64 s[6:7], s34, v60
	v_cndmask_b32_e32 v61, v48, v61, vcc
	v_cndmask_b32_e64 v63, v48, v64, s[4:5]
	v_cndmask_b32_e64 v60, v48, v62, s[6:7]
	v_cndmask_b32_e64 v62, v48, v66, s[8:9]
	v_cvt_f16_f32_e32 v64, v60
	v_cvt_pk_f16_f32 v65, v62, v63
	v_cvt_f16_f32_e32 v66, v61
	v_pk_fma_f32 v[10:11], v[10:11], v[60:61], v[62:63]
	ds_write_b32 v69, v65
	s_waitcnt vmcnt(1)
	ds_write_b128 v46, v[0:3]
	s_waitcnt vmcnt(0)
	ds_write_b128 v47, v[28:31]
	s_waitcnt lgkmcnt(0)
	s_barrier
	ds_read_b128 v[0:3], v45
	ds_read_b128 v[28:31], v45 offset:16
	ds_read2_b64 v[60:63], v34 offset1:32
	v_mul_u32_u24_e32 v64, 0x10001, v64
	v_mul_u32_u24_e32 v66, 0x10001, v66
	v_pk_mul_f16 v59, v59, v64
	v_pk_mul_f16 v58, v58, v64
	;; [unrolled: 1-line block ×6, first 2 shown]
	s_waitcnt lgkmcnt(2)
	v_mul_u32_u24_sdwa v65, v0, s35 dst_sel:DWORD dst_unused:UNUSED_PAD src0_sel:WORD_0 src1_sel:DWORD
	v_mul_u32_u24_sdwa v0, v0, s35 dst_sel:DWORD dst_unused:UNUSED_PAD src0_sel:WORD_1 src1_sel:DWORD
	s_waitcnt lgkmcnt(0)
	v_pk_fma_f16 v67, v61, v65, v59
	v_pk_fma_f16 v68, v62, v65, v58
	;; [unrolled: 1-line block ×3, first 2 shown]
	v_pk_mul_f16 v65, v60, v65
	v_pk_fma_f16 v55, v61, v0, v55
	v_pk_fma_f16 v53, v62, v0, v53
	;; [unrolled: 1-line block ×3, first 2 shown]
	v_pk_mul_f16 v0, v60, v0
	ds_read2_b64 v[58:61], v34 offset0:64 offset1:96
	v_pk_fma_f16 v57, v57, v64, v65
	ds_read2_b64 v[62:65], v34 offset0:128 offset1:160
	v_pk_fma_f16 v0, v54, v66, v0
	v_mul_u32_u24_sdwa v54, v1, s35 dst_sel:DWORD dst_unused:UNUSED_PAD src0_sel:WORD_0 src1_sel:DWORD
	v_mul_u32_u24_sdwa v1, v1, s35 dst_sel:DWORD dst_unused:UNUSED_PAD src0_sel:WORD_1 src1_sel:DWORD
	s_waitcnt lgkmcnt(1)
	v_pk_fma_f16 v66, v59, v54, v67
	v_pk_fma_f16 v67, v60, v54, v68
	;; [unrolled: 1-line block ×7, first 2 shown]
	ds_read2_b64 v[52:55], v34 offset0:192 offset1:224
	v_pk_fma_f16 v0, v58, v1, v0
	v_mul_u32_u24_sdwa v1, v2, s35 dst_sel:DWORD dst_unused:UNUSED_PAD src0_sel:WORD_0 src1_sel:DWORD
	v_mul_u32_u24_sdwa v2, v2, s35 dst_sel:DWORD dst_unused:UNUSED_PAD src0_sel:WORD_1 src1_sel:DWORD
	s_waitcnt lgkmcnt(1)
	v_pk_fma_f16 v66, v63, v1, v66
	v_pk_fma_f16 v67, v64, v1, v67
	;; [unrolled: 1-line block ×6, first 2 shown]
	ds_read2_b64 v[56:59], v49 offset1:32
	v_pk_fma_f16 v61, v65, v2, v61
	v_pk_fma_f16 v62, v62, v2, v0
	v_mul_u32_u24_sdwa v65, v3, s35 dst_sel:DWORD dst_unused:UNUSED_PAD src0_sel:WORD_0 src1_sel:DWORD
	v_mul_u32_u24_sdwa v69, v3, s35 dst_sel:DWORD dst_unused:UNUSED_PAD src0_sel:WORD_1 src1_sel:DWORD
	ds_read2_b64 v[0:3], v49 offset0:64 offset1:96
	s_waitcnt lgkmcnt(2)
	v_pk_fma_f16 v66, v53, v65, v66
	v_pk_fma_f16 v63, v53, v69, v63
	;; [unrolled: 1-line block ×8, first 2 shown]
	ds_read2_b64 v[52:55], v49 offset0:128 offset1:160
	v_mul_u32_u24_sdwa v65, v28, s35 dst_sel:DWORD dst_unused:UNUSED_PAD src0_sel:WORD_0 src1_sel:DWORD
	v_mul_u32_u24_sdwa v28, v28, s35 dst_sel:DWORD dst_unused:UNUSED_PAD src0_sel:WORD_1 src1_sel:DWORD
	s_waitcnt lgkmcnt(2)
	v_pk_fma_f16 v66, v57, v65, v66
	v_pk_fma_f16 v63, v57, v28, v63
	v_pk_fma_f16 v67, v58, v65, v67
	v_pk_fma_f16 v60, v58, v28, v60
	v_pk_fma_f16 v68, v59, v65, v68
	v_pk_fma_f16 v61, v59, v28, v61
	v_pk_fma_f16 v64, v56, v65, v64
	v_pk_fma_f16 v28, v56, v28, v62
	v_mul_u32_u24_sdwa v62, v29, s35 dst_sel:DWORD dst_unused:UNUSED_PAD src0_sel:WORD_0 src1_sel:DWORD
	v_mul_u32_u24_sdwa v29, v29, s35 dst_sel:DWORD dst_unused:UNUSED_PAD src0_sel:WORD_1 src1_sel:DWORD
	ds_read2_b64 v[56:59], v49 offset0:192 offset1:224
	s_waitcnt lgkmcnt(2)
	v_pk_fma_f16 v65, v1, v62, v66
	v_pk_fma_f16 v1, v1, v29, v63
	;; [unrolled: 1-line block ×8, first 2 shown]
	ds_read_b128 v[60:63], v45 offset:32
	v_mul_u32_u24_sdwa v28, v30, s35 dst_sel:DWORD dst_unused:UNUSED_PAD src0_sel:WORD_0 src1_sel:DWORD
	v_mul_u32_u24_sdwa v29, v30, s35 dst_sel:DWORD dst_unused:UNUSED_PAD src0_sel:WORD_1 src1_sel:DWORD
	s_waitcnt lgkmcnt(2)
	v_pk_fma_f16 v65, v53, v28, v65
	v_pk_fma_f16 v53, v53, v29, v1
	;; [unrolled: 1-line block ×8, first 2 shown]
	v_mul_u32_u24_sdwa v68, v31, s35 dst_sel:DWORD dst_unused:UNUSED_PAD src0_sel:WORD_0 src1_sel:DWORD
	v_mul_u32_u24_sdwa v69, v31, s35 dst_sel:DWORD dst_unused:UNUSED_PAD src0_sel:WORD_1 src1_sel:DWORD
	ds_read2_b64 v[28:31], v50 offset1:32
	ds_read_b128 v[0:3], v45 offset:48
	s_waitcnt lgkmcnt(3)
	v_pk_fma_f16 v65, v57, v68, v65
	v_pk_fma_f16 v57, v57, v69, v53
	;; [unrolled: 1-line block ×8, first 2 shown]
	ds_read2_b64 v[52:55], v50 offset0:64 offset1:96
	s_waitcnt lgkmcnt(3)
	v_mul_u32_u24_sdwa v68, v60, s35 dst_sel:DWORD dst_unused:UNUSED_PAD src0_sel:WORD_0 src1_sel:DWORD
	v_mul_u32_u24_sdwa v60, v60, s35 dst_sel:DWORD dst_unused:UNUSED_PAD src0_sel:WORD_1 src1_sel:DWORD
	s_waitcnt lgkmcnt(2)
	v_pk_fma_f16 v65, v29, v68, v65
	v_pk_fma_f16 v66, v30, v68, v66
	;; [unrolled: 1-line block ×8, first 2 shown]
	ds_read2_b64 v[28:31], v50 offset0:128 offset1:160
	v_mul_u32_u24_sdwa v60, v61, s35 dst_sel:DWORD dst_unused:UNUSED_PAD src0_sel:WORD_0 src1_sel:DWORD
	v_mul_u32_u24_sdwa v61, v61, s35 dst_sel:DWORD dst_unused:UNUSED_PAD src0_sel:WORD_1 src1_sel:DWORD
	s_waitcnt lgkmcnt(1)
	v_pk_fma_f16 v65, v53, v60, v65
	v_pk_fma_f16 v66, v54, v60, v66
	;; [unrolled: 1-line block ×8, first 2 shown]
	ds_read2_b64 v[52:55], v50 offset0:192 offset1:224
	v_mul_u32_u24_sdwa v61, v62, s35 dst_sel:DWORD dst_unused:UNUSED_PAD src0_sel:WORD_0 src1_sel:DWORD
	v_mul_u32_u24_sdwa v62, v62, s35 dst_sel:DWORD dst_unused:UNUSED_PAD src0_sel:WORD_1 src1_sel:DWORD
	s_waitcnt lgkmcnt(1)
	v_pk_fma_f16 v64, v29, v61, v65
	v_pk_fma_f16 v65, v30, v61, v66
	;; [unrolled: 1-line block ×8, first 2 shown]
	ds_read2_b64 v[28:31], v51 offset1:32
	ds_read2_b64 v[56:59], v51 offset0:64 offset1:96
	v_mul_u32_u24_sdwa v62, v63, s35 dst_sel:DWORD dst_unused:UNUSED_PAD src0_sel:WORD_0 src1_sel:DWORD
	v_mul_u32_u24_sdwa v63, v63, s35 dst_sel:DWORD dst_unused:UNUSED_PAD src0_sel:WORD_1 src1_sel:DWORD
	s_waitcnt lgkmcnt(2)
	v_pk_fma_f16 v64, v53, v62, v64
	v_pk_fma_f16 v67, v53, v63, v67
	;; [unrolled: 1-line block ×8, first 2 shown]
	v_mul_u32_u24_sdwa v62, v0, s35 dst_sel:DWORD dst_unused:UNUSED_PAD src0_sel:WORD_0 src1_sel:DWORD
	v_mul_u32_u24_sdwa v0, v0, s35 dst_sel:DWORD dst_unused:UNUSED_PAD src0_sel:WORD_1 src1_sel:DWORD
	s_waitcnt lgkmcnt(1)
	v_pk_fma_f16 v63, v29, v62, v64
	v_pk_fma_f16 v64, v29, v0, v67
	;; [unrolled: 1-line block ×8, first 2 shown]
	v_mul_u32_u24_sdwa v61, v1, s35 dst_sel:DWORD dst_unused:UNUSED_PAD src0_sel:WORD_0 src1_sel:DWORD
	v_mul_u32_u24_sdwa v1, v1, s35 dst_sel:DWORD dst_unused:UNUSED_PAD src0_sel:WORD_1 src1_sel:DWORD
	ds_read2_b64 v[52:55], v51 offset0:128 offset1:160
	ds_read2_b64 v[28:31], v51 offset0:192 offset1:224
	s_waitcnt lgkmcnt(0)
	s_barrier
	v_pk_fma_f16 v62, v57, v61, v63
	v_pk_fma_f16 v63, v57, v1, v64
	;; [unrolled: 1-line block ×8, first 2 shown]
	global_load_dwordx4 v[56:59], v[26:27], off
	v_mul_u32_u24_sdwa v26, v2, s35 dst_sel:DWORD dst_unused:UNUSED_PAD src0_sel:WORD_0 src1_sel:DWORD
	v_mul_u32_u24_sdwa v27, v2, s35 dst_sel:DWORD dst_unused:UNUSED_PAD src0_sel:WORD_1 src1_sel:DWORD
	v_mul_u32_u24_sdwa v68, v3, s35 dst_sel:DWORD dst_unused:UNUSED_PAD src0_sel:WORD_0 src1_sel:DWORD
	v_mul_u32_u24_sdwa v69, v3, s35 dst_sel:DWORD dst_unused:UNUSED_PAD src0_sel:WORD_1 src1_sel:DWORD
	global_load_dwordx4 v[0:3], v[6:7], off
	v_pk_fma_f16 v6, v53, v26, v62
	v_pk_fma_f16 v7, v53, v27, v63
	v_pk_fma_f16 v53, v54, v26, v64
	v_pk_fma_f16 v54, v54, v27, v65
	v_pk_fma_f16 v62, v55, v26, v66
	v_pk_fma_f16 v55, v55, v27, v67
	v_pk_fma_f16 v26, v52, v26, v60
	v_pk_fma_f16 v27, v52, v27, v61
	v_pk_fma_f16 v6, v29, v68, v6
	v_pk_fma_f16 v7, v29, v69, v7
	v_pk_fma_f16 v64, v30, v68, v53
	v_pk_fma_f16 v30, v30, v69, v54
	v_pk_fma_f16 v65, v31, v68, v62
	v_pk_fma_f16 v31, v31, v69, v55
	v_pk_fma_f16 v66, v28, v68, v26
	v_pk_fma_f16 v67, v28, v69, v27
	s_waitcnt vmcnt(1)
	ds_write_b128 v46, v[56:59]
	s_waitcnt vmcnt(0)
	ds_write_b128 v47, v[0:3]
	s_waitcnt lgkmcnt(0)
	s_barrier
	ds_read_b128 v[26:29], v45 offset:64
	ds_read2_b64 v[52:55], v34 offset1:32
	ds_read_b128 v[0:3], v45 offset:80
	ds_read2_b64 v[56:59], v34 offset0:64 offset1:96
	ds_read2_b64 v[60:63], v34 offset0:128 offset1:160
	s_waitcnt lgkmcnt(4)
	v_mul_u32_u24_sdwa v68, v26, s35 dst_sel:DWORD dst_unused:UNUSED_PAD src0_sel:WORD_0 src1_sel:DWORD
	v_mul_u32_u24_sdwa v26, v26, s35 dst_sel:DWORD dst_unused:UNUSED_PAD src0_sel:WORD_1 src1_sel:DWORD
	s_waitcnt lgkmcnt(3)
	v_pk_fma_f16 v66, v52, v68, v66
	v_pk_fma_f16 v67, v52, v26, v67
	v_pk_fma_f16 v6, v53, v68, v6
	v_pk_fma_f16 v7, v53, v26, v7
	v_pk_fma_f16 v64, v54, v68, v64
	v_pk_fma_f16 v30, v54, v26, v30
	v_pk_fma_f16 v65, v55, v68, v65
	v_pk_fma_f16 v26, v55, v26, v31
	ds_read2_b64 v[52:55], v34 offset0:192 offset1:224
	v_mul_u32_u24_sdwa v31, v27, s35 dst_sel:DWORD dst_unused:UNUSED_PAD src0_sel:WORD_0 src1_sel:DWORD
	v_mul_u32_u24_sdwa v27, v27, s35 dst_sel:DWORD dst_unused:UNUSED_PAD src0_sel:WORD_1 src1_sel:DWORD
	s_waitcnt lgkmcnt(2)
	v_pk_fma_f16 v66, v56, v31, v66
	v_pk_fma_f16 v67, v56, v27, v67
	;; [unrolled: 1-line block ×8, first 2 shown]
	ds_read2_b64 v[56:59], v49 offset1:32
	v_mul_u32_u24_sdwa v27, v28, s35 dst_sel:DWORD dst_unused:UNUSED_PAD src0_sel:WORD_0 src1_sel:DWORD
	v_mul_u32_u24_sdwa v28, v28, s35 dst_sel:DWORD dst_unused:UNUSED_PAD src0_sel:WORD_1 src1_sel:DWORD
	s_waitcnt lgkmcnt(2)
	v_pk_fma_f16 v65, v60, v27, v66
	v_pk_fma_f16 v66, v60, v28, v67
	;; [unrolled: 1-line block ×8, first 2 shown]
	ds_read2_b64 v[60:63], v49 offset0:64 offset1:96
	v_mul_u32_u24_sdwa v68, v29, s35 dst_sel:DWORD dst_unused:UNUSED_PAD src0_sel:WORD_0 src1_sel:DWORD
	v_mul_u32_u24_sdwa v69, v29, s35 dst_sel:DWORD dst_unused:UNUSED_PAD src0_sel:WORD_1 src1_sel:DWORD
	ds_read2_b64 v[26:29], v49 offset0:128 offset1:160
	s_waitcnt lgkmcnt(3)
	v_pk_fma_f16 v65, v52, v68, v65
	v_pk_fma_f16 v66, v52, v69, v66
	;; [unrolled: 1-line block ×8, first 2 shown]
	v_mul_u32_u24_sdwa v68, v0, s35 dst_sel:DWORD dst_unused:UNUSED_PAD src0_sel:WORD_0 src1_sel:DWORD
	v_mul_u32_u24_sdwa v0, v0, s35 dst_sel:DWORD dst_unused:UNUSED_PAD src0_sel:WORD_1 src1_sel:DWORD
	ds_read2_b64 v[52:55], v49 offset0:192 offset1:224
	s_waitcnt lgkmcnt(3)
	v_pk_fma_f16 v65, v56, v68, v65
	v_pk_fma_f16 v66, v56, v0, v66
	;; [unrolled: 1-line block ×8, first 2 shown]
	ds_read_b128 v[56:59], v45 offset:96
	v_mul_u32_u24_sdwa v67, v1, s35 dst_sel:DWORD dst_unused:UNUSED_PAD src0_sel:WORD_0 src1_sel:DWORD
	v_mul_u32_u24_sdwa v1, v1, s35 dst_sel:DWORD dst_unused:UNUSED_PAD src0_sel:WORD_1 src1_sel:DWORD
	s_waitcnt lgkmcnt(3)
	v_pk_fma_f16 v65, v60, v67, v65
	v_pk_fma_f16 v66, v60, v1, v66
	v_pk_fma_f16 v6, v61, v67, v6
	v_pk_fma_f16 v7, v61, v1, v7
	v_pk_fma_f16 v64, v62, v67, v64
	v_pk_fma_f16 v30, v62, v1, v30
	v_pk_fma_f16 v31, v63, v67, v31
	v_pk_fma_f16 v0, v63, v1, v0
	ds_read2_b64 v[60:63], v50 offset1:32
	v_mul_u32_u24_sdwa v1, v2, s35 dst_sel:DWORD dst_unused:UNUSED_PAD src0_sel:WORD_0 src1_sel:DWORD
	v_mul_u32_u24_sdwa v2, v2, s35 dst_sel:DWORD dst_unused:UNUSED_PAD src0_sel:WORD_1 src1_sel:DWORD
	s_waitcnt lgkmcnt(3)
	v_pk_fma_f16 v65, v26, v1, v65
	v_pk_fma_f16 v66, v26, v2, v66
	;; [unrolled: 1-line block ×8, first 2 shown]
	v_mul_u32_u24_sdwa v68, v3, s35 dst_sel:DWORD dst_unused:UNUSED_PAD src0_sel:WORD_0 src1_sel:DWORD
	v_mul_u32_u24_sdwa v69, v3, s35 dst_sel:DWORD dst_unused:UNUSED_PAD src0_sel:WORD_1 src1_sel:DWORD
	ds_read2_b64 v[0:3], v50 offset0:64 offset1:96
	ds_read_b128 v[26:29], v45 offset:112
	s_waitcnt lgkmcnt(4)
	v_pk_fma_f16 v65, v52, v68, v65
	v_pk_fma_f16 v66, v52, v69, v66
	;; [unrolled: 1-line block ×8, first 2 shown]
	ds_read2_b64 v[52:55], v50 offset0:128 offset1:160
	s_waitcnt lgkmcnt(4)
	v_mul_u32_u24_sdwa v68, v56, s35 dst_sel:DWORD dst_unused:UNUSED_PAD src0_sel:WORD_0 src1_sel:DWORD
	v_mul_u32_u24_sdwa v56, v56, s35 dst_sel:DWORD dst_unused:UNUSED_PAD src0_sel:WORD_1 src1_sel:DWORD
	s_waitcnt lgkmcnt(3)
	v_pk_fma_f16 v65, v60, v68, v65
	v_pk_fma_f16 v66, v60, v56, v66
	;; [unrolled: 1-line block ×8, first 2 shown]
	ds_read2_b64 v[60:63], v50 offset0:192 offset1:224
	v_mul_u32_u24_sdwa v67, v57, s35 dst_sel:DWORD dst_unused:UNUSED_PAD src0_sel:WORD_0 src1_sel:DWORD
	v_mul_u32_u24_sdwa v57, v57, s35 dst_sel:DWORD dst_unused:UNUSED_PAD src0_sel:WORD_1 src1_sel:DWORD
	s_waitcnt lgkmcnt(3)
	v_pk_fma_f16 v65, v0, v67, v65
	v_pk_fma_f16 v66, v0, v57, v66
	;; [unrolled: 1-line block ×8, first 2 shown]
	v_mul_u32_u24_sdwa v57, v58, s35 dst_sel:DWORD dst_unused:UNUSED_PAD src0_sel:WORD_0 src1_sel:DWORD
	v_mul_u32_u24_sdwa v58, v58, s35 dst_sel:DWORD dst_unused:UNUSED_PAD src0_sel:WORD_1 src1_sel:DWORD
	ds_read2_b64 v[0:3], v51 offset1:32
	s_waitcnt lgkmcnt(2)
	v_pk_fma_f16 v65, v52, v57, v65
	v_pk_fma_f16 v66, v52, v58, v66
	;; [unrolled: 1-line block ×8, first 2 shown]
	v_mul_u32_u24_sdwa v68, v59, s35 dst_sel:DWORD dst_unused:UNUSED_PAD src0_sel:WORD_0 src1_sel:DWORD
	v_mul_u32_u24_sdwa v69, v59, s35 dst_sel:DWORD dst_unused:UNUSED_PAD src0_sel:WORD_1 src1_sel:DWORD
	ds_read2_b64 v[52:55], v51 offset0:64 offset1:96
	ds_read2_b64 v[56:59], v51 offset0:128 offset1:160
	s_waitcnt lgkmcnt(3)
	v_pk_fma_f16 v65, v60, v68, v65
	v_pk_fma_f16 v66, v60, v69, v66
	;; [unrolled: 1-line block ×8, first 2 shown]
	ds_read2_b64 v[60:63], v51 offset0:192 offset1:224
	s_waitcnt lgkmcnt(0)
	s_barrier
	s_load_dword s4, s[10:11], 0x4
	v_mul_u32_u24_sdwa v68, v26, s35 dst_sel:DWORD dst_unused:UNUSED_PAD src0_sel:WORD_0 src1_sel:DWORD
	v_mul_u32_u24_sdwa v26, v26, s35 dst_sel:DWORD dst_unused:UNUSED_PAD src0_sel:WORD_1 src1_sel:DWORD
	v_pk_fma_f16 v65, v0, v68, v65
	v_pk_fma_f16 v6, v1, v68, v6
	;; [unrolled: 1-line block ×4, first 2 shown]
	v_mul_u32_u24_sdwa v68, v27, s35 dst_sel:DWORD dst_unused:UNUSED_PAD src0_sel:WORD_0 src1_sel:DWORD
	v_pk_fma_f16 v0, v0, v26, v66
	v_pk_fma_f16 v1, v1, v26, v7
	;; [unrolled: 1-line block ×4, first 2 shown]
	v_mul_u32_u24_sdwa v7, v27, s35 dst_sel:DWORD dst_unused:UNUSED_PAD src0_sel:WORD_1 src1_sel:DWORD
	v_mul_u32_u24_sdwa v26, v28, s35 dst_sel:DWORD dst_unused:UNUSED_PAD src0_sel:WORD_0 src1_sel:DWORD
	v_mul_u32_u24_sdwa v27, v28, s35 dst_sel:DWORD dst_unused:UNUSED_PAD src0_sel:WORD_1 src1_sel:DWORD
	s_waitcnt lgkmcnt(0)
	s_lshl_b32 s4, s4, 5
	v_pk_fma_f16 v30, v52, v68, v65
	v_pk_fma_f16 v0, v52, v7, v0
	;; [unrolled: 1-line block ×8, first 2 shown]
	v_mul_u32_u24_sdwa v28, v29, s35 dst_sel:DWORD dst_unused:UNUSED_PAD src0_sel:WORD_0 src1_sel:DWORD
	v_mul_u32_u24_sdwa v29, v29, s35 dst_sel:DWORD dst_unused:UNUSED_PAD src0_sel:WORD_1 src1_sel:DWORD
	s_add_i32 s2, s4, s2
	v_pk_fma_f16 v7, v56, v26, v30
	v_pk_fma_f16 v0, v56, v27, v0
	;; [unrolled: 1-line block ×8, first 2 shown]
	s_cmp_ge_i32 s2, s24
	v_pk_fma_f16 v57, v60, v28, v7
	v_pk_fma_f16 v54, v60, v29, v0
	v_pk_fma_f16 v59, v61, v28, v6
	v_pk_fma_f16 v55, v61, v29, v1
	v_pk_fma_f16 v58, v62, v28, v30
	v_pk_fma_f16 v53, v62, v29, v2
	v_pk_fma_f16 v56, v63, v28, v26
	v_pk_fma_f16 v52, v63, v29, v3
	s_cbranch_scc0 .LBB17_9
.LBB17_10:
	v_cmp_lt_i32_e32 vcc, v40, v35
	s_cmp_lg_u64 s[12:13], 0
	s_cselect_b64 s[4:5], -1, 0
	v_cndmask_b32_e32 v0, v19, v40, vcc
	v_lshlrev_b32_e32 v1, 2, v0
	ds_bpermute_b32 v0, v1, v10
	ds_bpermute_b32 v1, v1, v11
	v_cmp_lt_i32_e32 vcc, v39, v35
	s_cmp_eq_u32 s3, 0
	s_cselect_b64 s[6:7], -1, 0
	v_cndmask_b32_e32 v2, v19, v39, vcc
	v_lshlrev_b32_e32 v3, 2, v2
	s_waitcnt lgkmcnt(0)
	v_pk_add_f32 v[0:1], v[10:11], v[0:1]
	ds_bpermute_b32 v2, v3, v0
	ds_bpermute_b32 v3, v3, v1
	v_cmp_lt_i32_e32 vcc, v38, v35
	s_and_b64 s[4:5], s[6:7], s[4:5]
	s_waitcnt lgkmcnt(0)
	v_pk_add_f32 v[0:1], v[0:1], v[2:3]
	v_cndmask_b32_e32 v6, v19, v38, vcc
	v_lshlrev_b32_e32 v6, 2, v6
	ds_bpermute_b32 v2, v6, v0
	ds_bpermute_b32 v3, v6, v1
	v_cmp_lt_i32_e32 vcc, v37, v35
	s_waitcnt lgkmcnt(0)
	v_pk_add_f32 v[0:1], v[0:1], v[2:3]
	v_cndmask_b32_e32 v6, v19, v37, vcc
	v_lshlrev_b32_e32 v6, 2, v6
	ds_bpermute_b32 v2, v6, v0
	ds_bpermute_b32 v3, v6, v1
	v_cmp_lt_i32_e32 vcc, v36, v35
	s_waitcnt lgkmcnt(0)
	v_pk_add_f32 v[0:1], v[0:1], v[2:3]
	v_cndmask_b32_e32 v6, v19, v36, vcc
	v_lshlrev_b32_e32 v6, 2, v6
	ds_bpermute_b32 v2, v6, v0
	ds_bpermute_b32 v3, v6, v1
	s_and_b64 vcc, exec, s[4:5]
	s_waitcnt lgkmcnt(0)
	v_pk_add_f32 v[0:1], v[0:1], v[2:3]
	s_cbranch_vccz .LBB17_12
; %bb.11:
	v_add_u32_e32 v2, s25, v32
	v_ashrrev_i32_e32 v3, 31, v2
	v_lshl_add_u64 v[2:3], v[2:3], 2, s[12:13]
	global_load_dwordx2 v[2:3], v[2:3], off
	v_max_f32_e32 v6, v4, v4
	v_max_f32_e32 v7, v5, v5
	s_mov_b32 s2, 0x3fb8aa3b
	s_mov_b32 s4, 0xc2ce8ed0
	;; [unrolled: 1-line block ×3, first 2 shown]
	v_mov_b32_e32 v10, 0x7f800000
	s_waitcnt vmcnt(0)
	v_max_f32_e32 v11, v2, v2
	v_max_f32_e32 v6, v6, v11
	;; [unrolled: 1-line block ×3, first 2 shown]
	v_sub_f32_e32 v4, v4, v6
	v_max_f32_e32 v7, v7, v12
	v_sub_f32_e32 v11, v2, v6
	v_mul_f32_e32 v2, 0x3fb8aa3b, v4
	v_sub_f32_e32 v5, v5, v7
	v_sub_f32_e32 v12, v3, v7
	v_mul_f32_e32 v3, 0x3fb8aa3b, v11
	v_fma_f32 v15, v4, s2, -v2
	v_rndne_f32_e32 v16, v2
	v_mul_f32_e32 v13, 0x3fb8aa3b, v5
	v_fma_f32 v17, v11, s2, -v3
	v_rndne_f32_e32 v18, v3
	v_fmac_f32_e32 v15, 0x32a5705f, v4
	v_sub_f32_e32 v2, v2, v16
	v_mul_f32_e32 v14, 0x3fb8aa3b, v12
	v_fma_f32 v19, v5, s2, -v13
	v_rndne_f32_e32 v20, v13
	v_fmac_f32_e32 v17, 0x32a5705f, v11
	v_sub_f32_e32 v3, v3, v18
	v_add_f32_e32 v2, v2, v15
	v_fma_f32 v21, v12, s2, -v14
	v_rndne_f32_e32 v22, v14
	v_cvt_i32_f32_e32 v16, v16
	v_fmac_f32_e32 v19, 0x32a5705f, v5
	v_sub_f32_e32 v13, v13, v20
	v_add_f32_e32 v3, v3, v17
	v_exp_f32_e32 v2, v2
	v_cvt_i32_f32_e32 v18, v18
	v_fmac_f32_e32 v21, 0x32a5705f, v12
	v_sub_f32_e32 v14, v14, v22
	v_add_f32_e32 v13, v13, v19
	v_exp_f32_e32 v3, v3
	v_cvt_i32_f32_e32 v20, v20
	v_add_f32_e32 v14, v14, v21
	v_exp_f32_e32 v13, v13
	v_cvt_i32_f32_e32 v22, v22
	v_exp_f32_e32 v14, v14
	v_ldexp_f32 v2, v2, v16
	v_cmp_ngt_f32_e32 vcc, s4, v4
	v_ldexp_f32 v3, v3, v18
	v_ldexp_f32 v13, v13, v20
	v_cndmask_b32_e32 v2, 0, v2, vcc
	v_cmp_ngt_f32_e32 vcc, s4, v11
	v_ldexp_f32 v14, v14, v22
	s_nop 0
	v_cndmask_b32_e32 v3, 0, v3, vcc
	v_cmp_ngt_f32_e32 vcc, s4, v5
	s_nop 1
	v_cndmask_b32_e32 v13, 0, v13, vcc
	v_cmp_ngt_f32_e32 vcc, s4, v12
	s_nop 1
	v_cndmask_b32_e32 v14, 0, v14, vcc
	v_cmp_nlt_f32_e32 vcc, s5, v4
	s_nop 1
	v_cndmask_b32_e32 v2, v10, v2, vcc
	v_cmp_nlt_f32_e32 vcc, s5, v11
	v_cvt_f16_f32_e32 v11, v2
	s_nop 0
	v_cndmask_b32_e32 v4, v10, v3, vcc
	v_cmp_nlt_f32_e32 vcc, s5, v5
	s_nop 1
	v_cndmask_b32_e32 v3, v10, v13, vcc
	v_cvt_f16_f32_e32 v13, v3
	v_cmp_nlt_f32_e32 vcc, s5, v12
	s_nop 1
	v_cndmask_b32_e32 v5, v10, v14, vcc
	v_pk_fma_f32 v[0:1], v[0:1], v[2:3], v[4:5]
	v_mul_u32_u24_e32 v2, 0x10001, v11
	v_mul_u32_u24_e32 v3, 0x10001, v13
	v_pk_mul_f16 v57, v57, v2
	v_pk_mul_f16 v59, v59, v2
	;; [unrolled: 1-line block ×8, first 2 shown]
	v_mov_b64_e32 v[4:5], v[6:7]
.LBB17_12:
	v_cmp_gt_i32_e32 vcc, s22, v9
	s_and_saveexec_b64 s[4:5], vcc
	s_cbranch_execz .LBB17_21
; %bb.13:
	s_load_dword s6, s[0:1], 0xd4
	v_mov_b32_e32 v6, 1.0
	s_waitcnt lgkmcnt(0)
	s_cmp_lg_u32 s6, 1
	s_cselect_b64 s[0:1], -1, 0
	s_cmp_eq_u32 s6, 1
	s_cselect_b64 s[4:5], -1, 0
	s_and_b64 vcc, exec, s[0:1]
	s_cbranch_vccnz .LBB17_15
; %bb.14:
	v_div_scale_f32 v2, s[8:9], v0, v0, 1.0
	v_rcp_f32_e32 v3, v2
	v_div_scale_f32 v6, vcc, 1.0, v0, 1.0
	v_fma_f32 v7, -v2, v3, 1.0
	v_fmac_f32_e32 v3, v7, v3
	v_mul_f32_e32 v7, v6, v3
	v_fma_f32 v10, -v2, v7, v6
	v_fmac_f32_e32 v7, v10, v3
	v_fma_f32 v2, -v2, v7, v6
	v_div_fmas_f32 v2, v2, v3, v7
	v_div_fixup_f32 v6, v2, v0, 1.0
.LBB17_15:
	s_mul_i32 s30, s30, s22
	v_add_u32_e32 v2, s30, v9
	v_mul_lo_u32 v2, v2, s23
	v_add3_u32 v2, s25, v32, v2
	v_cmp_eq_u32_e32 vcc, 0, v8
	v_cvt_f32_f16_sdwa v9, v57 dst_sel:DWORD dst_unused:UNUSED_PAD src0_sel:WORD_1
	v_cvt_f32_f16_e32 v8, v57
	v_cvt_f32_f16_sdwa v11, v59 dst_sel:DWORD dst_unused:UNUSED_PAD src0_sel:WORD_1
	v_cvt_f32_f16_e32 v10, v59
	v_mul_lo_u32 v2, s6, v2
	v_add_u32_e32 v2, s3, v2
	v_lshl_add_u32 v12, v2, 8, v33
	v_mov_b32_e32 v13, 0
	v_lshl_add_u64 v[14:15], v[12:13], 2, s[16:17]
	v_pk_mul_f32 v[8:9], v[6:7], v[8:9] op_sel_hi:[0,1]
	v_pk_mul_f32 v[10:11], v[6:7], v[10:11] op_sel_hi:[0,1]
	global_store_dwordx4 v[14:15], v[8:11], off
	v_add_u32_e32 v12, 0x80, v12
	s_and_b64 s[0:1], vcc, s[0:1]
	v_cvt_f32_f16_sdwa v9, v58 dst_sel:DWORD dst_unused:UNUSED_PAD src0_sel:WORD_1
	v_cvt_f32_f16_e32 v8, v58
	v_cvt_f32_f16_sdwa v11, v56 dst_sel:DWORD dst_unused:UNUSED_PAD src0_sel:WORD_1
	v_cvt_f32_f16_e32 v10, v56
	v_lshl_add_u64 v[12:13], v[12:13], 2, s[16:17]
	v_pk_mul_f32 v[8:9], v[6:7], v[8:9] op_sel_hi:[0,1]
	v_pk_mul_f32 v[10:11], v[6:7], v[10:11] op_sel_hi:[0,1]
	global_store_dwordx4 v[12:13], v[8:11], off
	s_and_saveexec_b64 s[2:3], s[0:1]
	s_cbranch_execz .LBB17_17
; %bb.16:
	v_ashrrev_i32_e32 v3, 31, v2
	v_lshl_add_u64 v[6:7], v[2:3], 3, s[18:19]
	v_mov_b32_e32 v8, v4
	v_mov_b32_e32 v9, v0
	global_store_dwordx2 v[6:7], v[8:9], off
.LBB17_17:
	s_or_b64 exec, exec, s[2:3]
	s_andn2_b64 vcc, exec, s[4:5]
	v_mov_b32_e32 v0, 1.0
	s_cbranch_vccnz .LBB17_19
; %bb.18:
	v_div_scale_f32 v0, s[2:3], v1, v1, 1.0
	v_rcp_f32_e32 v3, v0
	v_div_scale_f32 v4, vcc, 1.0, v1, 1.0
	v_fma_f32 v6, -v0, v3, 1.0
	v_fmac_f32_e32 v3, v6, v3
	v_mul_f32_e32 v6, v4, v3
	v_fma_f32 v7, -v0, v6, v4
	v_fmac_f32_e32 v6, v7, v3
	v_fma_f32 v0, -v0, v6, v4
	v_div_fmas_f32 v0, v0, v3, v6
	v_div_fixup_f32 v0, v0, v1, 1.0
.LBB17_19:
	v_cvt_f32_f16_sdwa v7, v54 dst_sel:DWORD dst_unused:UNUSED_PAD src0_sel:WORD_1
	v_cvt_f32_f16_e32 v6, v54
	v_cvt_f32_f16_sdwa v9, v55 dst_sel:DWORD dst_unused:UNUSED_PAD src0_sel:WORD_1
	v_cvt_f32_f16_e32 v8, v55
	v_add_u32_e32 v2, s6, v2
	v_lshl_add_u32 v10, v2, 8, v33
	v_mov_b32_e32 v11, 0
	v_lshl_add_u64 v[12:13], v[10:11], 2, s[16:17]
	v_pk_mul_f32 v[6:7], v[0:1], v[6:7] op_sel_hi:[0,1]
	v_pk_mul_f32 v[8:9], v[0:1], v[8:9] op_sel_hi:[0,1]
	global_store_dwordx4 v[12:13], v[6:9], off
	v_add_u32_e32 v10, 0x80, v10
	v_lshl_add_u64 v[10:11], v[10:11], 2, s[16:17]
	v_cvt_f32_f16_sdwa v7, v53 dst_sel:DWORD dst_unused:UNUSED_PAD src0_sel:WORD_1
	v_cvt_f32_f16_e32 v6, v53
	v_cvt_f32_f16_sdwa v9, v52 dst_sel:DWORD dst_unused:UNUSED_PAD src0_sel:WORD_1
	v_cvt_f32_f16_e32 v8, v52
	v_pk_mul_f32 v[6:7], v[0:1], v[6:7] op_sel_hi:[0,1]
	v_pk_mul_f32 v[8:9], v[0:1], v[8:9] op_sel_hi:[0,1]
	global_store_dwordx4 v[10:11], v[6:9], off
	s_and_b64 exec, exec, s[0:1]
	s_cbranch_execz .LBB17_21
; %bb.20:
	v_ashrrev_i32_e32 v3, 31, v2
	v_lshl_add_u64 v[2:3], v[2:3], 3, s[18:19]
	v_mov_b32_e32 v0, v5
	global_store_dwordx2 v[2:3], v[0:1], off
.LBB17_21:
	s_endpgm
	.section	.rodata,"a",@progbits
	.p2align	6, 0x0
	.amdhsa_kernel _ZL15flash_attn_tileILi256ELi256ELi4ELi4ELb0EEvPKcS1_S1_S1_S1_PKiPfP15HIP_vector_typeIfLj2EEffffjfiS5_IjLj3EEiiiiiiiiiiiliiliiiiil
		.amdhsa_group_segment_fixed_size 17920
		.amdhsa_private_segment_fixed_size 0
		.amdhsa_kernarg_size 464
		.amdhsa_user_sgpr_count 2
		.amdhsa_user_sgpr_dispatch_ptr 0
		.amdhsa_user_sgpr_queue_ptr 0
		.amdhsa_user_sgpr_kernarg_segment_ptr 1
		.amdhsa_user_sgpr_dispatch_id 0
		.amdhsa_user_sgpr_kernarg_preload_length 0
		.amdhsa_user_sgpr_kernarg_preload_offset 0
		.amdhsa_user_sgpr_private_segment_size 0
		.amdhsa_uses_dynamic_stack 0
		.amdhsa_enable_private_segment 0
		.amdhsa_system_sgpr_workgroup_id_x 1
		.amdhsa_system_sgpr_workgroup_id_y 1
		.amdhsa_system_sgpr_workgroup_id_z 1
		.amdhsa_system_sgpr_workgroup_info 0
		.amdhsa_system_vgpr_workitem_id 1
		.amdhsa_next_free_vgpr 72
		.amdhsa_next_free_sgpr 40
		.amdhsa_accum_offset 72
		.amdhsa_reserve_vcc 1
		.amdhsa_float_round_mode_32 0
		.amdhsa_float_round_mode_16_64 0
		.amdhsa_float_denorm_mode_32 3
		.amdhsa_float_denorm_mode_16_64 3
		.amdhsa_dx10_clamp 1
		.amdhsa_ieee_mode 1
		.amdhsa_fp16_overflow 0
		.amdhsa_tg_split 0
		.amdhsa_exception_fp_ieee_invalid_op 0
		.amdhsa_exception_fp_denorm_src 0
		.amdhsa_exception_fp_ieee_div_zero 0
		.amdhsa_exception_fp_ieee_overflow 0
		.amdhsa_exception_fp_ieee_underflow 0
		.amdhsa_exception_fp_ieee_inexact 0
		.amdhsa_exception_int_div_zero 0
	.end_amdhsa_kernel
	.section	.text._ZL15flash_attn_tileILi256ELi256ELi4ELi4ELb0EEvPKcS1_S1_S1_S1_PKiPfP15HIP_vector_typeIfLj2EEffffjfiS5_IjLj3EEiiiiiiiiiiiliiliiiiil,"axG",@progbits,_ZL15flash_attn_tileILi256ELi256ELi4ELi4ELb0EEvPKcS1_S1_S1_S1_PKiPfP15HIP_vector_typeIfLj2EEffffjfiS5_IjLj3EEiiiiiiiiiiiliiliiiiil,comdat
.Lfunc_end17:
	.size	_ZL15flash_attn_tileILi256ELi256ELi4ELi4ELb0EEvPKcS1_S1_S1_S1_PKiPfP15HIP_vector_typeIfLj2EEffffjfiS5_IjLj3EEiiiiiiiiiiiliiliiiiil, .Lfunc_end17-_ZL15flash_attn_tileILi256ELi256ELi4ELi4ELb0EEvPKcS1_S1_S1_S1_PKiPfP15HIP_vector_typeIfLj2EEffffjfiS5_IjLj3EEiiiiiiiiiiiliiliiiiil
                                        ; -- End function
	.set _ZL15flash_attn_tileILi256ELi256ELi4ELi4ELb0EEvPKcS1_S1_S1_S1_PKiPfP15HIP_vector_typeIfLj2EEffffjfiS5_IjLj3EEiiiiiiiiiiiliiliiiiil.num_vgpr, 72
	.set _ZL15flash_attn_tileILi256ELi256ELi4ELi4ELb0EEvPKcS1_S1_S1_S1_PKiPfP15HIP_vector_typeIfLj2EEffffjfiS5_IjLj3EEiiiiiiiiiiiliiliiiiil.num_agpr, 0
	.set _ZL15flash_attn_tileILi256ELi256ELi4ELi4ELb0EEvPKcS1_S1_S1_S1_PKiPfP15HIP_vector_typeIfLj2EEffffjfiS5_IjLj3EEiiiiiiiiiiiliiliiiiil.numbered_sgpr, 40
	.set _ZL15flash_attn_tileILi256ELi256ELi4ELi4ELb0EEvPKcS1_S1_S1_S1_PKiPfP15HIP_vector_typeIfLj2EEffffjfiS5_IjLj3EEiiiiiiiiiiiliiliiiiil.num_named_barrier, 0
	.set _ZL15flash_attn_tileILi256ELi256ELi4ELi4ELb0EEvPKcS1_S1_S1_S1_PKiPfP15HIP_vector_typeIfLj2EEffffjfiS5_IjLj3EEiiiiiiiiiiiliiliiiiil.private_seg_size, 0
	.set _ZL15flash_attn_tileILi256ELi256ELi4ELi4ELb0EEvPKcS1_S1_S1_S1_PKiPfP15HIP_vector_typeIfLj2EEffffjfiS5_IjLj3EEiiiiiiiiiiiliiliiiiil.uses_vcc, 1
	.set _ZL15flash_attn_tileILi256ELi256ELi4ELi4ELb0EEvPKcS1_S1_S1_S1_PKiPfP15HIP_vector_typeIfLj2EEffffjfiS5_IjLj3EEiiiiiiiiiiiliiliiiiil.uses_flat_scratch, 0
	.set _ZL15flash_attn_tileILi256ELi256ELi4ELi4ELb0EEvPKcS1_S1_S1_S1_PKiPfP15HIP_vector_typeIfLj2EEffffjfiS5_IjLj3EEiiiiiiiiiiiliiliiiiil.has_dyn_sized_stack, 0
	.set _ZL15flash_attn_tileILi256ELi256ELi4ELi4ELb0EEvPKcS1_S1_S1_S1_PKiPfP15HIP_vector_typeIfLj2EEffffjfiS5_IjLj3EEiiiiiiiiiiiliiliiiiil.has_recursion, 0
	.set _ZL15flash_attn_tileILi256ELi256ELi4ELi4ELb0EEvPKcS1_S1_S1_S1_PKiPfP15HIP_vector_typeIfLj2EEffffjfiS5_IjLj3EEiiiiiiiiiiiliiliiiiil.has_indirect_call, 0
	.section	.AMDGPU.csdata,"",@progbits
; Kernel info:
; codeLenInByte = 13236
; TotalNumSgprs: 46
; NumVgprs: 72
; NumAgprs: 0
; TotalNumVgprs: 72
; ScratchSize: 0
; MemoryBound: 0
; FloatMode: 240
; IeeeMode: 1
; LDSByteSize: 17920 bytes/workgroup (compile time only)
; SGPRBlocks: 5
; VGPRBlocks: 8
; NumSGPRsForWavesPerEU: 46
; NumVGPRsForWavesPerEU: 72
; AccumOffset: 72
; Occupancy: 7
; WaveLimiterHint : 1
; COMPUTE_PGM_RSRC2:SCRATCH_EN: 0
; COMPUTE_PGM_RSRC2:USER_SGPR: 2
; COMPUTE_PGM_RSRC2:TRAP_HANDLER: 0
; COMPUTE_PGM_RSRC2:TGID_X_EN: 1
; COMPUTE_PGM_RSRC2:TGID_Y_EN: 1
; COMPUTE_PGM_RSRC2:TGID_Z_EN: 1
; COMPUTE_PGM_RSRC2:TIDIG_COMP_CNT: 1
; COMPUTE_PGM_RSRC3_GFX90A:ACCUM_OFFSET: 17
; COMPUTE_PGM_RSRC3_GFX90A:TG_SPLIT: 0
	.section	.text._ZL33flash_attn_stream_k_fixup_uniformILi256ELi4ELi4EEvPfPK15HIP_vector_typeIfLj2EEiiiiiiS1_IjLj3EES5_S5_,"axG",@progbits,_ZL33flash_attn_stream_k_fixup_uniformILi256ELi4ELi4EEvPfPK15HIP_vector_typeIfLj2EEiiiiiiS1_IjLj3EES5_S5_,comdat
	.globl	_ZL33flash_attn_stream_k_fixup_uniformILi256ELi4ELi4EEvPfPK15HIP_vector_typeIfLj2EEiiiiiiS1_IjLj3EES5_S5_ ; -- Begin function _ZL33flash_attn_stream_k_fixup_uniformILi256ELi4ELi4EEvPfPK15HIP_vector_typeIfLj2EEiiiiiiS1_IjLj3EES5_S5_
	.p2align	8
	.type	_ZL33flash_attn_stream_k_fixup_uniformILi256ELi4ELi4EEvPfPK15HIP_vector_typeIfLj2EEiiiiiiS1_IjLj3EES5_S5_,@function
_ZL33flash_attn_stream_k_fixup_uniformILi256ELi4ELi4EEvPfPK15HIP_vector_typeIfLj2EEiiiiiiS1_IjLj3EES5_S5_: ; @_ZL33flash_attn_stream_k_fixup_uniformILi256ELi4ELi4EEvPfPK15HIP_vector_typeIfLj2EEiiiiiiS1_IjLj3EES5_S5_
; %bb.0:
	s_load_dwordx8 s[8:15], s[0:1], 0x1c
	s_load_dwordx2 s[6:7], s[0:1], 0x10
	s_load_dwordx4 s[20:23], s[0:1], 0x3c
	s_waitcnt lgkmcnt(0)
	s_mul_hi_u32 s5, s11, s2
	s_add_i32 s5, s2, s5
	s_lshr_b32 s5, s5, s12
	s_mul_i32 s11, s5, s13
	s_sub_i32 s11, s2, s11
	s_mul_hi_u32 s12, s11, s14
	s_add_i32 s12, s11, s12
	s_lshr_b32 s16, s12, s15
	s_mul_i32 s12, s16, s20
	s_sub_i32 s11, s11, s12
	;; [unrolled: 5-line block ×3, first 2 shown]
	s_lshl_b32 s11, s12, 2
	s_lshl_b32 s12, s17, 2
	s_add_i32 s12, s12, s3
	s_cmp_lt_i32 s12, s6
	s_cselect_b64 s[12:13], -1, 0
	s_add_i32 s14, s11, s4
	s_cmp_lt_i32 s14, s9
	s_cselect_b64 s[14:15], -1, 0
	s_and_b64 s[12:13], s[12:13], s[14:15]
	s_andn2_b64 vcc, exec, s[12:13]
	s_cbranch_vccnz .LBB18_6
; %bb.1:
	s_load_dwordx4 s[12:15], s[0:1], 0x0
	s_mul_i32 s0, s5, s6
	s_add_i32 s0, s0, s3
	s_mul_i32 s0, s0, s7
	s_mul_i32 s16, s16, s9
	s_add_i32 s0, s0, s4
	s_add_i32 s0, s0, s16
	s_mul_i32 s1, s7, s17
	s_add_i32 s0, s0, s11
	s_lshl_b32 s1, s1, 10
	s_lshl_b32 s0, s0, 8
	s_add_i32 s1, s1, s0
	v_or_b32_e32 v4, s1, v0
	s_waitcnt lgkmcnt(0)
	v_mov_b32_e32 v2, s12
	v_mov_b32_e32 v3, s13
	v_ashrrev_i32_e32 v5, 31, v4
	v_lshl_add_u64 v[2:3], v[4:5], 2, v[2:3]
	global_load_dword v5, v[2:3], off
	s_mul_i32 s5, s10, s2
	s_lshl_b32 s11, s3, 2
	s_add_i32 s9, s5, s10
	s_add_i32 s0, s11, s4
	s_lshl_b32 s1, s9, 4
	s_add_i32 s0, s0, s1
	s_add_i32 s0, s0, -16
	s_ashr_i32 s1, s0, 31
	s_lshl_b64 s[0:1], s[0:1], 3
	s_add_u32 s0, s14, s0
	s_addc_u32 s1, s15, s1
	s_load_dword s12, s[0:1], 0x4
	s_add_i32 s6, s9, -2
	s_cmp_lt_i32 s6, s5
	s_cbranch_scc1 .LBB18_4
; %bb.2:
	s_lshl_b32 s6, s8, 6
	s_ashr_i32 s7, s6, 31
	s_lshl_b64 s[6:7], s[6:7], 2
	s_add_u32 s6, s14, s6
	s_addc_u32 s7, s15, s7
	s_add_i32 s2, s2, 1
	s_load_dword s0, s[0:1], 0x0
	s_mul_i32 s1, s10, s2
	s_lshl_b32 s3, s3, 10
	s_lshl_b32 s10, s4, 8
	;; [unrolled: 1-line block ×3, first 2 shown]
	s_add_i32 s3, s10, s3
	s_lshl_b32 s1, s1, 4
	s_add_i32 s3, s3, s2
	s_add_i32 s1, s4, s1
	s_lshl_b32 s2, s8, 4
	s_add_i32 s1, s1, s2
	v_or_b32_e32 v0, s3, v0
	s_add_i32 s1, s1, s11
	s_add_i32 s9, s9, -1
	v_add_u32_e32 v0, 0xffffe000, v0
	s_sub_i32 s2, s1, 32
	s_waitcnt lgkmcnt(0)
	v_mov_b32_e32 v7, s0
	v_mov_b32_e32 v4, s12
	s_mov_b32 s4, 0x3fb8aa3b
	s_mov_b32 s8, 0xc2ce8ed0
	;; [unrolled: 1-line block ×3, first 2 shown]
	v_mov_b32_e32 v6, 0x7f800000
	s_mov_b32 s11, 0xc1a00000
.LBB18_3:                               ; =>This Inner Loop Header: Depth=1
	v_ashrrev_i32_e32 v1, 31, v0
	v_lshl_add_u64 v[8:9], v[0:1], 2, s[6:7]
	global_load_dword v9, v[8:9], off
	s_ashr_i32 s3, s2, 31
	s_lshl_b64 s[0:1], s[2:3], 3
	s_add_u32 s0, s14, s0
	s_addc_u32 s1, s15, s1
	s_load_dwordx2 s[0:1], s[0:1], 0x0
	v_max_f32_e32 v1, v7, v7
	s_add_i32 s9, s9, -1
	s_add_i32 s2, s2, -16
	v_add_u32_e32 v0, 0xfffff000, v0
	s_waitcnt lgkmcnt(0)
	v_max_f32_e64 v10, s0, s0
	v_max_f32_e32 v1, v1, v10
	v_sub_f32_e32 v11, s0, v1
	v_sub_f32_e32 v10, v7, v1
	v_mul_f32_e32 v12, 0x3fb8aa3b, v11
	v_mov_b32_e32 v7, v1
	v_mul_f32_e32 v1, 0x3fb8aa3b, v10
	v_fma_f32 v15, v11, s4, -v12
	v_rndne_f32_e32 v16, v12
	v_fma_f32 v13, v10, s4, -v1
	v_rndne_f32_e32 v14, v1
	v_fmac_f32_e32 v15, 0x32a5705f, v11
	v_sub_f32_e32 v12, v12, v16
	v_fmac_f32_e32 v13, 0x32a5705f, v10
	v_sub_f32_e32 v1, v1, v14
	v_add_f32_e32 v12, v12, v15
	v_cvt_i32_f32_e32 v16, v16
	v_add_f32_e32 v1, v1, v13
	v_exp_f32_e32 v12, v12
	v_cvt_i32_f32_e32 v14, v14
	v_exp_f32_e32 v1, v1
	v_cmp_ngt_f32_e32 vcc, s8, v11
	v_ldexp_f32 v12, v12, v16
	v_mov_b32_e32 v8, s1
	v_ldexp_f32 v1, v1, v14
	v_cmp_ngt_f32_e64 s[0:1], s8, v10
	v_cndmask_b32_e32 v12, 0, v12, vcc
	v_cmp_nlt_f32_e32 vcc, s10, v11
	v_cndmask_b32_e64 v1, 0, v1, s[0:1]
	v_cmp_nlt_f32_e64 s[0:1], s10, v10
	v_cndmask_b32_e32 v12, v6, v12, vcc
	v_cmp_le_f32_e32 vcc, s11, v11
	v_cndmask_b32_e64 v1, v6, v1, s[0:1]
	v_cmp_le_f32_e64 s[0:1], s11, v10
	v_cndmask_b32_e32 v12, 0, v12, vcc
	s_cmp_le_i32 s9, s5
	v_cndmask_b32_e64 v10, 0, v1, s[0:1]
	s_waitcnt vmcnt(0)
	v_pk_mul_f32 v[8:9], v[8:9], v[12:13] op_sel_hi:[1,0]
	s_nop 0
	v_pk_fma_f32 v[4:5], v[4:5], v[10:11], v[8:9] op_sel_hi:[1,0,1]
	s_cbranch_scc0 .LBB18_3
	s_branch .LBB18_5
.LBB18_4:
	s_waitcnt lgkmcnt(0)
	v_mov_b32_e32 v4, s12
.LBB18_5:
	s_waitcnt vmcnt(0)
	v_div_scale_f32 v0, s[0:1], v4, v4, v5
	v_rcp_f32_e32 v1, v0
	v_div_scale_f32 v6, vcc, v5, v4, v5
	v_fma_f32 v7, -v0, v1, 1.0
	v_fmac_f32_e32 v1, v7, v1
	v_mul_f32_e32 v7, v6, v1
	v_fma_f32 v8, -v0, v7, v6
	v_fmac_f32_e32 v7, v8, v1
	v_fma_f32 v0, -v0, v7, v6
	v_div_fmas_f32 v0, v0, v1, v7
	v_div_fixup_f32 v0, v0, v4, v5
	global_store_dword v[2:3], v0, off
.LBB18_6:
	s_endpgm
	.section	.rodata,"a",@progbits
	.p2align	6, 0x0
	.amdhsa_kernel _ZL33flash_attn_stream_k_fixup_uniformILi256ELi4ELi4EEvPfPK15HIP_vector_typeIfLj2EEiiiiiiS1_IjLj3EES5_S5_
		.amdhsa_group_segment_fixed_size 0
		.amdhsa_private_segment_fixed_size 0
		.amdhsa_kernarg_size 76
		.amdhsa_user_sgpr_count 2
		.amdhsa_user_sgpr_dispatch_ptr 0
		.amdhsa_user_sgpr_queue_ptr 0
		.amdhsa_user_sgpr_kernarg_segment_ptr 1
		.amdhsa_user_sgpr_dispatch_id 0
		.amdhsa_user_sgpr_kernarg_preload_length 0
		.amdhsa_user_sgpr_kernarg_preload_offset 0
		.amdhsa_user_sgpr_private_segment_size 0
		.amdhsa_uses_dynamic_stack 0
		.amdhsa_enable_private_segment 0
		.amdhsa_system_sgpr_workgroup_id_x 1
		.amdhsa_system_sgpr_workgroup_id_y 1
		.amdhsa_system_sgpr_workgroup_id_z 1
		.amdhsa_system_sgpr_workgroup_info 0
		.amdhsa_system_vgpr_workitem_id 0
		.amdhsa_next_free_vgpr 17
		.amdhsa_next_free_sgpr 24
		.amdhsa_accum_offset 20
		.amdhsa_reserve_vcc 1
		.amdhsa_float_round_mode_32 0
		.amdhsa_float_round_mode_16_64 0
		.amdhsa_float_denorm_mode_32 3
		.amdhsa_float_denorm_mode_16_64 3
		.amdhsa_dx10_clamp 1
		.amdhsa_ieee_mode 1
		.amdhsa_fp16_overflow 0
		.amdhsa_tg_split 0
		.amdhsa_exception_fp_ieee_invalid_op 0
		.amdhsa_exception_fp_denorm_src 0
		.amdhsa_exception_fp_ieee_div_zero 0
		.amdhsa_exception_fp_ieee_overflow 0
		.amdhsa_exception_fp_ieee_underflow 0
		.amdhsa_exception_fp_ieee_inexact 0
		.amdhsa_exception_int_div_zero 0
	.end_amdhsa_kernel
	.section	.text._ZL33flash_attn_stream_k_fixup_uniformILi256ELi4ELi4EEvPfPK15HIP_vector_typeIfLj2EEiiiiiiS1_IjLj3EES5_S5_,"axG",@progbits,_ZL33flash_attn_stream_k_fixup_uniformILi256ELi4ELi4EEvPfPK15HIP_vector_typeIfLj2EEiiiiiiS1_IjLj3EES5_S5_,comdat
.Lfunc_end18:
	.size	_ZL33flash_attn_stream_k_fixup_uniformILi256ELi4ELi4EEvPfPK15HIP_vector_typeIfLj2EEiiiiiiS1_IjLj3EES5_S5_, .Lfunc_end18-_ZL33flash_attn_stream_k_fixup_uniformILi256ELi4ELi4EEvPfPK15HIP_vector_typeIfLj2EEiiiiiiS1_IjLj3EES5_S5_
                                        ; -- End function
	.set _ZL33flash_attn_stream_k_fixup_uniformILi256ELi4ELi4EEvPfPK15HIP_vector_typeIfLj2EEiiiiiiS1_IjLj3EES5_S5_.num_vgpr, 17
	.set _ZL33flash_attn_stream_k_fixup_uniformILi256ELi4ELi4EEvPfPK15HIP_vector_typeIfLj2EEiiiiiiS1_IjLj3EES5_S5_.num_agpr, 0
	.set _ZL33flash_attn_stream_k_fixup_uniformILi256ELi4ELi4EEvPfPK15HIP_vector_typeIfLj2EEiiiiiiS1_IjLj3EES5_S5_.numbered_sgpr, 24
	.set _ZL33flash_attn_stream_k_fixup_uniformILi256ELi4ELi4EEvPfPK15HIP_vector_typeIfLj2EEiiiiiiS1_IjLj3EES5_S5_.num_named_barrier, 0
	.set _ZL33flash_attn_stream_k_fixup_uniformILi256ELi4ELi4EEvPfPK15HIP_vector_typeIfLj2EEiiiiiiS1_IjLj3EES5_S5_.private_seg_size, 0
	.set _ZL33flash_attn_stream_k_fixup_uniformILi256ELi4ELi4EEvPfPK15HIP_vector_typeIfLj2EEiiiiiiS1_IjLj3EES5_S5_.uses_vcc, 1
	.set _ZL33flash_attn_stream_k_fixup_uniformILi256ELi4ELi4EEvPfPK15HIP_vector_typeIfLj2EEiiiiiiS1_IjLj3EES5_S5_.uses_flat_scratch, 0
	.set _ZL33flash_attn_stream_k_fixup_uniformILi256ELi4ELi4EEvPfPK15HIP_vector_typeIfLj2EEiiiiiiS1_IjLj3EES5_S5_.has_dyn_sized_stack, 0
	.set _ZL33flash_attn_stream_k_fixup_uniformILi256ELi4ELi4EEvPfPK15HIP_vector_typeIfLj2EEiiiiiiS1_IjLj3EES5_S5_.has_recursion, 0
	.set _ZL33flash_attn_stream_k_fixup_uniformILi256ELi4ELi4EEvPfPK15HIP_vector_typeIfLj2EEiiiiiiS1_IjLj3EES5_S5_.has_indirect_call, 0
	.section	.AMDGPU.csdata,"",@progbits
; Kernel info:
; codeLenInByte = 836
; TotalNumSgprs: 30
; NumVgprs: 17
; NumAgprs: 0
; TotalNumVgprs: 17
; ScratchSize: 0
; MemoryBound: 0
; FloatMode: 240
; IeeeMode: 1
; LDSByteSize: 0 bytes/workgroup (compile time only)
; SGPRBlocks: 3
; VGPRBlocks: 2
; NumSGPRsForWavesPerEU: 30
; NumVGPRsForWavesPerEU: 17
; AccumOffset: 20
; Occupancy: 8
; WaveLimiterHint : 0
; COMPUTE_PGM_RSRC2:SCRATCH_EN: 0
; COMPUTE_PGM_RSRC2:USER_SGPR: 2
; COMPUTE_PGM_RSRC2:TRAP_HANDLER: 0
; COMPUTE_PGM_RSRC2:TGID_X_EN: 1
; COMPUTE_PGM_RSRC2:TGID_Y_EN: 1
; COMPUTE_PGM_RSRC2:TGID_Z_EN: 1
; COMPUTE_PGM_RSRC2:TIDIG_COMP_CNT: 0
; COMPUTE_PGM_RSRC3_GFX90A:ACCUM_OFFSET: 4
; COMPUTE_PGM_RSRC3_GFX90A:TG_SPLIT: 0
	.section	.text._ZL33flash_attn_stream_k_fixup_generalILi256ELi4ELi4EEvPfPK15HIP_vector_typeIfLj2EEiiiiS1_IjLj3EES5_S5_S5_,"axG",@progbits,_ZL33flash_attn_stream_k_fixup_generalILi256ELi4ELi4EEvPfPK15HIP_vector_typeIfLj2EEiiiiS1_IjLj3EES5_S5_S5_,comdat
	.globl	_ZL33flash_attn_stream_k_fixup_generalILi256ELi4ELi4EEvPfPK15HIP_vector_typeIfLj2EEiiiiS1_IjLj3EES5_S5_S5_ ; -- Begin function _ZL33flash_attn_stream_k_fixup_generalILi256ELi4ELi4EEvPfPK15HIP_vector_typeIfLj2EEiiiiS1_IjLj3EES5_S5_S5_
	.p2align	8
	.type	_ZL33flash_attn_stream_k_fixup_generalILi256ELi4ELi4EEvPfPK15HIP_vector_typeIfLj2EEiiiiS1_IjLj3EES5_S5_S5_,@function
_ZL33flash_attn_stream_k_fixup_generalILi256ELi4ELi4EEvPfPK15HIP_vector_typeIfLj2EEiiiiS1_IjLj3EES5_S5_S5_: ; @_ZL33flash_attn_stream_k_fixup_generalILi256ELi4ELi4EEvPfPK15HIP_vector_typeIfLj2EEiiiiS1_IjLj3EES5_S5_S5_
; %bb.0:
	s_load_dwordx4 s[8:11], s[0:1], 0x10
	s_load_dword s22, s[0:1], 0x50
	s_mov_b32 s12, 0
	s_waitcnt lgkmcnt(0)
	s_mul_hi_i32 s13, s11, s2
	s_cmp_lg_u64 s[12:13], 0
	s_mul_i32 s5, s11, s2
	s_cbranch_scc0 .LBB19_20
; %bb.1:
	s_add_u32 s6, s22, 0
	s_addc_u32 s7, 0, 0
	s_xor_b64 s[6:7], s[6:7], 0
	v_cvt_f32_u32_e32 v1, s6
	v_cvt_f32_u32_e32 v2, s7
	s_sub_u32 s12, 0, s6
	s_subb_u32 s18, 0, s7
	v_fmamk_f32 v1, v2, 0x4f800000, v1
	v_rcp_f32_e32 v1, v1
	s_nop 0
	v_mul_f32_e32 v1, 0x5f7ffffc, v1
	v_mul_f32_e32 v2, 0x2f800000, v1
	v_trunc_f32_e32 v2, v2
	v_fmamk_f32 v1, v2, 0xcf800000, v1
	v_cvt_u32_f32_e32 v2, v2
	v_cvt_u32_f32_e32 v1, v1
	v_readfirstlane_b32 s19, v2
	v_readfirstlane_b32 s14, v1
	s_mul_i32 s15, s12, s19
	s_mul_hi_u32 s21, s12, s14
	s_mul_i32 s20, s18, s14
	s_add_i32 s15, s21, s15
	s_add_i32 s15, s15, s20
	s_mul_i32 s23, s12, s14
	s_mul_i32 s21, s14, s15
	s_mul_hi_u32 s24, s14, s23
	s_mul_hi_u32 s20, s14, s15
	s_add_u32 s21, s24, s21
	s_addc_u32 s20, 0, s20
	s_mul_hi_u32 s25, s19, s23
	s_mul_i32 s23, s19, s23
	s_add_u32 s21, s21, s23
	s_mul_hi_u32 s24, s19, s15
	s_addc_u32 s20, s20, s25
	s_addc_u32 s21, s24, 0
	s_mul_i32 s15, s19, s15
	s_add_u32 s15, s20, s15
	s_addc_u32 s20, 0, s21
	s_add_u32 s21, s14, s15
	s_cselect_b64 s[14:15], -1, 0
	s_cmp_lg_u64 s[14:15], 0
	s_addc_u32 s19, s19, s20
	s_mul_i32 s14, s12, s19
	s_mul_hi_u32 s15, s12, s21
	s_add_i32 s14, s15, s14
	s_mul_i32 s18, s18, s21
	s_add_i32 s14, s14, s18
	s_mul_i32 s12, s12, s21
	s_mul_hi_u32 s18, s19, s12
	s_mul_i32 s20, s19, s12
	s_mul_i32 s24, s21, s14
	s_mul_hi_u32 s12, s21, s12
	s_mul_hi_u32 s23, s21, s14
	s_add_u32 s12, s12, s24
	s_addc_u32 s23, 0, s23
	s_add_u32 s12, s12, s20
	s_mul_hi_u32 s15, s19, s14
	s_addc_u32 s12, s23, s18
	s_addc_u32 s15, s15, 0
	s_mul_i32 s14, s19, s14
	s_add_u32 s12, s12, s14
	s_addc_u32 s18, 0, s15
	s_add_u32 s20, s21, s12
	s_cselect_b64 s[14:15], -1, 0
	s_cmp_lg_u64 s[14:15], 0
	s_addc_u32 s18, s19, s18
	s_ashr_i32 s14, s13, 31
	s_add_u32 s12, s5, s14
	s_mov_b32 s15, s14
	s_addc_u32 s13, s13, s14
	s_xor_b64 s[12:13], s[12:13], s[14:15]
	s_mul_i32 s21, s12, s18
	s_mul_hi_u32 s23, s12, s20
	s_mul_hi_u32 s19, s12, s18
	s_add_u32 s21, s23, s21
	s_addc_u32 s19, 0, s19
	s_mul_hi_u32 s24, s13, s20
	s_mul_i32 s20, s13, s20
	s_add_u32 s20, s21, s20
	s_mul_hi_u32 s23, s13, s18
	s_addc_u32 s19, s19, s24
	s_addc_u32 s20, s23, 0
	s_mul_i32 s18, s13, s18
	s_add_u32 s23, s19, s18
	s_addc_u32 s24, 0, s20
	s_mul_i32 s18, s6, s24
	s_mul_hi_u32 s19, s6, s23
	s_add_i32 s18, s19, s18
	s_mul_i32 s19, s7, s23
	s_add_i32 s25, s18, s19
	s_sub_i32 s20, s13, s25
	s_mul_i32 s18, s6, s23
	s_sub_u32 s12, s12, s18
	s_cselect_b64 s[18:19], -1, 0
	s_cmp_lg_u64 s[18:19], 0
	s_subb_u32 s26, s20, s7
	s_sub_u32 s27, s12, s6
	s_cselect_b64 s[20:21], -1, 0
	s_cmp_lg_u64 s[20:21], 0
	s_subb_u32 s20, s26, 0
	s_cmp_ge_u32 s20, s7
	s_cselect_b32 s21, -1, 0
	s_cmp_ge_u32 s27, s6
	s_cselect_b32 s26, -1, 0
	s_cmp_eq_u32 s20, s7
	s_cselect_b32 s20, s26, s21
	s_add_u32 s21, s23, 1
	s_addc_u32 s26, s24, 0
	s_add_u32 s27, s23, 2
	s_addc_u32 s28, s24, 0
	s_cmp_lg_u32 s20, 0
	s_cselect_b32 s20, s27, s21
	s_cselect_b32 s21, s28, s26
	s_cmp_lg_u64 s[18:19], 0
	s_subb_u32 s13, s13, s25
	s_cmp_ge_u32 s13, s7
	s_cselect_b32 s18, -1, 0
	s_cmp_ge_u32 s12, s6
	s_cselect_b32 s6, -1, 0
	s_cmp_eq_u32 s13, s7
	s_cselect_b32 s6, s6, s18
	s_cmp_lg_u32 s6, 0
	s_cselect_b32 s7, s21, s24
	s_cselect_b32 s6, s20, s23
	s_xor_b64 s[12:13], s[14:15], 0
	s_xor_b64 s[6:7], s[6:7], s[12:13]
	s_sub_u32 s6, s6, s12
	s_load_dwordx4 s[12:15], s[0:1], 0x44
	s_cbranch_execnz .LBB19_3
.LBB19_2:
	v_cvt_f32_u32_e32 v1, s22
	s_sub_i32 s6, 0, s22
	v_rcp_iflag_f32_e32 v1, v1
	s_nop 0
	v_mul_f32_e32 v1, 0x4f7ffffe, v1
	v_cvt_u32_f32_e32 v1, v1
	s_nop 0
	v_readfirstlane_b32 s7, v1
	s_mul_i32 s6, s6, s7
	s_mul_hi_u32 s6, s7, s6
	s_add_i32 s7, s7, s6
	s_mul_hi_u32 s6, s5, s7
	s_waitcnt lgkmcnt(0)
	s_mul_i32 s15, s6, s22
	s_sub_i32 s5, s5, s15
	s_add_i32 s7, s6, 1
	s_sub_i32 s15, s5, s22
	s_cmp_ge_u32 s5, s22
	s_cselect_b32 s6, s7, s6
	s_cselect_b32 s5, s15, s5
	s_add_i32 s7, s6, 1
	s_cmp_ge_u32 s5, s22
	s_cselect_b32 s6, s7, s6
.LBB19_3:
	s_add_i32 s5, s2, 1
	s_mul_hi_i32 s21, s11, s5
	s_mov_b32 s20, 0
	s_cmp_lg_u64 s[20:21], 0
	s_mul_i32 s5, s11, s5
	s_cbranch_scc0 .LBB19_21
; %bb.4:
	s_add_u32 s16, s22, 0
	s_addc_u32 s17, 0, 0
	s_xor_b64 s[18:19], s[16:17], 0
	v_cvt_f32_u32_e32 v1, s18
	v_cvt_f32_u32_e32 v2, s19
	s_sub_u32 s7, 0, s18
	s_waitcnt lgkmcnt(0)
	s_subb_u32 s15, 0, s19
	v_fmamk_f32 v1, v2, 0x4f800000, v1
	v_rcp_f32_e32 v1, v1
	s_nop 0
	v_mul_f32_e32 v1, 0x5f7ffffc, v1
	v_mul_f32_e32 v2, 0x2f800000, v1
	v_trunc_f32_e32 v2, v2
	v_fmamk_f32 v1, v2, 0xcf800000, v1
	v_cvt_u32_f32_e32 v2, v2
	v_cvt_u32_f32_e32 v1, v1
	v_readfirstlane_b32 s20, v2
	v_readfirstlane_b32 s23, v1
	s_mul_i32 s24, s7, s20
	s_mul_hi_u32 s26, s7, s23
	s_mul_i32 s25, s15, s23
	s_add_i32 s24, s26, s24
	s_add_i32 s24, s24, s25
	s_mul_i32 s27, s7, s23
	s_mul_i32 s26, s23, s24
	s_mul_hi_u32 s28, s23, s27
	s_mul_hi_u32 s25, s23, s24
	s_add_u32 s26, s28, s26
	s_addc_u32 s25, 0, s25
	s_mul_hi_u32 s29, s20, s27
	s_mul_i32 s27, s20, s27
	s_add_u32 s26, s26, s27
	s_mul_hi_u32 s28, s20, s24
	s_addc_u32 s25, s25, s29
	s_addc_u32 s26, s28, 0
	s_mul_i32 s24, s20, s24
	s_add_u32 s24, s25, s24
	s_addc_u32 s26, 0, s26
	s_add_u32 s23, s23, s24
	s_cselect_b64 s[24:25], -1, 0
	s_cmp_lg_u64 s[24:25], 0
	s_addc_u32 s20, s20, s26
	s_mul_i32 s24, s7, s20
	s_mul_hi_u32 s25, s7, s23
	s_add_i32 s24, s25, s24
	s_mul_i32 s15, s15, s23
	s_add_i32 s24, s24, s15
	s_mul_i32 s7, s7, s23
	s_mul_hi_u32 s25, s20, s7
	s_mul_i32 s26, s20, s7
	s_mul_i32 s28, s23, s24
	s_mul_hi_u32 s7, s23, s7
	s_mul_hi_u32 s27, s23, s24
	s_add_u32 s7, s7, s28
	s_addc_u32 s27, 0, s27
	s_add_u32 s7, s7, s26
	s_mul_hi_u32 s15, s20, s24
	s_addc_u32 s7, s27, s25
	s_addc_u32 s15, s15, 0
	s_mul_i32 s24, s20, s24
	s_add_u32 s7, s7, s24
	s_addc_u32 s15, 0, s15
	s_add_u32 s7, s23, s7
	s_cselect_b64 s[24:25], -1, 0
	s_cmp_lg_u64 s[24:25], 0
	s_addc_u32 s15, s20, s15
	s_ashr_i32 s24, s21, 31
	s_add_u32 s20, s5, s24
	s_mov_b32 s25, s24
	s_addc_u32 s21, s21, s24
	s_xor_b64 s[20:21], s[20:21], s[24:25]
	s_mul_i32 s26, s20, s15
	s_mul_hi_u32 s27, s20, s7
	s_mul_hi_u32 s23, s20, s15
	s_add_u32 s26, s27, s26
	s_addc_u32 s23, 0, s23
	s_mul_hi_u32 s28, s21, s7
	s_mul_i32 s7, s21, s7
	s_add_u32 s7, s26, s7
	s_mul_hi_u32 s27, s21, s15
	s_addc_u32 s7, s23, s28
	s_addc_u32 s23, s27, 0
	s_mul_i32 s15, s21, s15
	s_add_u32 s7, s7, s15
	s_addc_u32 s15, 0, s23
	s_mul_i32 s23, s18, s15
	s_mul_hi_u32 s26, s18, s7
	s_add_i32 s23, s26, s23
	s_mul_i32 s26, s19, s7
	s_add_i32 s23, s23, s26
	s_sub_i32 s28, s21, s23
	s_mul_i32 s26, s18, s7
	s_sub_u32 s20, s20, s26
	s_cselect_b64 s[26:27], -1, 0
	s_cmp_lg_u64 s[26:27], 0
	s_subb_u32 s30, s28, s19
	s_sub_u32 s31, s20, s18
	s_cselect_b64 s[28:29], -1, 0
	s_cmp_lg_u64 s[28:29], 0
	s_subb_u32 s28, s30, 0
	s_cmp_ge_u32 s28, s19
	s_cselect_b32 s29, -1, 0
	s_cmp_ge_u32 s31, s18
	s_cselect_b32 s30, -1, 0
	s_cmp_eq_u32 s28, s19
	s_cselect_b32 s28, s30, s29
	s_add_u32 s29, s7, 1
	s_addc_u32 s30, s15, 0
	s_add_u32 s31, s7, 2
	s_addc_u32 s33, s15, 0
	s_cmp_lg_u32 s28, 0
	s_cselect_b32 s28, s31, s29
	s_cselect_b32 s29, s33, s30
	s_cmp_lg_u64 s[26:27], 0
	s_subb_u32 s21, s21, s23
	s_cmp_ge_u32 s21, s19
	s_cselect_b32 s23, -1, 0
	s_cmp_ge_u32 s20, s18
	s_cselect_b32 s18, -1, 0
	s_cmp_eq_u32 s21, s19
	s_cselect_b32 s18, s18, s23
	s_cmp_lg_u32 s18, 0
	s_cselect_b32 s19, s29, s15
	s_cselect_b32 s18, s28, s7
	s_xor_b64 s[20:21], s[24:25], 0
	s_xor_b64 s[18:19], s[18:19], s[20:21]
	s_sub_u32 s18, s18, s20
	s_cbranch_execnz .LBB19_6
.LBB19_5:
	v_cvt_f32_u32_e32 v1, s22
	s_sub_i32 s7, 0, s22
	v_rcp_iflag_f32_e32 v1, v1
	s_nop 0
	v_mul_f32_e32 v1, 0x4f7ffffe, v1
	v_cvt_u32_f32_e32 v1, v1
	s_waitcnt lgkmcnt(0)
	v_readfirstlane_b32 s15, v1
	s_mul_i32 s7, s7, s15
	s_mul_hi_u32 s7, s15, s7
	s_add_i32 s15, s15, s7
	s_mul_hi_u32 s7, s5, s15
	s_mul_i32 s16, s7, s22
	s_sub_i32 s5, s5, s16
	s_add_i32 s15, s7, 1
	s_sub_i32 s16, s5, s22
	s_cmp_ge_u32 s5, s22
	s_cselect_b32 s7, s15, s7
	s_cselect_b32 s5, s16, s5
	s_add_i32 s15, s7, 1
	s_cmp_ge_u32 s5, s22
	s_cselect_b32 s18, s15, s7
.LBB19_6:
	s_cmp_eq_u32 s6, s18
	s_waitcnt lgkmcnt(0)
	s_mul_hi_u32 s5, s6, s12
	s_cselect_b64 s[16:17], -1, 0
	s_add_i32 s5, s5, s6
	s_lshr_b32 s7, s5, s13
	s_mul_i32 s5, s7, s14
	s_cmp_eq_u32 s5, s6
	s_mul_hi_u32 s5, s18, s12
	s_cselect_b64 s[20:21], -1, 0
	s_add_i32 s5, s5, s18
	s_lshr_b32 s5, s5, s13
	s_cmp_eq_u32 s7, s5
	s_mul_i32 s5, s5, s14
	s_cselect_b64 s[24:25], -1, 0
	s_cmp_lg_u32 s5, s18
	s_cselect_b64 s[18:19], -1, 0
	s_and_b64 s[18:19], s[24:25], s[18:19]
	s_or_b64 s[16:17], s[16:17], s[20:21]
	s_or_b64 s[16:17], s[16:17], s[18:19]
	s_and_b64 vcc, exec, s[16:17]
	s_cbranch_vccnz .LBB19_23
; %bb.7:
	s_load_dwordx8 s[24:31], s[0:1], 0x20
	s_load_dword s15, s[0:1], 0x40
	s_waitcnt lgkmcnt(0)
	s_mul_hi_u32 s5, s6, s24
	s_add_i32 s5, s5, s6
	s_lshr_b32 s5, s5, s25
	s_mul_i32 s16, s5, s26
	s_sub_i32 s16, s6, s16
	s_mul_hi_u32 s17, s16, s27
	s_add_i32 s17, s16, s17
	s_lshr_b32 s20, s17, s28
	s_mul_i32 s17, s20, s29
	s_sub_i32 s16, s16, s17
	;; [unrolled: 5-line block ×3, first 2 shown]
	s_mul_hi_u32 s16, s15, s12
	s_add_i32 s15, s15, s16
	s_lshr_b32 s23, s15, s13
	s_lshl_b32 s15, s23, 2
	s_lshl_b32 s21, s17, 2
	s_add_i32 s15, s15, s3
	s_cmp_lt_i32 s15, s8
	s_cselect_b64 s[16:17], -1, 0
	s_add_i32 s15, s21, s4
	s_cmp_lt_i32 s15, s10
	s_cselect_b64 s[18:19], -1, 0
	s_and_b64 s[16:17], s[16:17], s[18:19]
	s_andn2_b64 vcc, exec, s[16:17]
	s_cbranch_vccnz .LBB19_23
; %bb.8:
	s_load_dwordx4 s[16:19], s[0:1], 0x0
	s_mov_b32 s0, 0
	s_lshl_b32 s15, s3, 2
	s_lshl_b32 s24, s22, 6
	s_mov_b32 s25, s0
	s_add_i32 s15, s15, s4
	s_waitcnt lgkmcnt(0)
	v_mov_b32_e32 v2, s16
	v_mov_b32_e32 v3, s17
	s_lshl_b64 s[16:17], s[24:25], 2
	s_add_u32 s16, s18, s16
	s_mul_i32 s1, s5, s8
	s_addc_u32 s17, s19, s17
	s_add_i32 s1, s1, s3
	s_mul_i32 s1, s1, s9
	s_mul_i32 s20, s20, s10
	s_add_i32 s1, s1, s4
	s_add_i32 s1, s1, s20
	s_mul_i32 s5, s9, s23
	s_add_i32 s1, s1, s21
	s_lshl_b32 s5, s5, 10
	s_lshl_b32 s1, s1, 8
	s_add_i32 s5, s5, s1
	v_or_b32_e32 v4, s5, v0
	v_ashrrev_i32_e32 v5, 31, v4
	v_lshl_add_u64 v[2:3], v[4:5], 2, v[2:3]
	global_load_dword v1, v[2:3], off
	v_cvt_f32_u32_e32 v4, s22
	s_lshl_b32 s1, s2, 4
	s_add_i32 s4, s15, s1
	s_ashr_i32 s5, s4, 31
	s_lshl_b64 s[4:5], s[4:5], 3
	v_rcp_iflag_f32_e32 v4, v4
	s_add_u32 s4, s18, s4
	s_addc_u32 s5, s19, s5
	s_load_dwordx2 s[4:5], s[4:5], 0x0
	v_mul_f32_e32 v4, 0x4f7ffffe, v4
	v_cvt_u32_f32_e32 v7, v4
	s_add_i32 s24, s2, -1
	v_lshl_or_b32 v6, s15, 8, v0
	s_waitcnt lgkmcnt(0)
	v_mov_b32_e32 v0, s5
	v_mov_b32_e32 v9, s4
	s_mov_b32 s10, 0x3fb8aa3b
	s_mov_b32 s20, 0xc2ce8ed0
	;; [unrolled: 1-line block ×4, first 2 shown]
	v_mov_b32_e32 v8, 0x7f800000
	s_mul_hi_i32 s1, s24, s11
	s_cmp_lg_u64 s[0:1], 0
	s_mul_i32 s8, s24, s11
	s_cbranch_scc0 .LBB19_19
.LBB19_9:
	s_add_u32 s2, s22, 0
	s_addc_u32 s3, 0, 0
	s_xor_b64 s[2:3], s[2:3], 0
	v_cvt_f32_u32_e32 v4, s2
	v_cvt_f32_u32_e32 v5, s3
	s_sub_u32 s9, 0, s2
	s_subb_u32 s25, 0, s3
	v_fmac_f32_e32 v4, 0x4f800000, v5
	v_rcp_f32_e32 v4, v4
	s_nop 0
	v_mul_f32_e32 v4, 0x5f7ffffc, v4
	v_mul_f32_e32 v5, 0x2f800000, v4
	v_trunc_f32_e32 v5, v5
	v_fmac_f32_e32 v4, 0xcf800000, v5
	v_cvt_u32_f32_e32 v5, v5
	v_cvt_u32_f32_e32 v4, v4
	v_readfirstlane_b32 s26, v5
	v_readfirstlane_b32 s4, v4
	s_mul_i32 s5, s9, s26
	s_mul_hi_u32 s28, s9, s4
	s_mul_i32 s27, s25, s4
	s_add_i32 s5, s28, s5
	s_mul_i32 s29, s9, s4
	s_add_i32 s5, s5, s27
	s_mul_i32 s28, s4, s5
	s_mul_hi_u32 s30, s4, s29
	s_mul_hi_u32 s27, s4, s5
	s_add_u32 s28, s30, s28
	s_addc_u32 s27, 0, s27
	s_mul_hi_u32 s31, s26, s29
	s_mul_i32 s29, s26, s29
	s_add_u32 s28, s28, s29
	s_mul_hi_u32 s30, s26, s5
	s_addc_u32 s27, s27, s31
	s_addc_u32 s28, s30, 0
	s_mul_i32 s5, s26, s5
	s_add_u32 s5, s27, s5
	s_addc_u32 s27, 0, s28
	s_add_u32 s28, s4, s5
	s_cselect_b64 s[4:5], -1, 0
	s_cmp_lg_u64 s[4:5], 0
	s_addc_u32 s26, s26, s27
	s_mul_i32 s4, s9, s26
	s_mul_hi_u32 s5, s9, s28
	s_add_i32 s4, s5, s4
	s_mul_i32 s25, s25, s28
	s_add_i32 s4, s4, s25
	s_mul_i32 s9, s9, s28
	s_mul_hi_u32 s25, s26, s9
	s_mul_i32 s27, s26, s9
	s_mul_i32 s30, s28, s4
	s_mul_hi_u32 s9, s28, s9
	s_mul_hi_u32 s29, s28, s4
	s_add_u32 s9, s9, s30
	s_addc_u32 s29, 0, s29
	s_add_u32 s9, s9, s27
	s_mul_hi_u32 s5, s26, s4
	s_addc_u32 s9, s29, s25
	s_addc_u32 s5, s5, 0
	s_mul_i32 s4, s26, s4
	s_add_u32 s4, s9, s4
	s_addc_u32 s9, 0, s5
	s_add_u32 s25, s28, s4
	s_cselect_b64 s[4:5], -1, 0
	s_cmp_lg_u64 s[4:5], 0
	s_addc_u32 s9, s26, s9
	s_ashr_i32 s4, s1, 31
	s_add_u32 s26, s8, s4
	s_mov_b32 s5, s4
	s_addc_u32 s27, s1, s4
	s_xor_b64 s[26:27], s[26:27], s[4:5]
	s_mul_i32 s28, s26, s9
	s_mul_hi_u32 s29, s26, s25
	s_mul_hi_u32 s1, s26, s9
	s_add_u32 s28, s29, s28
	s_addc_u32 s1, 0, s1
	s_mul_hi_u32 s30, s27, s25
	s_mul_i32 s25, s27, s25
	s_add_u32 s25, s28, s25
	s_mul_hi_u32 s29, s27, s9
	s_addc_u32 s1, s1, s30
	s_addc_u32 s25, s29, 0
	s_mul_i32 s9, s27, s9
	s_add_u32 s1, s1, s9
	s_addc_u32 s9, 0, s25
	s_mul_i32 s25, s2, s9
	s_mul_hi_u32 s28, s2, s1
	s_add_i32 s25, s28, s25
	s_mul_i32 s28, s3, s1
	s_add_i32 s25, s25, s28
	s_sub_i32 s30, s27, s25
	s_mul_i32 s28, s2, s1
	s_sub_u32 s26, s26, s28
	s_cselect_b64 s[28:29], -1, 0
	s_cmp_lg_u64 s[28:29], 0
	s_subb_u32 s33, s30, s3
	s_sub_u32 s34, s26, s2
	s_cselect_b64 s[30:31], -1, 0
	s_cmp_lg_u64 s[30:31], 0
	s_subb_u32 s30, s33, 0
	s_cmp_ge_u32 s30, s3
	s_cselect_b32 s31, -1, 0
	s_cmp_ge_u32 s34, s2
	s_cselect_b32 s33, -1, 0
	s_cmp_eq_u32 s30, s3
	s_cselect_b32 s30, s33, s31
	s_add_u32 s31, s1, 1
	s_addc_u32 s33, s9, 0
	s_add_u32 s34, s1, 2
	s_addc_u32 s35, s9, 0
	s_cmp_lg_u32 s30, 0
	s_cselect_b32 s30, s34, s31
	s_cselect_b32 s31, s35, s33
	s_cmp_lg_u64 s[28:29], 0
	s_subb_u32 s25, s27, s25
	s_cmp_ge_u32 s25, s3
	s_cselect_b32 s27, -1, 0
	s_cmp_ge_u32 s26, s2
	s_cselect_b32 s2, -1, 0
	s_cmp_eq_u32 s25, s3
	s_cselect_b32 s2, s2, s27
	s_cmp_lg_u32 s2, 0
	s_cselect_b32 s3, s31, s9
	s_cselect_b32 s2, s30, s1
	s_xor_b64 s[4:5], s[4:5], 0
	s_xor_b64 s[2:3], s[2:3], s[4:5]
	s_sub_u32 s4, s2, s4
	s_cbranch_execnz .LBB19_11
.LBB19_10:
	s_sub_i32 s1, 0, s22
	v_readfirstlane_b32 s2, v7
	s_mul_i32 s1, s1, s2
	s_mul_hi_u32 s1, s2, s1
	s_add_i32 s2, s2, s1
	s_mul_hi_u32 s1, s8, s2
	s_mul_i32 s3, s1, s22
	s_sub_i32 s3, s8, s3
	s_add_i32 s2, s1, 1
	s_sub_i32 s4, s3, s22
	s_cmp_ge_u32 s3, s22
	s_cselect_b32 s1, s2, s1
	s_cselect_b32 s3, s4, s3
	s_add_i32 s2, s1, 1
	s_cmp_ge_u32 s3, s22
	s_cselect_b32 s4, s2, s1
.LBB19_11:
	s_cmp_lg_u32 s6, s4
	s_cbranch_scc0 .LBB19_15
; %bb.12:
	s_add_i32 s1, s24, s22
	s_lshl_b32 s1, s1, 4
	s_add_i32 s2, s1, s15
	s_mov_b32 s3, s0
	s_lshl_b64 s[2:3], s[2:3], 3
	s_add_u32 s8, s18, s2
	s_mul_hi_u32 s1, s4, s12
	s_addc_u32 s9, s19, s3
	s_add_i32 s1, s1, s4
	s_lshr_b32 s1, s1, s13
	s_mul_i32 s2, s1, s14
	s_cmp_eq_u32 s2, s4
	s_cselect_b64 s[2:3], -1, 0
	s_cmp_lt_u32 s1, s7
	s_cselect_b64 s[26:27], -1, 0
	s_or_b64 s[26:27], s[26:27], s[2:3]
	s_mov_b64 s[2:3], -1
	s_and_b64 vcc, exec, s[26:27]
	s_mov_b32 s1, s24
	s_mov_b32 s25, s6
	s_cbranch_vccnz .LBB19_14
; %bb.13:
	s_add_i32 s1, s24, -1
	s_mov_b64 s[2:3], 0
	s_mov_b32 s25, s4
.LBB19_14:
	v_lshl_add_u32 v4, s24, 12, v6
	v_ashrrev_i32_e32 v5, 31, v4
	v_lshl_add_u64 v[4:5], v[4:5], 2, s[16:17]
	global_load_dword v5, v[4:5], off
	s_load_dwordx2 s[4:5], s[8:9], 0x0
	v_max_f32_e32 v4, v9, v9
	s_waitcnt lgkmcnt(0)
	v_max_f32_e64 v10, s4, s4
	v_max_f32_e32 v10, v4, v10
	v_sub_f32_e32 v11, v9, v10
	v_sub_f32_e32 v13, s4, v10
	v_mul_f32_e32 v4, 0x3fb8aa3b, v11
	v_mul_f32_e32 v12, 0x3fb8aa3b, v13
	v_fma_f32 v14, v11, s10, -v4
	v_rndne_f32_e32 v15, v4
	v_fma_f32 v16, v13, s10, -v12
	v_rndne_f32_e32 v17, v12
	v_fmac_f32_e32 v14, 0x32a5705f, v11
	v_sub_f32_e32 v4, v4, v15
	v_fmac_f32_e32 v16, 0x32a5705f, v13
	v_sub_f32_e32 v12, v12, v17
	v_add_f32_e32 v4, v4, v14
	v_cvt_i32_f32_e32 v15, v15
	v_add_f32_e32 v12, v12, v16
	v_exp_f32_e32 v14, v4
	v_cvt_i32_f32_e32 v17, v17
	v_exp_f32_e32 v12, v12
	v_cmp_ngt_f32_e32 vcc, s20, v11
	v_ldexp_f32 v14, v14, v15
	v_mov_b32_e32 v4, s5
	v_ldexp_f32 v12, v12, v17
	v_cndmask_b32_e32 v14, 0, v14, vcc
	v_cmp_ngt_f32_e32 vcc, s20, v13
	s_nop 1
	v_cndmask_b32_e32 v12, 0, v12, vcc
	v_cmp_nlt_f32_e32 vcc, s21, v11
	s_nop 1
	v_cndmask_b32_e32 v14, v8, v14, vcc
	v_cmp_nlt_f32_e32 vcc, s21, v13
	s_nop 1
	v_cndmask_b32_e32 v15, v8, v12, vcc
	v_cmp_le_f32_e32 vcc, s23, v11
	s_nop 1
	v_cndmask_b32_e32 v12, 0, v14, vcc
	v_cmp_le_f32_e32 vcc, s23, v13
	s_nop 1
	v_cndmask_b32_e32 v14, 0, v15, vcc
	s_waitcnt vmcnt(0)
	v_pk_mul_f32 v[4:5], v[4:5], v[14:15] op_sel_hi:[1,0]
	s_nop 0
	v_pk_fma_f32 v[4:5], v[0:1], v[12:13], v[4:5] op_sel_hi:[1,0,1]
	s_cbranch_execz .LBB19_16
	s_branch .LBB19_17
.LBB19_15:
                                        ; implicit-def: $vgpr4_vgpr5
                                        ; implicit-def: $sgpr2_sgpr3
                                        ; implicit-def: $vgpr10
                                        ; implicit-def: $sgpr1
                                        ; implicit-def: $sgpr25
.LBB19_16:
	s_add_i32 s1, s24, -1
	s_mov_b64 s[2:3], 0
	s_mov_b32 s25, s6
	v_mov_b32_e32 v10, v9
	s_waitcnt vmcnt(0)
	v_mov_b64_e32 v[4:5], v[0:1]
.LBB19_17:
	s_andn2_b64 vcc, exec, s[2:3]
	s_cbranch_vccz .LBB19_22
; %bb.18:
	s_mov_b32 s6, s25
	s_mov_b32 s24, s1
	v_mov_b32_e32 v9, v10
	s_waitcnt vmcnt(0)
	v_mov_b64_e32 v[0:1], v[4:5]
	s_mul_hi_i32 s1, s24, s11
	s_cmp_lg_u64 s[0:1], 0
	s_mul_i32 s8, s24, s11
	s_cbranch_scc1 .LBB19_9
.LBB19_19:
                                        ; implicit-def: $sgpr4_sgpr5
	s_branch .LBB19_10
.LBB19_20:
                                        ; implicit-def: $sgpr6_sgpr7
	s_load_dwordx4 s[12:15], s[0:1], 0x44
	s_branch .LBB19_2
.LBB19_21:
                                        ; implicit-def: $sgpr18_sgpr19
	s_branch .LBB19_5
.LBB19_22:
	v_div_scale_f32 v0, s[0:1], v4, v4, v5
	s_waitcnt vmcnt(0)
	v_rcp_f32_e32 v1, v0
	v_div_scale_f32 v6, vcc, v5, v4, v5
	v_fma_f32 v7, -v0, v1, 1.0
	v_fmac_f32_e32 v1, v7, v1
	v_mul_f32_e32 v7, v6, v1
	v_fma_f32 v8, -v0, v7, v6
	v_fmac_f32_e32 v7, v8, v1
	v_fma_f32 v0, -v0, v7, v6
	v_div_fmas_f32 v0, v0, v1, v7
	v_div_fixup_f32 v0, v0, v4, v5
	global_store_dword v[2:3], v0, off
.LBB19_23:
	s_endpgm
	.section	.rodata,"a",@progbits
	.p2align	6, 0x0
	.amdhsa_kernel _ZL33flash_attn_stream_k_fixup_generalILi256ELi4ELi4EEvPfPK15HIP_vector_typeIfLj2EEiiiiS1_IjLj3EES5_S5_S5_
		.amdhsa_group_segment_fixed_size 0
		.amdhsa_private_segment_fixed_size 0
		.amdhsa_kernarg_size 336
		.amdhsa_user_sgpr_count 2
		.amdhsa_user_sgpr_dispatch_ptr 0
		.amdhsa_user_sgpr_queue_ptr 0
		.amdhsa_user_sgpr_kernarg_segment_ptr 1
		.amdhsa_user_sgpr_dispatch_id 0
		.amdhsa_user_sgpr_kernarg_preload_length 0
		.amdhsa_user_sgpr_kernarg_preload_offset 0
		.amdhsa_user_sgpr_private_segment_size 0
		.amdhsa_uses_dynamic_stack 0
		.amdhsa_enable_private_segment 0
		.amdhsa_system_sgpr_workgroup_id_x 1
		.amdhsa_system_sgpr_workgroup_id_y 1
		.amdhsa_system_sgpr_workgroup_id_z 1
		.amdhsa_system_sgpr_workgroup_info 0
		.amdhsa_system_vgpr_workitem_id 0
		.amdhsa_next_free_vgpr 18
		.amdhsa_next_free_sgpr 36
		.amdhsa_accum_offset 20
		.amdhsa_reserve_vcc 1
		.amdhsa_float_round_mode_32 0
		.amdhsa_float_round_mode_16_64 0
		.amdhsa_float_denorm_mode_32 3
		.amdhsa_float_denorm_mode_16_64 3
		.amdhsa_dx10_clamp 1
		.amdhsa_ieee_mode 1
		.amdhsa_fp16_overflow 0
		.amdhsa_tg_split 0
		.amdhsa_exception_fp_ieee_invalid_op 0
		.amdhsa_exception_fp_denorm_src 0
		.amdhsa_exception_fp_ieee_div_zero 0
		.amdhsa_exception_fp_ieee_overflow 0
		.amdhsa_exception_fp_ieee_underflow 0
		.amdhsa_exception_fp_ieee_inexact 0
		.amdhsa_exception_int_div_zero 0
	.end_amdhsa_kernel
	.section	.text._ZL33flash_attn_stream_k_fixup_generalILi256ELi4ELi4EEvPfPK15HIP_vector_typeIfLj2EEiiiiS1_IjLj3EES5_S5_S5_,"axG",@progbits,_ZL33flash_attn_stream_k_fixup_generalILi256ELi4ELi4EEvPfPK15HIP_vector_typeIfLj2EEiiiiS1_IjLj3EES5_S5_S5_,comdat
.Lfunc_end19:
	.size	_ZL33flash_attn_stream_k_fixup_generalILi256ELi4ELi4EEvPfPK15HIP_vector_typeIfLj2EEiiiiS1_IjLj3EES5_S5_S5_, .Lfunc_end19-_ZL33flash_attn_stream_k_fixup_generalILi256ELi4ELi4EEvPfPK15HIP_vector_typeIfLj2EEiiiiS1_IjLj3EES5_S5_S5_
                                        ; -- End function
	.set _ZL33flash_attn_stream_k_fixup_generalILi256ELi4ELi4EEvPfPK15HIP_vector_typeIfLj2EEiiiiS1_IjLj3EES5_S5_S5_.num_vgpr, 18
	.set _ZL33flash_attn_stream_k_fixup_generalILi256ELi4ELi4EEvPfPK15HIP_vector_typeIfLj2EEiiiiS1_IjLj3EES5_S5_S5_.num_agpr, 0
	.set _ZL33flash_attn_stream_k_fixup_generalILi256ELi4ELi4EEvPfPK15HIP_vector_typeIfLj2EEiiiiS1_IjLj3EES5_S5_S5_.numbered_sgpr, 36
	.set _ZL33flash_attn_stream_k_fixup_generalILi256ELi4ELi4EEvPfPK15HIP_vector_typeIfLj2EEiiiiS1_IjLj3EES5_S5_S5_.num_named_barrier, 0
	.set _ZL33flash_attn_stream_k_fixup_generalILi256ELi4ELi4EEvPfPK15HIP_vector_typeIfLj2EEiiiiS1_IjLj3EES5_S5_S5_.private_seg_size, 0
	.set _ZL33flash_attn_stream_k_fixup_generalILi256ELi4ELi4EEvPfPK15HIP_vector_typeIfLj2EEiiiiS1_IjLj3EES5_S5_S5_.uses_vcc, 1
	.set _ZL33flash_attn_stream_k_fixup_generalILi256ELi4ELi4EEvPfPK15HIP_vector_typeIfLj2EEiiiiS1_IjLj3EES5_S5_S5_.uses_flat_scratch, 0
	.set _ZL33flash_attn_stream_k_fixup_generalILi256ELi4ELi4EEvPfPK15HIP_vector_typeIfLj2EEiiiiS1_IjLj3EES5_S5_S5_.has_dyn_sized_stack, 0
	.set _ZL33flash_attn_stream_k_fixup_generalILi256ELi4ELi4EEvPfPK15HIP_vector_typeIfLj2EEiiiiS1_IjLj3EES5_S5_S5_.has_recursion, 0
	.set _ZL33flash_attn_stream_k_fixup_generalILi256ELi4ELi4EEvPfPK15HIP_vector_typeIfLj2EEiiiiS1_IjLj3EES5_S5_S5_.has_indirect_call, 0
	.section	.AMDGPU.csdata,"",@progbits
; Kernel info:
; codeLenInByte = 2940
; TotalNumSgprs: 42
; NumVgprs: 18
; NumAgprs: 0
; TotalNumVgprs: 18
; ScratchSize: 0
; MemoryBound: 0
; FloatMode: 240
; IeeeMode: 1
; LDSByteSize: 0 bytes/workgroup (compile time only)
; SGPRBlocks: 5
; VGPRBlocks: 2
; NumSGPRsForWavesPerEU: 42
; NumVGPRsForWavesPerEU: 18
; AccumOffset: 20
; Occupancy: 8
; WaveLimiterHint : 0
; COMPUTE_PGM_RSRC2:SCRATCH_EN: 0
; COMPUTE_PGM_RSRC2:USER_SGPR: 2
; COMPUTE_PGM_RSRC2:TRAP_HANDLER: 0
; COMPUTE_PGM_RSRC2:TGID_X_EN: 1
; COMPUTE_PGM_RSRC2:TGID_Y_EN: 1
; COMPUTE_PGM_RSRC2:TGID_Z_EN: 1
; COMPUTE_PGM_RSRC2:TIDIG_COMP_CNT: 0
; COMPUTE_PGM_RSRC3_GFX90A:ACCUM_OFFSET: 4
; COMPUTE_PGM_RSRC3_GFX90A:TG_SPLIT: 0
	.section	.text._ZL15flash_attn_tileILi256ELi256ELi2ELi4ELb0EEvPKcS1_S1_S1_S1_PKiPfP15HIP_vector_typeIfLj2EEffffjfiS5_IjLj3EEiiiiiiiiiiiliiliiiiil,"axG",@progbits,_ZL15flash_attn_tileILi256ELi256ELi2ELi4ELb0EEvPKcS1_S1_S1_S1_PKiPfP15HIP_vector_typeIfLj2EEffffjfiS5_IjLj3EEiiiiiiiiiiiliiliiiiil,comdat
	.globl	_ZL15flash_attn_tileILi256ELi256ELi2ELi4ELb0EEvPKcS1_S1_S1_S1_PKiPfP15HIP_vector_typeIfLj2EEffffjfiS5_IjLj3EEiiiiiiiiiiiliiliiiiil ; -- Begin function _ZL15flash_attn_tileILi256ELi256ELi2ELi4ELb0EEvPKcS1_S1_S1_S1_PKiPfP15HIP_vector_typeIfLj2EEffffjfiS5_IjLj3EEiiiiiiiiiiiliiliiiiil
	.p2align	8
	.type	_ZL15flash_attn_tileILi256ELi256ELi2ELi4ELb0EEvPKcS1_S1_S1_S1_PKiPfP15HIP_vector_typeIfLj2EEffffjfiS5_IjLj3EEiiiiiiiiiiiliiliiiiil,@function
_ZL15flash_attn_tileILi256ELi256ELi2ELi4ELb0EEvPKcS1_S1_S1_S1_PKiPfP15HIP_vector_typeIfLj2EEffffjfiS5_IjLj3EEiiiiiiiiiiiliiliiiiil: ; @_ZL15flash_attn_tileILi256ELi256ELi2ELi4ELb0EEvPKcS1_S1_S1_S1_PKiPfP15HIP_vector_typeIfLj2EEffffjfiS5_IjLj3EEiiiiiiiiiiiliiliiiiil
; %bb.0:
	s_load_dwordx4 s[20:23], s[0:1], 0x5c
	s_load_dwordx2 s[28:29], s[0:1], 0x80
	s_load_dwordx2 s[34:35], s[0:1], 0xb8
	s_mov_b64 s[30:31], 0
	s_waitcnt lgkmcnt(0)
	s_ashr_i32 s5, s23, 31
	s_lshr_b32 s5, s5, 30
	s_add_i32 s5, s23, s5
	s_ashr_i32 s5, s5, 2
	v_cvt_f32_u32_e32 v1, s5
	s_sub_i32 s6, 0, s5
	v_rcp_iflag_f32_e32 v1, v1
	s_nop 0
	v_mul_f32_e32 v1, 0x4f7ffffe, v1
	v_cvt_u32_f32_e32 v1, v1
	s_nop 0
	v_readfirstlane_b32 s7, v1
	s_mul_i32 s6, s6, s7
	s_mul_hi_u32 s6, s7, s6
	s_add_i32 s7, s7, s6
	s_mul_hi_u32 s6, s4, s7
	s_mul_i32 s7, s6, s5
	s_sub_i32 s7, s4, s7
	s_add_i32 s8, s6, 1
	s_sub_i32 s9, s7, s5
	s_cmp_ge_u32 s7, s5
	s_cselect_b32 s6, s8, s6
	s_cselect_b32 s7, s9, s7
	s_add_i32 s8, s6, 1
	s_cmp_ge_u32 s7, s5
	s_cselect_b32 s33, s8, s6
	s_abs_i32 s5, s29
	v_cvt_f32_u32_e32 v1, s5
	s_lshl_b32 s4, s4, 2
	s_mul_i32 s8, s33, s23
	s_xor_b32 s6, s23, s29
	v_rcp_iflag_f32_e32 v1, v1
	s_sub_i32 s9, 0, s5
	s_sub_i32 s29, s4, s8
	s_abs_i32 s7, s23
	v_mul_f32_e32 v1, 0x4f7ffffe, v1
	v_cvt_u32_f32_e32 v1, v1
	s_ashr_i32 s6, s6, 31
	v_readfirstlane_b32 s4, v1
	s_mul_i32 s9, s9, s4
	s_mul_hi_u32 s8, s4, s9
	s_add_i32 s4, s4, s8
	s_mul_hi_u32 s4, s7, s4
	s_mul_i32 s8, s4, s5
	s_sub_i32 s7, s7, s8
	s_add_i32 s9, s4, 1
	s_sub_i32 s8, s7, s5
	s_cmp_ge_u32 s7, s5
	s_cselect_b32 s4, s9, s4
	s_cselect_b32 s7, s8, s7
	s_add_i32 s8, s4, 1
	s_cmp_ge_u32 s7, s5
	s_cselect_b32 s4, s8, s4
	s_xor_b32 s4, s4, s6
	s_sub_i32 s37, s4, s6
	s_abs_i32 s36, s37
	v_cvt_f32_u32_e32 v1, s36
	s_load_dwordx16 s[4:19], s[0:1], 0x0
	v_rcp_iflag_f32_e32 v1, v1
	s_waitcnt lgkmcnt(0)
	s_cmp_eq_u64 s[10:11], 0
	v_mul_f32_e32 v1, 0x4f7ffffe, v1
	v_cvt_u32_f32_e32 v1, v1
	s_nop 0
	v_readfirstlane_b32 s38, v1
	s_cbranch_scc1 .LBB20_2
; %bb.1:
	s_abs_i32 s26, s34
	v_cvt_f32_u32_e32 v1, s26
	s_sub_i32 s31, 0, s26
	s_abs_i32 s30, s33
	s_ashr_i32 s27, s33, 31
	v_rcp_iflag_f32_e32 v1, v1
	s_load_dwordx2 s[24:25], s[0:1], 0xc8
	v_mul_f32_e32 v1, 0x4f7ffffe, v1
	v_cvt_u32_f32_e32 v1, v1
	s_nop 0
	v_readfirstlane_b32 s34, v1
	s_mul_i32 s31, s31, s34
	s_mul_hi_u32 s31, s34, s31
	s_add_i32 s34, s34, s31
	s_mul_hi_u32 s31, s30, s34
	s_mul_i32 s31, s31, s26
	s_sub_i32 s30, s30, s31
	s_sub_i32 s31, s30, s26
	s_cmp_ge_u32 s30, s26
	s_cselect_b32 s30, s31, s30
	s_sub_i32 s31, s30, s26
	s_cmp_ge_u32 s30, s26
	s_cselect_b32 s26, s31, s30
	s_xor_b32 s26, s26, s27
	s_sub_i32 s26, s26, s27
	s_ashr_i32 s27, s26, 31
	s_waitcnt lgkmcnt(0)
	s_mul_hi_u32 s30, s24, s26
	s_mul_i32 s27, s24, s27
	s_mul_i32 s25, s25, s26
	s_add_i32 s27, s30, s27
	s_add_i32 s27, s27, s25
	s_mul_i32 s24, s24, s26
	s_add_u32 s30, s10, s24
	s_addc_u32 s31, s11, s27
.LBB20_2:
	s_load_dwordx4 s[24:27], s[0:1], 0x70
	v_lshrrev_b32_e32 v1, 10, v0
	v_bfe_u32 v1, v1, 2, 8
	v_lshl_add_u32 v42, s2, 1, v1
	v_bfe_u32 v3, v0, 10, 2
	s_waitcnt lgkmcnt(0)
	s_mul_i32 s10, s33, s26
	s_ashr_i32 s26, s10, 31
	s_mul_i32 s11, s29, s25
	s_add_u32 s4, s4, s10
	s_addc_u32 s5, s5, s26
	s_ashr_i32 s10, s11, 31
	s_add_u32 s4, s4, s11
	s_addc_u32 s5, s5, s10
	s_ashr_i32 s11, s25, 31
	s_mov_b32 s10, s25
	s_lshr_b64 s[26:27], s[10:11], 2
	v_mul_hi_u32 v1, s20, v42
	s_lshr_b32 s25, s11, 2
	v_mad_u64_u32 v[4:5], s[10:11], s26, v3, 0
	v_add_u32_e32 v1, v42, v1
	v_mov_b32_e32 v2, v5
	v_lshrrev_b32_e32 v1, s21, v1
	v_mad_u64_u32 v[6:7], s[10:11], s25, v3, v[2:3]
	v_mul_lo_u32 v1, v1, s22
	s_ashr_i32 s25, s24, 31
	v_sub_u32_e32 v12, v42, v1
	s_lshr_b64 s[10:11], s[24:25], 2
	v_mov_b32_e32 v5, v6
	v_mad_u64_u32 v[6:7], s[10:11], s10, v12, 0
	v_mov_b32_e32 v2, v7
	s_lshr_b32 s10, s25, 2
	v_mad_u64_u32 v[8:9], s[10:11], s10, v12, v[2:3]
	v_mov_b32_e32 v7, v8
	v_and_b32_e32 v2, 0x3ff, v0
	v_lshl_add_u64 v[4:5], v[4:5], 2, s[4:5]
	v_mov_b32_e32 v9, 0
	v_lshl_add_u64 v[4:5], v[6:7], 2, v[4:5]
	v_lshlrev_b32_e32 v8, 4, v2
	v_lshl_add_u64 v[14:15], v[4:5], 0, v[8:9]
	global_load_dwordx4 v[4:7], v[14:15], off
	global_load_dwordx4 v[8:11], v[14:15], off offset:512
	s_load_dword s4, s[0:1], 0x40
	v_bfe_u32 v0, v0, 10, 10
	v_lshlrev_b32_e32 v15, 9, v0
	v_lshlrev_b32_e32 v44, 3, v2
	v_add_u32_e32 v45, 0x4400, v15
	v_add_u32_e32 v1, v45, v44
	s_cmp_eq_u64 s[14:15], 0
	s_waitcnt vmcnt(1) lgkmcnt(0)
	v_fma_mixlo_f16 v4, s4, v4, 0
	v_fma_mixlo_f16 v5, s4, v5, 0
	;; [unrolled: 1-line block ×4, first 2 shown]
	s_waitcnt vmcnt(0)
	v_fma_mixlo_f16 v8, s4, v8, 0
	v_fma_mixlo_f16 v9, s4, v9, 0
	;; [unrolled: 1-line block ×4, first 2 shown]
	v_lshlrev_b32_e32 v5, 16, v5
	v_and_b32_e32 v4, 0xffff, v4
	v_lshlrev_b32_e32 v7, 16, v7
	v_and_b32_e32 v6, 0xffff, v6
	;; [unrolled: 2-line block ×4, first 2 shown]
	v_or_b32_e32 v4, v5, v4
	v_or3_b32 v5, v7, v6, 0
	v_or_b32_e32 v6, v9, v8
	v_or3_b32 v7, v11, v10, 0
	v_or3_b32 v4, 0, 0, v4
	;; [unrolled: 1-line block ×3, first 2 shown]
	ds_write2_b64 v1, v[4:5], v[6:7] offset1:32
	s_waitcnt lgkmcnt(0)
	s_barrier
	s_cbranch_scc1 .LBB20_4
; %bb.3:
	s_load_dword s4, s[0:1], 0xd0
	s_mov_b32 s5, 0
	s_waitcnt lgkmcnt(0)
	s_mul_i32 s4, s4, s33
	s_add_i32 s4, s4, s2
	s_lshl_b64 s[4:5], s[4:5], 2
	s_add_u32 s4, s14, s4
	s_addc_u32 s5, s15, s5
	s_load_dword s28, s[4:5], 0x0
.LBB20_4:
	s_lshl_b32 s2, s3, 6
	v_lshlrev_b32_e32 v43, 2, v2
	s_waitcnt lgkmcnt(0)
	s_cmp_lt_i32 s2, s28
	v_mbcnt_lo_u32_b32 v16, -1, 0
	s_cbranch_scc1 .LBB20_7
; %bb.5:
	v_mbcnt_hi_u32_b32 v13, -1, v16
	v_and_b32_e32 v1, 0x60, v13
	v_add_u32_e32 v46, 32, v1
	v_xor_b32_e32 v51, 16, v13
	v_xor_b32_e32 v50, 8, v13
	v_xor_b32_e32 v49, 4, v13
	v_xor_b32_e32 v48, 2, v13
	v_xor_b32_e32 v47, 1, v13
	s_cbranch_execz .LBB20_8
; %bb.6:
	v_mov_b32_e32 v74, 0
	v_mov_b32_e32 v25, 0
	;; [unrolled: 1-line block ×6, first 2 shown]
	s_branch .LBB20_10
.LBB20_7:
                                        ; implicit-def: $vgpr13
                                        ; implicit-def: $vgpr46
                                        ; implicit-def: $vgpr51
                                        ; implicit-def: $vgpr50
                                        ; implicit-def: $vgpr49
                                        ; implicit-def: $vgpr48
                                        ; implicit-def: $vgpr47
.LBB20_8:
	s_sub_i32 s4, 0, s36
	s_mul_i32 s4, s4, s38
	s_mul_hi_u32 s4, s38, s4
	s_add_i32 s38, s38, s4
	s_load_dwordx2 s[4:5], s[0:1], 0x8c
	s_load_dwordx4 s[24:27], s[0:1], 0x98
	s_abs_i32 s14, s29
	s_mul_hi_u32 s15, s14, s38
	s_ashr_i32 s34, s29, 31
	s_waitcnt lgkmcnt(0)
	s_ashr_i32 s11, s4, 2
	s_ashr_i32 s4, s33, 31
	;; [unrolled: 1-line block ×4, first 2 shown]
	s_mul_hi_u32 s35, s24, s33
	s_mul_i32 s38, s24, s4
	s_add_i32 s35, s35, s38
	s_mul_i32 s25, s25, s33
	s_ashr_i32 s37, s37, 31
	s_add_i32 s35, s35, s25
	s_mul_i32 s24, s24, s33
	s_add_u32 s6, s6, s24
	s_mul_i32 s25, s15, s36
	s_addc_u32 s7, s7, s35
	s_sub_i32 s14, s14, s25
	s_xor_b32 s24, s34, s37
	s_add_i32 s25, s15, 1
	s_sub_i32 s34, s14, s36
	s_cmp_ge_u32 s14, s36
	s_cselect_b32 s15, s25, s15
	s_cselect_b32 s14, s34, s14
	s_add_i32 s25, s15, 1
	s_cmp_ge_u32 s14, s36
	s_load_dwordx2 s[20:21], s[0:1], 0xa8
	s_cselect_b32 s14, s25, s15
	s_xor_b32 s14, s14, s24
	s_sub_i32 s24, s14, s24
	s_mul_i32 s5, s24, s5
	s_ashr_i32 s15, s5, 31
	s_add_u32 s14, s6, s5
	s_waitcnt lgkmcnt(0)
	s_mul_hi_u32 s5, s20, s33
	s_mul_i32 s4, s20, s4
	s_addc_u32 s15, s7, s15
	s_add_i32 s4, s5, s4
	s_mul_i32 s5, s21, s33
	s_add_i32 s4, s4, s5
	s_mul_i32 s5, s20, s33
	s_add_u32 s5, s8, s5
	s_mul_i32 s24, s24, s27
	s_addc_u32 s4, s9, s4
	s_ashr_i32 s6, s24, 31
	s_add_u32 s20, s5, s24
	v_lshrrev_b32_e32 v1, 4, v2
	v_and_b32_e32 v18, 60, v43
	s_addc_u32 s21, s4, s6
	v_lshl_add_u32 v4, v0, 1, v1
	v_lshlrev_b32_e32 v5, 2, v18
	s_movk_i32 s4, 0x110
	v_mad_u32_u24 v52, v4, s4, v5
	v_mul_lo_u32 v4, s11, v4
	s_lshl_b32 s4, s11, 4
	v_add_u32_e32 v6, s4, v4
	v_add_u32_e32 v8, s4, v6
	;; [unrolled: 1-line block ×3, first 2 shown]
	v_mad_u64_u32 v[12:13], s[4:5], v12, s26, v[2:3]
	v_mul_lo_u32 v20, s10, v0
	s_lshl_b32 s4, s10, 3
	v_add_u32_e32 v22, s4, v20
	v_mov_b32_e32 v13, 0x5400
	v_add_u32_e32 v26, s4, v22
	v_lshl_add_u32 v57, v0, 7, v13
	v_lshlrev_b32_e32 v14, 2, v43
	v_add_u32_e32 v28, s4, v26
	v_mbcnt_hi_u32_b32 v13, -1, v16
	v_mov_b32_e32 v1, 0
	v_add_u32_e32 v59, v15, v14
	v_ashrrev_i32_e32 v21, 31, v20
	v_lshl_add_u32 v0, v0, 9, v14
	v_ashrrev_i32_e32 v23, 31, v22
	v_ashrrev_i32_e32 v27, 31, v26
	v_ashrrev_i32_e32 v29, 31, v28
	s_add_u32 s8, s0, 0xd0
	v_and_b32_e32 v15, 0x60, v13
	v_ashrrev_i32_e32 v5, 31, v4
	v_add_u32_e32 v53, 0x1100, v52
	v_ashrrev_i32_e32 v7, 31, v6
	v_add_u32_e32 v54, 0x2200, v52
	;; [unrolled: 2-line block ×3, first 2 shown]
	v_ashrrev_i32_e32 v11, 31, v10
	v_mul_u32_u24_e32 v56, 0x110, v2
	v_lshl_add_u32 v58, v2, 1, v57
	v_add_u32_e32 v60, 0x1000, v0
	v_add_u32_e32 v61, 0x2000, v0
	;; [unrolled: 1-line block ×3, first 2 shown]
	s_addc_u32 s9, s1, 0
	v_mov_b32_e32 v24, 0xfeffffff
	v_lshlrev_b32_e32 v0, 2, v18
	v_add_u32_e32 v46, 32, v15
	v_xor_b32_e32 v51, 16, v13
	v_xor_b32_e32 v50, 8, v13
	;; [unrolled: 1-line block ×5, first 2 shown]
	s_mov_b32 s24, 0x3fb8aa3b
	s_mov_b32 s25, 0xc2ce8ed0
	s_mov_b32 s26, 0x42b17218
	v_mov_b32_e32 v63, 0x7f800000
	s_mov_b32 s27, 0x10001
	v_lshlrev_b64 v[16:17], 2, v[20:21]
	v_mov_b32_e32 v15, v1
	v_lshlrev_b64 v[18:19], 2, v[22:23]
	v_lshlrev_b64 v[20:21], 2, v[26:27]
	v_lshlrev_b64 v[22:23], 2, v[28:29]
	v_add_u32_e32 v64, 0x800, v44
	v_add_u32_e32 v65, 0x1000, v44
	v_add_u32_e32 v66, 0x1800, v44
	v_add_u32_e32 v67, 0x2000, v44
	v_add_u32_e32 v68, 0x2800, v44
	v_add_u32_e32 v69, 0x3000, v44
	v_add_u32_e32 v70, 0x3800, v44
	v_mov_b32_e32 v71, v1
	v_mov_b32_e32 v72, v1
	;; [unrolled: 1-line block ×5, first 2 shown]
.LBB20_9:                               ; =>This Inner Loop Header: Depth=1
	v_cmp_lt_i32_e32 vcc, v51, v46
	s_mul_hi_i32 s5, s2, s11
	s_mul_i32 s4, s2, s11
	v_cndmask_b32_e32 v26, v13, v51, vcc
	v_cmp_lt_i32_e32 vcc, v50, v46
	s_lshl_b64 s[4:5], s[4:5], 2
	s_add_u32 s4, s14, s4
	v_cndmask_b32_e32 v27, v13, v50, vcc
	v_cmp_lt_i32_e32 vcc, v49, v46
	s_addc_u32 s5, s15, s5
	v_lshlrev_b32_e32 v83, 2, v26
	v_cndmask_b32_e32 v28, v13, v49, vcc
	v_cmp_lt_i32_e32 vcc, v48, v46
	v_lshlrev_b32_e32 v82, 2, v27
	v_lshl_add_u64 v[26:27], v[4:5], 2, s[4:5]
	v_cndmask_b32_e32 v29, v13, v48, vcc
	v_cmp_lt_i32_e32 vcc, v47, v46
	v_lshlrev_b32_e32 v81, 2, v28
	v_lshlrev_b32_e32 v80, 2, v29
	v_cndmask_b32_e32 v30, v13, v47, vcc
	v_lshlrev_b32_e32 v79, 2, v30
	v_lshl_add_u64 v[28:29], v[6:7], 2, s[4:5]
	v_lshl_add_u64 v[30:31], v[8:9], 2, s[4:5]
	;; [unrolled: 1-line block ×7, first 2 shown]
	global_load_dwordx4 v[26:29], v[38:39], off
	global_load_dwordx4 v[30:33], v[40:41], off
	global_load_dwordx4 v[84:87], v[34:35], off
	global_load_dwordx4 v[88:91], v[36:37], off
	v_mov_b32_e32 v75, 0
	v_mov_b32_e32 v76, 0
	;; [unrolled: 1-line block ×3, first 2 shown]
	v_add_u32_e32 v24, s2, v12
	v_mov_b32_e32 v78, v25
	v_ashrrev_i32_e32 v25, 31, v24
	v_lshl_add_u64 v[24:25], v[24:25], 1, s[30:31]
	s_mul_hi_i32 s7, s2, s10
	s_mul_i32 s6, s2, s10
	s_lshl_b64 s[6:7], s[6:7], 2
	s_add_u32 s4, s20, s6
	s_addc_u32 s5, s21, s7
	s_or_b32 s6, s2, 32
	v_lshl_add_u64 v[92:93], s[4:5], 0, v[16:17]
	v_lshl_add_u64 v[94:95], s[4:5], 0, v[18:19]
	;; [unrolled: 1-line block ×3, first 2 shown]
	s_waitcnt vmcnt(3)
	ds_write_b128 v52, v[26:29]
	s_waitcnt vmcnt(2)
	ds_write_b128 v53, v[30:33]
	;; [unrolled: 2-line block ×4, first 2 shown]
	s_waitcnt lgkmcnt(0)
	s_barrier
	ds_read_b128 v[26:29], v56
	ds_read_b128 v[30:33], v45
	ds_read_b128 v[84:87], v56 offset:8704
	s_waitcnt lgkmcnt(1)
	;;#ASMSTART
	v_dot2_f32_f16 v75, v26, v30, v75
	;;#ASMEND
	s_nop 0
	;;#ASMSTART
	v_dot2_f32_f16 v75, v27, v31, v75
	;;#ASMEND
	s_nop 0
	;;#ASMSTART
	v_dot2_f32_f16 v75, v28, v32, v75
	;;#ASMEND
	s_nop 0
	;;#ASMSTART
	v_dot2_f32_f16 v75, v29, v33, v75
	;;#ASMEND
	s_waitcnt lgkmcnt(0)
	;;#ASMSTART
	v_dot2_f32_f16 v76, v84, v30, v76
	;;#ASMEND
	s_nop 0
	;;#ASMSTART
	v_dot2_f32_f16 v76, v85, v31, v76
	;;#ASMEND
	s_nop 0
	;;#ASMSTART
	v_dot2_f32_f16 v76, v86, v32, v76
	;;#ASMEND
	s_nop 0
	;;#ASMSTART
	v_dot2_f32_f16 v76, v87, v33, v76
	;;#ASMEND
	ds_read_b128 v[26:29], v56 offset:16
	ds_read_b128 v[30:33], v45 offset:16
	ds_read_b128 v[84:87], v56 offset:8720
	s_waitcnt lgkmcnt(1)
	;;#ASMSTART
	v_dot2_f32_f16 v75, v26, v30, v75
	;;#ASMEND
	s_nop 0
	;;#ASMSTART
	v_dot2_f32_f16 v75, v27, v31, v75
	;;#ASMEND
	s_nop 0
	;;#ASMSTART
	v_dot2_f32_f16 v75, v28, v32, v75
	;;#ASMEND
	s_nop 0
	;;#ASMSTART
	v_dot2_f32_f16 v75, v29, v33, v75
	;;#ASMEND
	s_waitcnt lgkmcnt(0)
	;;#ASMSTART
	v_dot2_f32_f16 v76, v84, v30, v76
	;;#ASMEND
	s_nop 0
	;;#ASMSTART
	v_dot2_f32_f16 v76, v85, v31, v76
	;;#ASMEND
	s_nop 0
	;;#ASMSTART
	v_dot2_f32_f16 v76, v86, v32, v76
	;;#ASMEND
	s_nop 0
	;;#ASMSTART
	v_dot2_f32_f16 v76, v87, v33, v76
	;;#ASMEND
	ds_read_b128 v[26:29], v56 offset:32
	ds_read_b128 v[30:33], v45 offset:32
	;; [unrolled: 35-line block ×14, first 2 shown]
	ds_read_b128 v[84:87], v56 offset:8928
	s_waitcnt lgkmcnt(1)
	;;#ASMSTART
	v_dot2_f32_f16 v75, v26, v30, v75
	;;#ASMEND
	s_nop 0
	;;#ASMSTART
	v_dot2_f32_f16 v75, v27, v31, v75
	;;#ASMEND
	s_nop 0
	;; [unrolled: 4-line block ×3, first 2 shown]
	;;#ASMSTART
	v_dot2_f32_f16 v75, v29, v33, v75
	;;#ASMEND
	s_waitcnt lgkmcnt(0)
	;;#ASMSTART
	v_dot2_f32_f16 v76, v84, v30, v76
	;;#ASMEND
	s_nop 0
	;;#ASMSTART
	v_dot2_f32_f16 v76, v85, v31, v76
	;;#ASMEND
	v_lshl_add_u64 v[30:31], s[4:5], 0, v[22:23]
	;;#ASMSTART
	v_dot2_f32_f16 v76, v86, v32, v76
	;;#ASMEND
	s_mul_hi_i32 s5, s6, s10
	;;#ASMSTART
	v_dot2_f32_f16 v76, v87, v33, v76
	;;#ASMEND
	ds_read_b128 v[26:29], v56 offset:240
	ds_read_b128 v[84:87], v45 offset:240
	;; [unrolled: 1-line block ×3, first 2 shown]
	s_waitcnt lgkmcnt(1)
	;;#ASMSTART
	v_dot2_f32_f16 v75, v26, v84, v75
	;;#ASMEND
	s_nop 0
	;;#ASMSTART
	v_dot2_f32_f16 v75, v27, v85, v75
	;;#ASMEND
	s_mul_i32 s4, s6, s10
	;;#ASMSTART
	v_dot2_f32_f16 v75, v28, v86, v75
	;;#ASMEND
	s_lshl_b64 s[4:5], s[4:5], 2
	;;#ASMSTART
	v_dot2_f32_f16 v75, v29, v87, v75
	;;#ASMEND
	s_waitcnt lgkmcnt(0)
	;;#ASMSTART
	v_dot2_f32_f16 v76, v88, v84, v76
	;;#ASMEND
	s_add_u32 s4, s20, s4
	;;#ASMSTART
	v_dot2_f32_f16 v76, v89, v85, v76
	;;#ASMEND
	s_addc_u32 s5, s21, s5
	;;#ASMSTART
	v_dot2_f32_f16 v76, v90, v86, v76
	;;#ASMEND
	v_lshl_add_u64 v[26:27], v[92:93], 0, v[14:15]
	;;#ASMSTART
	v_dot2_f32_f16 v76, v91, v87, v76
	;;#ASMEND
	s_barrier
	global_load_dwordx4 v[84:87], v[38:39], off offset:256
	global_load_dwordx4 v[88:91], v[40:41], off offset:256
	v_lshl_add_u64 v[28:29], v[94:95], 0, v[14:15]
	v_lshl_add_u64 v[32:33], v[96:97], 0, v[14:15]
	v_lshl_add_u64 v[92:93], s[4:5], 0, v[16:17]
	v_lshl_add_u64 v[94:95], s[4:5], 0, v[18:19]
	v_lshl_add_u64 v[96:97], s[4:5], 0, v[20:21]
	v_lshl_add_u64 v[30:31], v[30:31], 0, v[14:15]
	s_waitcnt vmcnt(1)
	ds_write_b128 v52, v[84:87]
	global_load_dwordx4 v[38:41], v[34:35], off offset:256
	global_load_dwordx4 v[84:87], v[36:37], off offset:256
	s_waitcnt vmcnt(2)
	ds_write_b128 v53, v[88:91]
	s_waitcnt vmcnt(1)
	ds_write_b128 v54, v[38:41]
	;; [unrolled: 2-line block ×3, first 2 shown]
	s_waitcnt lgkmcnt(0)
	s_barrier
	ds_read_b128 v[34:37], v56
	ds_read_b128 v[38:41], v45 offset:256
	ds_read_b128 v[84:87], v56 offset:8704
	s_waitcnt lgkmcnt(1)
	;;#ASMSTART
	v_dot2_f32_f16 v75, v34, v38, v75
	;;#ASMEND
	s_nop 0
	;;#ASMSTART
	v_dot2_f32_f16 v75, v35, v39, v75
	;;#ASMEND
	s_nop 0
	;;#ASMSTART
	v_dot2_f32_f16 v75, v36, v40, v75
	;;#ASMEND
	s_nop 0
	;;#ASMSTART
	v_dot2_f32_f16 v75, v37, v41, v75
	;;#ASMEND
	s_waitcnt lgkmcnt(0)
	;;#ASMSTART
	v_dot2_f32_f16 v76, v84, v38, v76
	;;#ASMEND
	s_nop 0
	;;#ASMSTART
	v_dot2_f32_f16 v76, v85, v39, v76
	;;#ASMEND
	s_nop 0
	;;#ASMSTART
	v_dot2_f32_f16 v76, v86, v40, v76
	;;#ASMEND
	s_nop 0
	;;#ASMSTART
	v_dot2_f32_f16 v76, v87, v41, v76
	;;#ASMEND
	ds_read_b128 v[34:37], v56 offset:16
	ds_read_b128 v[38:41], v45 offset:272
	ds_read_b128 v[84:87], v56 offset:8720
	s_waitcnt lgkmcnt(1)
	;;#ASMSTART
	v_dot2_f32_f16 v75, v34, v38, v75
	;;#ASMEND
	s_nop 0
	;;#ASMSTART
	v_dot2_f32_f16 v75, v35, v39, v75
	;;#ASMEND
	s_nop 0
	;;#ASMSTART
	v_dot2_f32_f16 v75, v36, v40, v75
	;;#ASMEND
	s_nop 0
	;;#ASMSTART
	v_dot2_f32_f16 v75, v37, v41, v75
	;;#ASMEND
	s_waitcnt lgkmcnt(0)
	;;#ASMSTART
	v_dot2_f32_f16 v76, v84, v38, v76
	;;#ASMEND
	s_nop 0
	;;#ASMSTART
	v_dot2_f32_f16 v76, v85, v39, v76
	;;#ASMEND
	s_nop 0
	;;#ASMSTART
	v_dot2_f32_f16 v76, v86, v40, v76
	;;#ASMEND
	s_nop 0
	;;#ASMSTART
	v_dot2_f32_f16 v76, v87, v41, v76
	;;#ASMEND
	ds_read_b128 v[34:37], v56 offset:32
	;; [unrolled: 35-line block ×14, first 2 shown]
	ds_read_b128 v[38:41], v45 offset:480
	ds_read_b128 v[84:87], v56 offset:8928
	s_waitcnt lgkmcnt(1)
	;;#ASMSTART
	v_dot2_f32_f16 v75, v34, v38, v75
	;;#ASMEND
	s_nop 0
	;;#ASMSTART
	v_dot2_f32_f16 v75, v35, v39, v75
	;;#ASMEND
	s_nop 0
	;; [unrolled: 4-line block ×3, first 2 shown]
	;;#ASMSTART
	v_dot2_f32_f16 v75, v37, v41, v75
	;;#ASMEND
	s_waitcnt lgkmcnt(0)
	;;#ASMSTART
	v_dot2_f32_f16 v76, v84, v38, v76
	;;#ASMEND
	s_nop 0
	;;#ASMSTART
	v_dot2_f32_f16 v76, v85, v39, v76
	;;#ASMEND
	v_lshl_add_u64 v[38:39], v[96:97], 0, v[14:15]
	;;#ASMSTART
	v_dot2_f32_f16 v76, v86, v40, v76
	;;#ASMEND
	s_nop 0
	;;#ASMSTART
	v_dot2_f32_f16 v76, v87, v41, v76
	;;#ASMEND
	ds_read_b128 v[34:37], v56 offset:240
	ds_read_b128 v[84:87], v45 offset:496
	;; [unrolled: 1-line block ×3, first 2 shown]
	s_waitcnt lgkmcnt(1)
	;;#ASMSTART
	v_dot2_f32_f16 v75, v34, v84, v75
	;;#ASMEND
	s_nop 0
	;;#ASMSTART
	v_dot2_f32_f16 v75, v35, v85, v75
	;;#ASMEND
	v_lshl_add_u64 v[40:41], v[92:93], 0, v[14:15]
	;;#ASMSTART
	v_dot2_f32_f16 v75, v36, v86, v75
	;;#ASMEND
	v_lshl_add_u64 v[34:35], s[4:5], 0, v[22:23]
	;;#ASMSTART
	v_dot2_f32_f16 v75, v37, v87, v75
	;;#ASMEND
	s_waitcnt lgkmcnt(0)
	;;#ASMSTART
	v_dot2_f32_f16 v76, v88, v84, v76
	;;#ASMEND
	v_lshl_add_u64 v[36:37], v[94:95], 0, v[14:15]
	;;#ASMSTART
	v_dot2_f32_f16 v76, v89, v85, v76
	;;#ASMEND
	v_lshl_add_u64 v[34:35], v[34:35], 0, v[14:15]
	;;#ASMSTART
	v_dot2_f32_f16 v76, v90, v86, v76
	;;#ASMEND
	s_nop 0
	;;#ASMSTART
	v_dot2_f32_f16 v76, v91, v87, v76
	;;#ASMEND
	global_load_ushort v100, v[24:25], off
	global_load_ushort v101, v[24:25], off offset:64
	s_barrier
	global_load_dwordx4 v[84:87], v[26:27], off
	global_load_dwordx4 v[88:91], v[28:29], off
	;; [unrolled: 1-line block ×4, first 2 shown]
	s_waitcnt vmcnt(5)
	v_cvt_f32_f16_e32 v24, v100
	s_waitcnt vmcnt(4)
	v_cvt_f32_f16_e32 v25, v101
	v_add_f32_e32 v26, v75, v24
	v_add_f32_e32 v25, v76, v25
	;; [unrolled: 1-line block ×4, first 2 shown]
	v_max3_f32 v24, v77, v24, v27
	ds_bpermute_b32 v27, v83, v24
	s_waitcnt lgkmcnt(0)
	v_max_f32_e32 v27, v27, v27
	v_max_f32_e32 v24, v24, v27
	ds_bpermute_b32 v27, v82, v24
	s_waitcnt lgkmcnt(0)
	v_max_f32_e32 v27, v27, v27
	v_max_f32_e32 v24, v24, v27
	;; [unrolled: 4-line block ×5, first 2 shown]
	v_sub_f32_e32 v26, v26, v24
	v_mul_f32_e32 v28, 0x3fb8aa3b, v26
	v_sub_f32_e32 v25, v25, v24
	v_sub_f32_e32 v27, v77, v24
	v_fma_f32 v31, v26, s24, -v28
	v_rndne_f32_e32 v33, v28
	v_mul_f32_e32 v29, 0x3fb8aa3b, v25
	v_mul_f32_e32 v30, 0x3fb8aa3b, v27
	v_fmac_f32_e32 v31, 0x32a5705f, v26
	v_sub_f32_e32 v28, v28, v33
	v_fma_f32 v32, v25, s24, -v29
	v_rndne_f32_e32 v75, v29
	v_fma_f32 v76, v27, s24, -v30
	v_add_f32_e32 v28, v28, v31
	v_rndne_f32_e32 v31, v30
	v_fmac_f32_e32 v32, 0x32a5705f, v25
	v_sub_f32_e32 v29, v29, v75
	v_fmac_f32_e32 v76, 0x32a5705f, v27
	v_sub_f32_e32 v30, v30, v31
	v_add_f32_e32 v29, v29, v32
	v_add_f32_e32 v30, v30, v76
	v_cvt_i32_f32_e32 v33, v33
	v_cvt_i32_f32_e32 v75, v75
	;; [unrolled: 1-line block ×3, first 2 shown]
	v_exp_f32_e32 v28, v28
	v_exp_f32_e32 v29, v29
	;; [unrolled: 1-line block ×3, first 2 shown]
	v_cmp_ngt_f32_e32 vcc, s25, v26
	v_ldexp_f32 v28, v28, v33
	v_ldexp_f32 v29, v29, v75
	;; [unrolled: 1-line block ×3, first 2 shown]
	v_cmp_ngt_f32_e64 s[4:5], s25, v27
	v_cmp_ngt_f32_e64 s[6:7], s25, v25
	s_nop 1
	v_cndmask_b32_e64 v29, 0, v29, s[6:7]
	v_cmp_nlt_f32_e64 s[6:7], s26, v25
	v_cndmask_b32_e32 v25, 0, v28, vcc
	v_cndmask_b32_e64 v28, 0, v30, s[4:5]
	v_cmp_nlt_f32_e64 s[4:5], s26, v26
	v_cmp_nlt_f32_e32 vcc, s26, v27
	v_cndmask_b32_e64 v26, v63, v29, s[6:7]
	v_cndmask_b32_e64 v25, v63, v25, s[4:5]
	v_cndmask_b32_e32 v27, v63, v28, vcc
	v_cvt_f16_f32_e32 v28, v25
	v_cvt_f16_f32_e32 v29, v26
	;; [unrolled: 1-line block ×3, first 2 shown]
	v_add_f32_e32 v25, v25, v26
	v_fmac_f32_e32 v25, v78, v27
	ds_write_b16 v58, v28
	ds_write_b16 v58, v29 offset:64
	s_waitcnt vmcnt(3)
	ds_write_b128 v59, v[84:87]
	s_waitcnt vmcnt(2)
	ds_write_b128 v60, v[88:91]
	;; [unrolled: 2-line block ×4, first 2 shown]
	s_waitcnt lgkmcnt(0)
	s_barrier
	ds_read_b128 v[26:29], v57
	ds_read2_b64 v[30:33], v44 offset1:32
	v_mul_u32_u24_e32 v75, 0x10001, v75
	v_pk_mul_f16 v72, v72, v75
	v_pk_mul_f16 v71, v71, v75
	s_waitcnt lgkmcnt(1)
	v_mul_u32_u24_sdwa v92, v26, s27 dst_sel:DWORD dst_unused:UNUSED_PAD src0_sel:WORD_0 src1_sel:DWORD
	ds_read2_b64 v[76:79], v44 offset0:64 offset1:96
	ds_read2_b64 v[80:83], v44 offset0:128 offset1:160
	;; [unrolled: 1-line block ×3, first 2 shown]
	ds_read_b128 v[88:91], v57 offset:16
	s_waitcnt lgkmcnt(4)
	v_pk_fma_f16 v72, v32, v92, v72
	v_pk_fma_f16 v71, v33, v92, v71
	v_pk_mul_f16 v93, v30, v92
	v_pk_mul_f16 v92, v31, v92
	ds_read2_b64 v[30:33], v64 offset1:32
	v_pk_fma_f16 v74, v74, v75, v93
	v_mul_u32_u24_sdwa v26, v26, s27 dst_sel:DWORD dst_unused:UNUSED_PAD src0_sel:WORD_1 src1_sel:DWORD
	v_pk_fma_f16 v73, v73, v75, v92
	s_waitcnt lgkmcnt(4)
	v_pk_fma_f16 v78, v78, v26, v72
	v_pk_fma_f16 v71, v79, v26, v71
	;; [unrolled: 1-line block ×4, first 2 shown]
	ds_read2_b64 v[72:75], v64 offset0:64 offset1:96
	v_mul_u32_u24_sdwa v77, v27, s27 dst_sel:DWORD dst_unused:UNUSED_PAD src0_sel:WORD_0 src1_sel:DWORD
	s_waitcnt lgkmcnt(4)
	v_pk_fma_f16 v82, v82, v77, v78
	v_pk_fma_f16 v71, v83, v77, v71
	;; [unrolled: 1-line block ×4, first 2 shown]
	ds_read2_b64 v[76:79], v64 offset0:128 offset1:160
	v_mul_u32_u24_sdwa v27, v27, s27 dst_sel:DWORD dst_unused:UNUSED_PAD src0_sel:WORD_1 src1_sel:DWORD
	s_waitcnt lgkmcnt(4)
	v_pk_fma_f16 v86, v86, v27, v82
	v_pk_fma_f16 v71, v87, v27, v71
	;; [unrolled: 1-line block ×4, first 2 shown]
	ds_read2_b64 v[80:83], v64 offset0:192 offset1:224
	v_mul_u32_u24_sdwa v27, v28, s27 dst_sel:DWORD dst_unused:UNUSED_PAD src0_sel:WORD_0 src1_sel:DWORD
	s_waitcnt lgkmcnt(3)
	v_pk_fma_f16 v85, v32, v27, v86
	v_pk_fma_f16 v71, v33, v27, v71
	;; [unrolled: 1-line block ×4, first 2 shown]
	ds_read2_b64 v[30:33], v65 offset1:32
	v_mul_u32_u24_sdwa v87, v28, s27 dst_sel:DWORD dst_unused:UNUSED_PAD src0_sel:WORD_1 src1_sel:DWORD
	v_mul_u32_u24_sdwa v92, v29, s27 dst_sel:DWORD dst_unused:UNUSED_PAD src0_sel:WORD_0 src1_sel:DWORD
	v_mul_u32_u24_sdwa v93, v29, s27 dst_sel:DWORD dst_unused:UNUSED_PAD src0_sel:WORD_1 src1_sel:DWORD
	ds_read2_b64 v[26:29], v65 offset0:64 offset1:96
	s_waitcnt lgkmcnt(4)
	v_pk_fma_f16 v85, v74, v87, v85
	v_pk_fma_f16 v71, v75, v87, v71
	v_pk_fma_f16 v84, v72, v87, v84
	v_pk_fma_f16 v86, v73, v87, v86
	ds_read2_b64 v[72:75], v65 offset0:128 offset1:160
	s_waitcnt lgkmcnt(4)
	v_pk_fma_f16 v85, v78, v92, v85
	v_pk_fma_f16 v71, v79, v92, v71
	v_pk_fma_f16 v84, v76, v92, v84
	v_pk_fma_f16 v86, v77, v92, v86
	;; [unrolled: 6-line block ×3, first 2 shown]
	ds_read2_b64 v[80:83], v66 offset1:32
	v_mul_u32_u24_sdwa v87, v88, s27 dst_sel:DWORD dst_unused:UNUSED_PAD src0_sel:WORD_0 src1_sel:DWORD
	s_waitcnt lgkmcnt(4)
	v_pk_fma_f16 v85, v32, v87, v85
	v_pk_fma_f16 v71, v33, v87, v71
	;; [unrolled: 1-line block ×4, first 2 shown]
	v_mul_u32_u24_sdwa v87, v88, s27 dst_sel:DWORD dst_unused:UNUSED_PAD src0_sel:WORD_1 src1_sel:DWORD
	ds_read2_b64 v[30:33], v66 offset0:64 offset1:96
	s_waitcnt lgkmcnt(4)
	v_pk_fma_f16 v85, v28, v87, v85
	v_pk_fma_f16 v71, v29, v87, v71
	;; [unrolled: 1-line block ×4, first 2 shown]
	v_mul_u32_u24_sdwa v87, v89, s27 dst_sel:DWORD dst_unused:UNUSED_PAD src0_sel:WORD_0 src1_sel:DWORD
	ds_read2_b64 v[26:29], v66 offset0:128 offset1:160
	s_waitcnt lgkmcnt(4)
	v_pk_fma_f16 v85, v74, v87, v85
	v_pk_fma_f16 v71, v75, v87, v71
	;; [unrolled: 1-line block ×4, first 2 shown]
	v_mul_u32_u24_sdwa v87, v89, s27 dst_sel:DWORD dst_unused:UNUSED_PAD src0_sel:WORD_1 src1_sel:DWORD
	ds_read2_b64 v[72:75], v66 offset0:192 offset1:224
	s_waitcnt lgkmcnt(4)
	v_pk_fma_f16 v85, v78, v87, v85
	v_pk_fma_f16 v71, v79, v87, v71
	;; [unrolled: 1-line block ×4, first 2 shown]
	ds_read_b128 v[76:79], v57 offset:32
	v_mul_u32_u24_sdwa v87, v90, s27 dst_sel:DWORD dst_unused:UNUSED_PAD src0_sel:WORD_0 src1_sel:DWORD
	s_waitcnt lgkmcnt(4)
	v_pk_fma_f16 v88, v82, v87, v85
	v_pk_fma_f16 v71, v83, v87, v71
	;; [unrolled: 1-line block ×4, first 2 shown]
	ds_read2_b64 v[80:83], v67 offset1:32
	v_mul_u32_u24_sdwa v90, v90, s27 dst_sel:DWORD dst_unused:UNUSED_PAD src0_sel:WORD_1 src1_sel:DWORD
	v_mul_u32_u24_sdwa v93, v91, s27 dst_sel:DWORD dst_unused:UNUSED_PAD src0_sel:WORD_0 src1_sel:DWORD
	ds_read2_b64 v[84:87], v67 offset0:64 offset1:96
	s_waitcnt lgkmcnt(5)
	v_pk_fma_f16 v88, v32, v90, v88
	v_pk_fma_f16 v71, v33, v90, v71
	;; [unrolled: 1-line block ×4, first 2 shown]
	v_mul_u32_u24_sdwa v91, v91, s27 dst_sel:DWORD dst_unused:UNUSED_PAD src0_sel:WORD_1 src1_sel:DWORD
	ds_read2_b64 v[30:33], v67 offset0:128 offset1:160
	s_waitcnt lgkmcnt(5)
	v_pk_fma_f16 v88, v28, v93, v88
	v_pk_fma_f16 v71, v29, v93, v71
	;; [unrolled: 1-line block ×4, first 2 shown]
	ds_read2_b64 v[26:29], v67 offset0:192 offset1:224
	s_waitcnt lgkmcnt(5)
	v_pk_fma_f16 v88, v74, v91, v88
	v_pk_fma_f16 v71, v75, v91, v71
	;; [unrolled: 1-line block ×4, first 2 shown]
	ds_read_b128 v[72:75], v57 offset:48
	s_waitcnt lgkmcnt(5)
	v_mul_u32_u24_sdwa v91, v76, s27 dst_sel:DWORD dst_unused:UNUSED_PAD src0_sel:WORD_0 src1_sel:DWORD
	s_waitcnt lgkmcnt(4)
	v_pk_fma_f16 v88, v82, v91, v88
	v_pk_fma_f16 v71, v83, v91, v71
	;; [unrolled: 1-line block ×4, first 2 shown]
	ds_read2_b64 v[80:83], v68 offset1:32
	v_mul_u32_u24_sdwa v76, v76, s27 dst_sel:DWORD dst_unused:UNUSED_PAD src0_sel:WORD_1 src1_sel:DWORD
	s_waitcnt lgkmcnt(4)
	v_pk_fma_f16 v88, v86, v76, v88
	v_pk_fma_f16 v71, v87, v76, v71
	;; [unrolled: 1-line block ×4, first 2 shown]
	ds_read2_b64 v[84:87], v68 offset0:64 offset1:96
	v_mul_u32_u24_sdwa v90, v77, s27 dst_sel:DWORD dst_unused:UNUSED_PAD src0_sel:WORD_0 src1_sel:DWORD
	s_waitcnt lgkmcnt(4)
	v_pk_fma_f16 v88, v32, v90, v88
	v_pk_fma_f16 v71, v33, v90, v71
	;; [unrolled: 1-line block ×4, first 2 shown]
	ds_read2_b64 v[30:33], v68 offset0:128 offset1:160
	v_mul_u32_u24_sdwa v77, v77, s27 dst_sel:DWORD dst_unused:UNUSED_PAD src0_sel:WORD_1 src1_sel:DWORD
	s_waitcnt lgkmcnt(4)
	v_pk_fma_f16 v88, v28, v77, v88
	v_pk_fma_f16 v71, v29, v77, v71
	;; [unrolled: 1-line block ×4, first 2 shown]
	ds_read2_b64 v[26:29], v68 offset0:192 offset1:224
	v_mul_u32_u24_sdwa v77, v78, s27 dst_sel:DWORD dst_unused:UNUSED_PAD src0_sel:WORD_0 src1_sel:DWORD
	s_waitcnt lgkmcnt(3)
	v_pk_fma_f16 v88, v82, v77, v88
	v_pk_fma_f16 v71, v83, v77, v71
	;; [unrolled: 1-line block ×4, first 2 shown]
	ds_read2_b64 v[80:83], v69 offset1:32
	v_mul_u32_u24_sdwa v91, v78, s27 dst_sel:DWORD dst_unused:UNUSED_PAD src0_sel:WORD_1 src1_sel:DWORD
	v_mul_u32_u24_sdwa v92, v79, s27 dst_sel:DWORD dst_unused:UNUSED_PAD src0_sel:WORD_0 src1_sel:DWORD
	v_mul_u32_u24_sdwa v93, v79, s27 dst_sel:DWORD dst_unused:UNUSED_PAD src0_sel:WORD_1 src1_sel:DWORD
	ds_read2_b64 v[76:79], v69 offset0:64 offset1:96
	s_waitcnt lgkmcnt(4)
	v_pk_fma_f16 v88, v86, v91, v88
	v_pk_fma_f16 v71, v87, v91, v71
	v_pk_fma_f16 v89, v84, v91, v89
	v_pk_fma_f16 v90, v85, v91, v90
	ds_read2_b64 v[84:87], v69 offset0:128 offset1:160
	s_waitcnt lgkmcnt(4)
	v_pk_fma_f16 v88, v32, v92, v88
	v_pk_fma_f16 v71, v33, v92, v71
	v_pk_fma_f16 v89, v30, v92, v89
	v_pk_fma_f16 v90, v31, v92, v90
	ds_read2_b64 v[30:33], v69 offset0:192 offset1:224
	s_waitcnt lgkmcnt(4)
	v_pk_fma_f16 v88, v28, v93, v88
	v_pk_fma_f16 v71, v29, v93, v71
	v_pk_fma_f16 v89, v26, v93, v89
	v_pk_fma_f16 v90, v27, v93, v90
	v_mul_u32_u24_sdwa v91, v72, s27 dst_sel:DWORD dst_unused:UNUSED_PAD src0_sel:WORD_0 src1_sel:DWORD
	s_waitcnt lgkmcnt(3)
	v_pk_fma_f16 v88, v82, v91, v88
	v_pk_fma_f16 v71, v83, v91, v71
	;; [unrolled: 1-line block ×4, first 2 shown]
	v_mul_u32_u24_sdwa v72, v72, s27 dst_sel:DWORD dst_unused:UNUSED_PAD src0_sel:WORD_1 src1_sel:DWORD
	ds_read2_b64 v[26:29], v70 offset1:32
	s_waitcnt lgkmcnt(3)
	v_pk_fma_f16 v88, v78, v72, v88
	v_pk_fma_f16 v71, v79, v72, v71
	;; [unrolled: 1-line block ×4, first 2 shown]
	v_mul_u32_u24_sdwa v90, v73, s27 dst_sel:DWORD dst_unused:UNUSED_PAD src0_sel:WORD_0 src1_sel:DWORD
	ds_read2_b64 v[80:83], v70 offset0:64 offset1:96
	ds_read2_b64 v[76:79], v70 offset0:128 offset1:160
	s_waitcnt lgkmcnt(4)
	v_pk_fma_f16 v92, v86, v90, v88
	v_pk_fma_f16 v71, v87, v90, v71
	;; [unrolled: 1-line block ×4, first 2 shown]
	ds_read2_b64 v[84:87], v70 offset0:192 offset1:224
	s_waitcnt lgkmcnt(0)
	s_barrier
	global_load_dwordx4 v[88:91], v[40:41], off
	v_mul_u32_u24_sdwa v40, v73, s27 dst_sel:DWORD dst_unused:UNUSED_PAD src0_sel:WORD_1 src1_sel:DWORD
	v_pk_fma_f16 v41, v32, v40, v92
	v_pk_fma_f16 v71, v33, v40, v71
	v_pk_fma_f16 v73, v30, v40, v93
	v_pk_fma_f16 v40, v31, v40, v72
	global_load_dwordx4 v[30:33], v[36:37], off
	global_load_dwordx4 v[92:95], v[38:39], off
	v_mul_u32_u24_sdwa v36, v74, s27 dst_sel:DWORD dst_unused:UNUSED_PAD src0_sel:WORD_0 src1_sel:DWORD
	v_pk_fma_f16 v37, v28, v36, v41
	v_pk_fma_f16 v38, v29, v36, v71
	;; [unrolled: 1-line block ×4, first 2 shown]
	global_load_dwordx4 v[26:29], v[34:35], off
	v_mul_u32_u24_sdwa v34, v74, s27 dst_sel:DWORD dst_unused:UNUSED_PAD src0_sel:WORD_1 src1_sel:DWORD
	v_mul_u32_u24_sdwa v35, v75, s27 dst_sel:DWORD dst_unused:UNUSED_PAD src0_sel:WORD_0 src1_sel:DWORD
	v_pk_fma_f16 v37, v82, v34, v37
	v_pk_fma_f16 v38, v83, v34, v38
	;; [unrolled: 1-line block ×4, first 2 shown]
	v_mul_u32_u24_sdwa v40, v75, s27 dst_sel:DWORD dst_unused:UNUSED_PAD src0_sel:WORD_1 src1_sel:DWORD
	v_pk_fma_f16 v36, v78, v35, v37
	v_pk_fma_f16 v37, v79, v35, v38
	;; [unrolled: 1-line block ×8, first 2 shown]
	s_waitcnt vmcnt(3)
	ds_write_b128 v59, v[88:91]
	s_waitcnt vmcnt(2)
	ds_write_b128 v60, v[30:33]
	;; [unrolled: 2-line block ×4, first 2 shown]
	s_waitcnt lgkmcnt(0)
	s_barrier
	ds_read_b128 v[26:29], v57 offset:64
	ds_read2_b64 v[30:33], v44 offset1:32
	ds_read2_b64 v[34:37], v44 offset0:64 offset1:96
	ds_read2_b64 v[38:41], v44 offset0:128 offset1:160
	;; [unrolled: 1-line block ×3, first 2 shown]
	ds_read2_b64 v[76:79], v64 offset1:32
	ds_read2_b64 v[80:83], v64 offset0:64 offset1:96
	ds_read_b128 v[84:87], v57 offset:80
	s_waitcnt lgkmcnt(7)
	v_mul_u32_u24_sdwa v88, v26, s27 dst_sel:DWORD dst_unused:UNUSED_PAD src0_sel:WORD_0 src1_sel:DWORD
	s_waitcnt lgkmcnt(6)
	v_pk_fma_f16 v89, v30, v88, v97
	v_pk_fma_f16 v90, v31, v88, v98
	;; [unrolled: 1-line block ×4, first 2 shown]
	v_mul_u32_u24_sdwa v26, v26, s27 dst_sel:DWORD dst_unused:UNUSED_PAD src0_sel:WORD_1 src1_sel:DWORD
	ds_read2_b64 v[30:33], v64 offset0:128 offset1:160
	s_waitcnt lgkmcnt(6)
	v_pk_fma_f16 v89, v34, v26, v89
	v_pk_fma_f16 v90, v35, v26, v90
	;; [unrolled: 1-line block ×4, first 2 shown]
	v_mul_u32_u24_sdwa v88, v27, s27 dst_sel:DWORD dst_unused:UNUSED_PAD src0_sel:WORD_0 src1_sel:DWORD
	ds_read2_b64 v[34:37], v64 offset0:192 offset1:224
	s_waitcnt lgkmcnt(6)
	v_pk_fma_f16 v89, v38, v88, v89
	v_pk_fma_f16 v90, v39, v88, v90
	;; [unrolled: 1-line block ×4, first 2 shown]
	v_mul_u32_u24_sdwa v27, v27, s27 dst_sel:DWORD dst_unused:UNUSED_PAD src0_sel:WORD_1 src1_sel:DWORD
	ds_read2_b64 v[38:41], v65 offset1:32
	s_waitcnt lgkmcnt(6)
	v_pk_fma_f16 v88, v72, v27, v89
	v_pk_fma_f16 v89, v73, v27, v90
	;; [unrolled: 1-line block ×4, first 2 shown]
	v_mul_u32_u24_sdwa v27, v28, s27 dst_sel:DWORD dst_unused:UNUSED_PAD src0_sel:WORD_0 src1_sel:DWORD
	ds_read2_b64 v[72:75], v65 offset0:64 offset1:96
	s_waitcnt lgkmcnt(6)
	v_pk_fma_f16 v88, v76, v27, v88
	v_pk_fma_f16 v89, v77, v27, v89
	;; [unrolled: 1-line block ×4, first 2 shown]
	v_mul_u32_u24_sdwa v91, v28, s27 dst_sel:DWORD dst_unused:UNUSED_PAD src0_sel:WORD_1 src1_sel:DWORD
	ds_read2_b64 v[76:79], v65 offset0:128 offset1:160
	v_mul_u32_u24_sdwa v92, v29, s27 dst_sel:DWORD dst_unused:UNUSED_PAD src0_sel:WORD_0 src1_sel:DWORD
	s_waitcnt lgkmcnt(6)
	v_pk_fma_f16 v88, v80, v91, v88
	v_pk_fma_f16 v89, v81, v91, v89
	;; [unrolled: 1-line block ×4, first 2 shown]
	v_mul_u32_u24_sdwa v93, v29, s27 dst_sel:DWORD dst_unused:UNUSED_PAD src0_sel:WORD_1 src1_sel:DWORD
	ds_read2_b64 v[26:29], v65 offset0:192 offset1:224
	s_waitcnt lgkmcnt(5)
	v_pk_fma_f16 v88, v30, v92, v88
	v_pk_fma_f16 v89, v31, v92, v89
	;; [unrolled: 1-line block ×4, first 2 shown]
	ds_read2_b64 v[80:83], v66 offset1:32
	s_waitcnt lgkmcnt(5)
	v_pk_fma_f16 v88, v34, v93, v88
	v_pk_fma_f16 v89, v35, v93, v89
	;; [unrolled: 1-line block ×4, first 2 shown]
	v_mul_u32_u24_sdwa v91, v84, s27 dst_sel:DWORD dst_unused:UNUSED_PAD src0_sel:WORD_0 src1_sel:DWORD
	ds_read2_b64 v[30:33], v66 offset0:64 offset1:96
	s_waitcnt lgkmcnt(5)
	v_pk_fma_f16 v88, v38, v91, v88
	v_pk_fma_f16 v89, v39, v91, v89
	;; [unrolled: 1-line block ×4, first 2 shown]
	v_mul_u32_u24_sdwa v84, v84, s27 dst_sel:DWORD dst_unused:UNUSED_PAD src0_sel:WORD_1 src1_sel:DWORD
	ds_read2_b64 v[34:37], v66 offset0:128 offset1:160
	s_waitcnt lgkmcnt(5)
	v_pk_fma_f16 v88, v72, v84, v88
	v_pk_fma_f16 v89, v73, v84, v89
	;; [unrolled: 1-line block ×4, first 2 shown]
	v_mul_u32_u24_sdwa v90, v85, s27 dst_sel:DWORD dst_unused:UNUSED_PAD src0_sel:WORD_0 src1_sel:DWORD
	ds_read2_b64 v[38:41], v66 offset0:192 offset1:224
	ds_read_b128 v[72:75], v57 offset:96
	s_waitcnt lgkmcnt(6)
	v_pk_fma_f16 v88, v76, v90, v88
	v_pk_fma_f16 v89, v77, v90, v89
	;; [unrolled: 1-line block ×4, first 2 shown]
	v_mul_u32_u24_sdwa v85, v85, s27 dst_sel:DWORD dst_unused:UNUSED_PAD src0_sel:WORD_1 src1_sel:DWORD
	ds_read2_b64 v[76:79], v67 offset1:32
	s_waitcnt lgkmcnt(6)
	v_pk_fma_f16 v88, v26, v85, v88
	v_pk_fma_f16 v89, v27, v85, v89
	;; [unrolled: 1-line block ×4, first 2 shown]
	v_mul_u32_u24_sdwa v85, v86, s27 dst_sel:DWORD dst_unused:UNUSED_PAD src0_sel:WORD_0 src1_sel:DWORD
	ds_read2_b64 v[26:29], v67 offset0:64 offset1:96
	s_waitcnt lgkmcnt(6)
	v_pk_fma_f16 v88, v80, v85, v88
	v_pk_fma_f16 v89, v81, v85, v89
	;; [unrolled: 1-line block ×4, first 2 shown]
	v_mul_u32_u24_sdwa v91, v86, s27 dst_sel:DWORD dst_unused:UNUSED_PAD src0_sel:WORD_1 src1_sel:DWORD
	ds_read2_b64 v[80:83], v67 offset0:128 offset1:160
	v_mul_u32_u24_sdwa v92, v87, s27 dst_sel:DWORD dst_unused:UNUSED_PAD src0_sel:WORD_0 src1_sel:DWORD
	s_waitcnt lgkmcnt(6)
	v_pk_fma_f16 v88, v30, v91, v88
	v_pk_fma_f16 v89, v31, v91, v89
	;; [unrolled: 1-line block ×4, first 2 shown]
	v_mul_u32_u24_sdwa v93, v87, s27 dst_sel:DWORD dst_unused:UNUSED_PAD src0_sel:WORD_1 src1_sel:DWORD
	ds_read2_b64 v[84:87], v67 offset0:192 offset1:224
	s_waitcnt lgkmcnt(6)
	v_pk_fma_f16 v88, v34, v92, v88
	v_pk_fma_f16 v89, v35, v92, v89
	;; [unrolled: 1-line block ×4, first 2 shown]
	ds_read2_b64 v[30:33], v68 offset1:32
	s_waitcnt lgkmcnt(6)
	v_pk_fma_f16 v88, v38, v93, v88
	v_pk_fma_f16 v89, v39, v93, v89
	;; [unrolled: 1-line block ×4, first 2 shown]
	ds_read_b128 v[38:41], v57 offset:112
	s_waitcnt lgkmcnt(6)
	v_mul_u32_u24_sdwa v91, v72, s27 dst_sel:DWORD dst_unused:UNUSED_PAD src0_sel:WORD_0 src1_sel:DWORD
	ds_read2_b64 v[34:37], v68 offset0:64 offset1:96
	s_waitcnt lgkmcnt(6)
	v_pk_fma_f16 v88, v76, v91, v88
	v_pk_fma_f16 v89, v77, v91, v89
	;; [unrolled: 1-line block ×4, first 2 shown]
	v_mul_u32_u24_sdwa v72, v72, s27 dst_sel:DWORD dst_unused:UNUSED_PAD src0_sel:WORD_1 src1_sel:DWORD
	ds_read2_b64 v[76:79], v68 offset0:128 offset1:160
	s_waitcnt lgkmcnt(6)
	v_pk_fma_f16 v88, v26, v72, v88
	v_pk_fma_f16 v89, v27, v72, v89
	;; [unrolled: 1-line block ×4, first 2 shown]
	v_mul_u32_u24_sdwa v90, v73, s27 dst_sel:DWORD dst_unused:UNUSED_PAD src0_sel:WORD_0 src1_sel:DWORD
	ds_read2_b64 v[26:29], v68 offset0:192 offset1:224
	s_waitcnt lgkmcnt(6)
	v_pk_fma_f16 v88, v80, v90, v88
	v_pk_fma_f16 v89, v81, v90, v89
	;; [unrolled: 1-line block ×4, first 2 shown]
	v_mul_u32_u24_sdwa v73, v73, s27 dst_sel:DWORD dst_unused:UNUSED_PAD src0_sel:WORD_1 src1_sel:DWORD
	ds_read2_b64 v[80:83], v69 offset1:32
	s_waitcnt lgkmcnt(6)
	v_pk_fma_f16 v88, v84, v73, v88
	v_pk_fma_f16 v89, v85, v73, v89
	;; [unrolled: 1-line block ×4, first 2 shown]
	v_mul_u32_u24_sdwa v73, v74, s27 dst_sel:DWORD dst_unused:UNUSED_PAD src0_sel:WORD_0 src1_sel:DWORD
	ds_read2_b64 v[84:87], v69 offset0:64 offset1:96
	s_waitcnt lgkmcnt(6)
	v_pk_fma_f16 v88, v30, v73, v88
	v_pk_fma_f16 v89, v31, v73, v89
	;; [unrolled: 1-line block ×4, first 2 shown]
	v_mul_u32_u24_sdwa v91, v74, s27 dst_sel:DWORD dst_unused:UNUSED_PAD src0_sel:WORD_1 src1_sel:DWORD
	ds_read2_b64 v[30:33], v69 offset0:128 offset1:160
	v_mul_u32_u24_sdwa v92, v75, s27 dst_sel:DWORD dst_unused:UNUSED_PAD src0_sel:WORD_0 src1_sel:DWORD
	s_waitcnt lgkmcnt(5)
	v_pk_fma_f16 v88, v34, v91, v88
	v_pk_fma_f16 v89, v35, v91, v89
	;; [unrolled: 1-line block ×4, first 2 shown]
	v_mul_u32_u24_sdwa v93, v75, s27 dst_sel:DWORD dst_unused:UNUSED_PAD src0_sel:WORD_1 src1_sel:DWORD
	ds_read2_b64 v[72:75], v69 offset0:192 offset1:224
	s_waitcnt lgkmcnt(5)
	v_pk_fma_f16 v88, v76, v92, v88
	v_pk_fma_f16 v89, v77, v92, v89
	;; [unrolled: 1-line block ×4, first 2 shown]
	ds_read2_b64 v[34:37], v70 offset1:32
	s_waitcnt lgkmcnt(5)
	v_pk_fma_f16 v88, v26, v93, v88
	v_pk_fma_f16 v89, v27, v93, v89
	;; [unrolled: 1-line block ×4, first 2 shown]
	v_mul_u32_u24_sdwa v91, v38, s27 dst_sel:DWORD dst_unused:UNUSED_PAD src0_sel:WORD_0 src1_sel:DWORD
	ds_read2_b64 v[76:79], v70 offset0:64 offset1:96
	ds_read2_b64 v[26:29], v70 offset0:128 offset1:160
	v_mul_u32_u24_sdwa v92, v38, s27 dst_sel:DWORD dst_unused:UNUSED_PAD src0_sel:WORD_1 src1_sel:DWORD
	v_mul_u32_u24_sdwa v93, v39, s27 dst_sel:DWORD dst_unused:UNUSED_PAD src0_sel:WORD_0 src1_sel:DWORD
	s_waitcnt lgkmcnt(6)
	v_pk_fma_f16 v80, v80, v91, v88
	v_pk_fma_f16 v81, v81, v91, v89
	;; [unrolled: 1-line block ×4, first 2 shown]
	v_mul_u32_u24_sdwa v83, v39, s27 dst_sel:DWORD dst_unused:UNUSED_PAD src0_sel:WORD_1 src1_sel:DWORD
	v_mul_u32_u24_sdwa v88, v40, s27 dst_sel:DWORD dst_unused:UNUSED_PAD src0_sel:WORD_0 src1_sel:DWORD
	v_mul_u32_u24_sdwa v89, v40, s27 dst_sel:DWORD dst_unused:UNUSED_PAD src0_sel:WORD_1 src1_sel:DWORD
	v_mul_u32_u24_sdwa v90, v41, s27 dst_sel:DWORD dst_unused:UNUSED_PAD src0_sel:WORD_0 src1_sel:DWORD
	v_mul_u32_u24_sdwa v91, v41, s27 dst_sel:DWORD dst_unused:UNUSED_PAD src0_sel:WORD_1 src1_sel:DWORD
	ds_read2_b64 v[38:41], v70 offset0:192 offset1:224
	s_waitcnt lgkmcnt(0)
	s_barrier
	s_load_dword s4, s[8:9], 0x4
	v_pk_fma_f16 v80, v84, v92, v80
	v_pk_fma_f16 v81, v85, v92, v81
	;; [unrolled: 1-line block ×16, first 2 shown]
	s_waitcnt lgkmcnt(0)
	s_lshl_b32 s4, s4, 6
	v_pk_fma_f16 v30, v76, v89, v30
	v_pk_fma_f16 v31, v77, v89, v31
	;; [unrolled: 1-line block ×4, first 2 shown]
	s_add_i32 s2, s4, s2
	v_pk_fma_f16 v26, v26, v90, v30
	v_pk_fma_f16 v27, v27, v90, v31
	v_pk_fma_f16 v28, v28, v90, v32
	v_pk_fma_f16 v29, v29, v90, v33
	s_cmp_ge_i32 s2, s28
	v_pk_fma_f16 v74, v38, v91, v26
	v_pk_fma_f16 v73, v39, v91, v27
	;; [unrolled: 1-line block ×4, first 2 shown]
	s_cbranch_scc0 .LBB20_9
.LBB20_10:
	v_cmp_lt_i32_e32 vcc, v51, v46
	s_cmp_lg_u64 s[12:13], 0
	s_cselect_b64 s[4:5], -1, 0
	v_cndmask_b32_e32 v0, v13, v51, vcc
	v_lshlrev_b32_e32 v0, 2, v0
	ds_bpermute_b32 v0, v0, v25
	v_cmp_lt_i32_e32 vcc, v50, v46
	s_cmp_eq_u32 s3, 0
	s_cselect_b64 s[6:7], -1, 0
	v_cndmask_b32_e32 v1, v13, v50, vcc
	v_lshlrev_b32_e32 v1, 2, v1
	s_waitcnt lgkmcnt(0)
	v_add_f32_e32 v0, v25, v0
	ds_bpermute_b32 v1, v1, v0
	v_cmp_lt_i32_e32 vcc, v49, v46
	s_and_b64 s[4:5], s[6:7], s[4:5]
	s_waitcnt lgkmcnt(0)
	v_add_f32_e32 v0, v0, v1
	v_cndmask_b32_e32 v4, v13, v49, vcc
	v_lshlrev_b32_e32 v4, 2, v4
	ds_bpermute_b32 v1, v4, v0
	v_cmp_lt_i32_e32 vcc, v48, v46
	s_waitcnt lgkmcnt(0)
	v_add_f32_e32 v0, v0, v1
	v_cndmask_b32_e32 v4, v13, v48, vcc
	v_lshlrev_b32_e32 v4, 2, v4
	ds_bpermute_b32 v1, v4, v0
	v_cmp_lt_i32_e32 vcc, v47, v46
	s_waitcnt lgkmcnt(0)
	v_add_f32_e32 v0, v0, v1
	v_cndmask_b32_e32 v4, v13, v47, vcc
	v_lshlrev_b32_e32 v4, 2, v4
	ds_bpermute_b32 v1, v4, v0
	s_and_b64 vcc, exec, s[4:5]
	s_waitcnt lgkmcnt(0)
	v_add_f32_e32 v25, v0, v1
	s_cbranch_vccz .LBB20_13
; %bb.11:
	v_add_u32_e32 v0, s29, v3
	v_ashrrev_i32_e32 v1, 31, v0
	v_lshl_add_u64 v[0:1], v[0:1], 2, s[12:13]
	global_load_dword v1, v[0:1], off
	v_max_f32_e32 v0, v24, v24
	s_mov_b32 s2, 0x3fb8aa3b
	s_mov_b32 s4, 0xc2ce8ed0
	s_waitcnt vmcnt(0)
	v_max_f32_e32 v4, v1, v1
	v_max_f32_e32 v0, v0, v4
	v_sub_f32_e32 v4, v24, v0
	v_sub_f32_e32 v1, v1, v0
	v_mul_f32_e32 v5, 0x3fb8aa3b, v4
	v_mul_f32_e32 v6, 0x3fb8aa3b, v1
	v_fma_f32 v7, v4, s2, -v5
	v_rndne_f32_e32 v8, v5
	v_fma_f32 v9, v1, s2, -v6
	v_rndne_f32_e32 v10, v6
	v_fmac_f32_e32 v7, 0x32a5705f, v4
	v_sub_f32_e32 v5, v5, v8
	v_fmac_f32_e32 v9, 0x32a5705f, v1
	v_sub_f32_e32 v6, v6, v10
	v_add_f32_e32 v5, v5, v7
	v_cvt_i32_f32_e32 v8, v8
	v_add_f32_e32 v6, v6, v9
	v_exp_f32_e32 v5, v5
	v_cvt_i32_f32_e32 v10, v10
	v_exp_f32_e32 v6, v6
	v_cmp_ngt_f32_e32 vcc, s4, v4
	v_ldexp_f32 v5, v5, v8
	s_mov_b32 s2, 0x42b17218
	v_ldexp_f32 v6, v6, v10
	v_cndmask_b32_e32 v5, 0, v5, vcc
	v_cmp_ngt_f32_e32 vcc, s4, v1
	v_mov_b32_e32 v7, 0x7f800000
	s_nop 0
	v_cndmask_b32_e32 v6, 0, v6, vcc
	v_cmp_nlt_f32_e32 vcc, s2, v4
	s_nop 1
	v_cndmask_b32_e32 v4, v7, v5, vcc
	v_cvt_f16_f32_e32 v5, v4
	v_cmp_nlt_f32_e32 vcc, s2, v1
	s_nop 1
	v_cndmask_b32_e32 v1, v7, v6, vcc
	v_fmac_f32_e32 v1, v25, v4
	v_mul_u32_u24_e32 v4, 0x10001, v5
	v_pk_mul_f16 v74, v74, v4
	v_pk_mul_f16 v73, v73, v4
	;; [unrolled: 1-line block ×4, first 2 shown]
	v_mov_b64_e32 v[24:25], v[0:1]
	v_cmp_gt_i32_e32 vcc, s22, v42
	s_and_saveexec_b64 s[4:5], vcc
	s_cbranch_execnz .LBB20_14
.LBB20_12:
	s_endpgm
.LBB20_13:
	v_mov_b32_e32 v1, v25
	v_cmp_gt_i32_e32 vcc, s22, v42
	s_and_saveexec_b64 s[4:5], vcc
	s_cbranch_execz .LBB20_12
.LBB20_14:
	s_load_dword s2, s[0:1], 0xd4
	v_div_scale_f32 v0, s[0:1], v1, v1, 1.0
	v_rcp_f32_e32 v4, v0
	s_mul_i32 s33, s33, s22
	s_waitcnt lgkmcnt(0)
	s_cmp_lg_u32 s2, 1
	s_cselect_b64 s[0:1], -1, 0
	v_fma_f32 v5, -v0, v4, 1.0
	v_fmac_f32_e32 v4, v5, v4
	v_div_scale_f32 v5, vcc, 1.0, v1, 1.0
	v_mul_f32_e32 v6, v5, v4
	v_fma_f32 v7, -v0, v6, v5
	v_fmac_f32_e32 v6, v7, v4
	v_fma_f32 v0, -v0, v6, v5
	v_div_fmas_f32 v0, v0, v4, v6
	v_div_fixup_f32 v0, v0, v1, 1.0
	v_cndmask_b32_e64 v6, v0, 1.0, s[0:1]
	v_add_u32_e32 v0, s33, v42
	v_mul_lo_u32 v0, v0, s23
	v_add3_u32 v0, s29, v3, v0
	v_cmp_eq_u32_e32 vcc, 0, v2
	v_cvt_f32_f16_sdwa v3, v74 dst_sel:DWORD dst_unused:UNUSED_PAD src0_sel:WORD_1
	v_cvt_f32_f16_e32 v2, v74
	v_cvt_f32_f16_sdwa v5, v73 dst_sel:DWORD dst_unused:UNUSED_PAD src0_sel:WORD_1
	v_cvt_f32_f16_e32 v4, v73
	v_mul_lo_u32 v0, s2, v0
	v_add_u32_e32 v0, s3, v0
	v_lshl_add_u32 v8, v0, 8, v43
	v_mov_b32_e32 v9, 0
	v_lshl_add_u64 v[10:11], v[8:9], 2, s[16:17]
	v_pk_mul_f32 v[2:3], v[6:7], v[2:3] op_sel_hi:[0,1]
	v_pk_mul_f32 v[4:5], v[6:7], v[4:5] op_sel_hi:[0,1]
	global_store_dwordx4 v[10:11], v[2:5], off
	v_add_u32_e32 v8, 0x80, v8
	s_and_b64 s[0:1], vcc, s[0:1]
	v_cvt_f32_f16_sdwa v3, v72 dst_sel:DWORD dst_unused:UNUSED_PAD src0_sel:WORD_1
	v_cvt_f32_f16_e32 v2, v72
	v_cvt_f32_f16_sdwa v5, v71 dst_sel:DWORD dst_unused:UNUSED_PAD src0_sel:WORD_1
	v_cvt_f32_f16_e32 v4, v71
	v_lshl_add_u64 v[8:9], v[8:9], 2, s[16:17]
	v_pk_mul_f32 v[2:3], v[6:7], v[2:3] op_sel_hi:[0,1]
	v_pk_mul_f32 v[4:5], v[6:7], v[4:5] op_sel_hi:[0,1]
	global_store_dwordx4 v[8:9], v[2:5], off
	s_and_b64 exec, exec, s[0:1]
	s_cbranch_execz .LBB20_12
; %bb.15:
	v_mov_b32_e32 v2, s18
	v_mov_b32_e32 v3, s19
	v_ashrrev_i32_e32 v1, 31, v0
	v_lshl_add_u64 v[0:1], v[0:1], 3, v[2:3]
	global_store_dwordx2 v[0:1], v[24:25], off
	s_endpgm
	.section	.rodata,"a",@progbits
	.p2align	6, 0x0
	.amdhsa_kernel _ZL15flash_attn_tileILi256ELi256ELi2ELi4ELb0EEvPKcS1_S1_S1_S1_PKiPfP15HIP_vector_typeIfLj2EEffffjfiS5_IjLj3EEiiiiiiiiiiiliiliiiiil
		.amdhsa_group_segment_fixed_size 22528
		.amdhsa_private_segment_fixed_size 0
		.amdhsa_kernarg_size 464
		.amdhsa_user_sgpr_count 2
		.amdhsa_user_sgpr_dispatch_ptr 0
		.amdhsa_user_sgpr_queue_ptr 0
		.amdhsa_user_sgpr_kernarg_segment_ptr 1
		.amdhsa_user_sgpr_dispatch_id 0
		.amdhsa_user_sgpr_kernarg_preload_length 0
		.amdhsa_user_sgpr_kernarg_preload_offset 0
		.amdhsa_user_sgpr_private_segment_size 0
		.amdhsa_uses_dynamic_stack 0
		.amdhsa_enable_private_segment 0
		.amdhsa_system_sgpr_workgroup_id_x 1
		.amdhsa_system_sgpr_workgroup_id_y 1
		.amdhsa_system_sgpr_workgroup_id_z 1
		.amdhsa_system_sgpr_workgroup_info 0
		.amdhsa_system_vgpr_workitem_id 1
		.amdhsa_next_free_vgpr 102
		.amdhsa_next_free_sgpr 75
		.amdhsa_accum_offset 104
		.amdhsa_reserve_vcc 1
		.amdhsa_float_round_mode_32 0
		.amdhsa_float_round_mode_16_64 0
		.amdhsa_float_denorm_mode_32 3
		.amdhsa_float_denorm_mode_16_64 3
		.amdhsa_dx10_clamp 1
		.amdhsa_ieee_mode 1
		.amdhsa_fp16_overflow 0
		.amdhsa_tg_split 0
		.amdhsa_exception_fp_ieee_invalid_op 0
		.amdhsa_exception_fp_denorm_src 0
		.amdhsa_exception_fp_ieee_div_zero 0
		.amdhsa_exception_fp_ieee_overflow 0
		.amdhsa_exception_fp_ieee_underflow 0
		.amdhsa_exception_fp_ieee_inexact 0
		.amdhsa_exception_int_div_zero 0
	.end_amdhsa_kernel
	.section	.text._ZL15flash_attn_tileILi256ELi256ELi2ELi4ELb0EEvPKcS1_S1_S1_S1_PKiPfP15HIP_vector_typeIfLj2EEffffjfiS5_IjLj3EEiiiiiiiiiiiliiliiiiil,"axG",@progbits,_ZL15flash_attn_tileILi256ELi256ELi2ELi4ELb0EEvPKcS1_S1_S1_S1_PKiPfP15HIP_vector_typeIfLj2EEffffjfiS5_IjLj3EEiiiiiiiiiiiliiliiiiil,comdat
.Lfunc_end20:
	.size	_ZL15flash_attn_tileILi256ELi256ELi2ELi4ELb0EEvPKcS1_S1_S1_S1_PKiPfP15HIP_vector_typeIfLj2EEffffjfiS5_IjLj3EEiiiiiiiiiiiliiliiiiil, .Lfunc_end20-_ZL15flash_attn_tileILi256ELi256ELi2ELi4ELb0EEvPKcS1_S1_S1_S1_PKiPfP15HIP_vector_typeIfLj2EEffffjfiS5_IjLj3EEiiiiiiiiiiiliiliiiiil
                                        ; -- End function
	.set _ZL15flash_attn_tileILi256ELi256ELi2ELi4ELb0EEvPKcS1_S1_S1_S1_PKiPfP15HIP_vector_typeIfLj2EEffffjfiS5_IjLj3EEiiiiiiiiiiiliiliiiiil.num_vgpr, 102
	.set _ZL15flash_attn_tileILi256ELi256ELi2ELi4ELb0EEvPKcS1_S1_S1_S1_PKiPfP15HIP_vector_typeIfLj2EEffffjfiS5_IjLj3EEiiiiiiiiiiiliiliiiiil.num_agpr, 0
	.set _ZL15flash_attn_tileILi256ELi256ELi2ELi4ELb0EEvPKcS1_S1_S1_S1_PKiPfP15HIP_vector_typeIfLj2EEffffjfiS5_IjLj3EEiiiiiiiiiiiliiliiiiil.numbered_sgpr, 39
	.set _ZL15flash_attn_tileILi256ELi256ELi2ELi4ELb0EEvPKcS1_S1_S1_S1_PKiPfP15HIP_vector_typeIfLj2EEffffjfiS5_IjLj3EEiiiiiiiiiiiliiliiiiil.num_named_barrier, 0
	.set _ZL15flash_attn_tileILi256ELi256ELi2ELi4ELb0EEvPKcS1_S1_S1_S1_PKiPfP15HIP_vector_typeIfLj2EEffffjfiS5_IjLj3EEiiiiiiiiiiiliiliiiiil.private_seg_size, 0
	.set _ZL15flash_attn_tileILi256ELi256ELi2ELi4ELb0EEvPKcS1_S1_S1_S1_PKiPfP15HIP_vector_typeIfLj2EEffffjfiS5_IjLj3EEiiiiiiiiiiiliiliiiiil.uses_vcc, 1
	.set _ZL15flash_attn_tileILi256ELi256ELi2ELi4ELb0EEvPKcS1_S1_S1_S1_PKiPfP15HIP_vector_typeIfLj2EEffffjfiS5_IjLj3EEiiiiiiiiiiiliiliiiiil.uses_flat_scratch, 0
	.set _ZL15flash_attn_tileILi256ELi256ELi2ELi4ELb0EEvPKcS1_S1_S1_S1_PKiPfP15HIP_vector_typeIfLj2EEffffjfiS5_IjLj3EEiiiiiiiiiiiliiliiiiil.has_dyn_sized_stack, 0
	.set _ZL15flash_attn_tileILi256ELi256ELi2ELi4ELb0EEvPKcS1_S1_S1_S1_PKiPfP15HIP_vector_typeIfLj2EEffffjfiS5_IjLj3EEiiiiiiiiiiiliiliiiiil.has_recursion, 0
	.set _ZL15flash_attn_tileILi256ELi256ELi2ELi4ELb0EEvPKcS1_S1_S1_S1_PKiPfP15HIP_vector_typeIfLj2EEffffjfiS5_IjLj3EEiiiiiiiiiiiliiliiiiil.has_indirect_call, 0
	.section	.AMDGPU.csdata,"",@progbits
; Kernel info:
; codeLenInByte = 12964
; TotalNumSgprs: 45
; NumVgprs: 102
; NumAgprs: 0
; TotalNumVgprs: 102
; ScratchSize: 0
; MemoryBound: 0
; FloatMode: 240
; IeeeMode: 1
; LDSByteSize: 22528 bytes/workgroup (compile time only)
; SGPRBlocks: 10
; VGPRBlocks: 12
; NumSGPRsForWavesPerEU: 81
; NumVGPRsForWavesPerEU: 102
; AccumOffset: 104
; Occupancy: 4
; WaveLimiterHint : 1
; COMPUTE_PGM_RSRC2:SCRATCH_EN: 0
; COMPUTE_PGM_RSRC2:USER_SGPR: 2
; COMPUTE_PGM_RSRC2:TRAP_HANDLER: 0
; COMPUTE_PGM_RSRC2:TGID_X_EN: 1
; COMPUTE_PGM_RSRC2:TGID_Y_EN: 1
; COMPUTE_PGM_RSRC2:TGID_Z_EN: 1
; COMPUTE_PGM_RSRC2:TIDIG_COMP_CNT: 1
; COMPUTE_PGM_RSRC3_GFX90A:ACCUM_OFFSET: 25
; COMPUTE_PGM_RSRC3_GFX90A:TG_SPLIT: 0
	.section	.text._ZL33flash_attn_stream_k_fixup_uniformILi256ELi2ELi4EEvPfPK15HIP_vector_typeIfLj2EEiiiiiiS1_IjLj3EES5_S5_,"axG",@progbits,_ZL33flash_attn_stream_k_fixup_uniformILi256ELi2ELi4EEvPfPK15HIP_vector_typeIfLj2EEiiiiiiS1_IjLj3EES5_S5_,comdat
	.globl	_ZL33flash_attn_stream_k_fixup_uniformILi256ELi2ELi4EEvPfPK15HIP_vector_typeIfLj2EEiiiiiiS1_IjLj3EES5_S5_ ; -- Begin function _ZL33flash_attn_stream_k_fixup_uniformILi256ELi2ELi4EEvPfPK15HIP_vector_typeIfLj2EEiiiiiiS1_IjLj3EES5_S5_
	.p2align	8
	.type	_ZL33flash_attn_stream_k_fixup_uniformILi256ELi2ELi4EEvPfPK15HIP_vector_typeIfLj2EEiiiiiiS1_IjLj3EES5_S5_,@function
_ZL33flash_attn_stream_k_fixup_uniformILi256ELi2ELi4EEvPfPK15HIP_vector_typeIfLj2EEiiiiiiS1_IjLj3EES5_S5_: ; @_ZL33flash_attn_stream_k_fixup_uniformILi256ELi2ELi4EEvPfPK15HIP_vector_typeIfLj2EEiiiiiiS1_IjLj3EES5_S5_
; %bb.0:
	s_load_dwordx8 s[8:15], s[0:1], 0x1c
	s_load_dwordx2 s[6:7], s[0:1], 0x10
	s_load_dwordx4 s[20:23], s[0:1], 0x3c
	s_waitcnt lgkmcnt(0)
	s_mul_hi_u32 s5, s11, s2
	s_add_i32 s5, s2, s5
	s_lshr_b32 s5, s5, s12
	s_mul_i32 s11, s5, s13
	s_sub_i32 s11, s2, s11
	s_mul_hi_u32 s12, s11, s14
	s_add_i32 s12, s11, s12
	s_lshr_b32 s16, s12, s15
	s_mul_i32 s12, s16, s20
	s_sub_i32 s11, s11, s12
	;; [unrolled: 5-line block ×3, first 2 shown]
	s_lshl_b32 s11, s12, 2
	s_lshl_b32 s12, s17, 1
	s_add_i32 s12, s12, s3
	s_cmp_lt_i32 s12, s6
	s_cselect_b64 s[12:13], -1, 0
	s_add_i32 s14, s11, s4
	s_cmp_lt_i32 s14, s9
	s_cselect_b64 s[14:15], -1, 0
	s_and_b64 s[12:13], s[12:13], s[14:15]
	s_andn2_b64 vcc, exec, s[12:13]
	s_cbranch_vccnz .LBB21_6
; %bb.1:
	s_load_dwordx4 s[12:15], s[0:1], 0x0
	s_mul_i32 s0, s5, s6
	s_add_i32 s0, s0, s3
	s_mul_i32 s0, s0, s7
	s_mul_i32 s16, s16, s9
	s_add_i32 s0, s0, s4
	s_add_i32 s0, s0, s16
	s_mul_i32 s1, s7, s17
	s_add_i32 s0, s0, s11
	s_lshl_b32 s1, s1, 9
	s_lshl_b32 s0, s0, 8
	s_add_i32 s1, s1, s0
	v_or_b32_e32 v4, s1, v0
	s_waitcnt lgkmcnt(0)
	v_mov_b32_e32 v2, s12
	v_mov_b32_e32 v3, s13
	v_ashrrev_i32_e32 v5, 31, v4
	v_lshl_add_u64 v[2:3], v[4:5], 2, v[2:3]
	global_load_dword v5, v[2:3], off
	s_mul_i32 s5, s10, s2
	s_lshl_b32 s11, s3, 2
	s_add_i32 s9, s5, s10
	s_add_i32 s0, s11, s4
	s_lshl_b32 s1, s9, 3
	s_add_i32 s0, s0, s1
	s_add_i32 s0, s0, -8
	s_ashr_i32 s1, s0, 31
	s_lshl_b64 s[0:1], s[0:1], 3
	s_add_u32 s0, s14, s0
	s_addc_u32 s1, s15, s1
	s_load_dword s12, s[0:1], 0x4
	s_add_i32 s6, s9, -2
	s_cmp_lt_i32 s6, s5
	s_cbranch_scc1 .LBB21_4
; %bb.2:
	s_lshl_b32 s6, s8, 5
	s_ashr_i32 s7, s6, 31
	s_lshl_b64 s[6:7], s[6:7], 2
	s_add_u32 s6, s14, s6
	s_addc_u32 s7, s15, s7
	s_add_i32 s2, s2, 1
	s_load_dword s0, s[0:1], 0x0
	s_mul_i32 s1, s10, s2
	s_lshl_b32 s3, s3, 10
	s_lshl_b32 s10, s4, 8
	;; [unrolled: 1-line block ×3, first 2 shown]
	s_add_i32 s3, s10, s3
	s_lshl_b32 s1, s1, 3
	s_add_i32 s3, s3, s2
	s_add_i32 s1, s4, s1
	s_lshl_b32 s2, s8, 3
	s_add_i32 s1, s1, s2
	v_or_b32_e32 v0, s3, v0
	s_add_i32 s1, s1, s11
	s_add_i32 s9, s9, -1
	v_add_u32_e32 v0, 0xfffff000, v0
	s_add_i32 s2, s1, -16
	s_waitcnt lgkmcnt(0)
	v_mov_b32_e32 v7, s0
	v_mov_b32_e32 v4, s12
	s_mov_b32 s4, 0x3fb8aa3b
	s_mov_b32 s8, 0xc2ce8ed0
	;; [unrolled: 1-line block ×3, first 2 shown]
	v_mov_b32_e32 v6, 0x7f800000
	s_mov_b32 s11, 0xc1a00000
.LBB21_3:                               ; =>This Inner Loop Header: Depth=1
	v_ashrrev_i32_e32 v1, 31, v0
	v_lshl_add_u64 v[8:9], v[0:1], 2, s[6:7]
	global_load_dword v9, v[8:9], off
	s_ashr_i32 s3, s2, 31
	s_lshl_b64 s[0:1], s[2:3], 3
	s_add_u32 s0, s14, s0
	s_addc_u32 s1, s15, s1
	s_load_dwordx2 s[0:1], s[0:1], 0x0
	v_max_f32_e32 v1, v7, v7
	s_add_i32 s9, s9, -1
	s_add_i32 s2, s2, -8
	v_add_u32_e32 v0, 0xfffff800, v0
	s_waitcnt lgkmcnt(0)
	v_max_f32_e64 v10, s0, s0
	v_max_f32_e32 v1, v1, v10
	v_sub_f32_e32 v11, s0, v1
	v_sub_f32_e32 v10, v7, v1
	v_mul_f32_e32 v12, 0x3fb8aa3b, v11
	v_mov_b32_e32 v7, v1
	v_mul_f32_e32 v1, 0x3fb8aa3b, v10
	v_fma_f32 v15, v11, s4, -v12
	v_rndne_f32_e32 v16, v12
	v_fma_f32 v13, v10, s4, -v1
	v_rndne_f32_e32 v14, v1
	v_fmac_f32_e32 v15, 0x32a5705f, v11
	v_sub_f32_e32 v12, v12, v16
	v_fmac_f32_e32 v13, 0x32a5705f, v10
	v_sub_f32_e32 v1, v1, v14
	v_add_f32_e32 v12, v12, v15
	v_cvt_i32_f32_e32 v16, v16
	v_add_f32_e32 v1, v1, v13
	v_exp_f32_e32 v12, v12
	v_cvt_i32_f32_e32 v14, v14
	v_exp_f32_e32 v1, v1
	v_cmp_ngt_f32_e32 vcc, s8, v11
	v_ldexp_f32 v12, v12, v16
	v_mov_b32_e32 v8, s1
	v_ldexp_f32 v1, v1, v14
	v_cmp_ngt_f32_e64 s[0:1], s8, v10
	v_cndmask_b32_e32 v12, 0, v12, vcc
	v_cmp_nlt_f32_e32 vcc, s10, v11
	v_cndmask_b32_e64 v1, 0, v1, s[0:1]
	v_cmp_nlt_f32_e64 s[0:1], s10, v10
	v_cndmask_b32_e32 v12, v6, v12, vcc
	v_cmp_le_f32_e32 vcc, s11, v11
	v_cndmask_b32_e64 v1, v6, v1, s[0:1]
	v_cmp_le_f32_e64 s[0:1], s11, v10
	v_cndmask_b32_e32 v12, 0, v12, vcc
	s_cmp_le_i32 s9, s5
	v_cndmask_b32_e64 v10, 0, v1, s[0:1]
	s_waitcnt vmcnt(0)
	v_pk_mul_f32 v[8:9], v[8:9], v[12:13] op_sel_hi:[1,0]
	s_nop 0
	v_pk_fma_f32 v[4:5], v[4:5], v[10:11], v[8:9] op_sel_hi:[1,0,1]
	s_cbranch_scc0 .LBB21_3
	s_branch .LBB21_5
.LBB21_4:
	s_waitcnt lgkmcnt(0)
	v_mov_b32_e32 v4, s12
.LBB21_5:
	s_waitcnt vmcnt(0)
	v_div_scale_f32 v0, s[0:1], v4, v4, v5
	v_rcp_f32_e32 v1, v0
	v_div_scale_f32 v6, vcc, v5, v4, v5
	v_fma_f32 v7, -v0, v1, 1.0
	v_fmac_f32_e32 v1, v7, v1
	v_mul_f32_e32 v7, v6, v1
	v_fma_f32 v8, -v0, v7, v6
	v_fmac_f32_e32 v7, v8, v1
	v_fma_f32 v0, -v0, v7, v6
	v_div_fmas_f32 v0, v0, v1, v7
	v_div_fixup_f32 v0, v0, v4, v5
	global_store_dword v[2:3], v0, off
.LBB21_6:
	s_endpgm
	.section	.rodata,"a",@progbits
	.p2align	6, 0x0
	.amdhsa_kernel _ZL33flash_attn_stream_k_fixup_uniformILi256ELi2ELi4EEvPfPK15HIP_vector_typeIfLj2EEiiiiiiS1_IjLj3EES5_S5_
		.amdhsa_group_segment_fixed_size 0
		.amdhsa_private_segment_fixed_size 0
		.amdhsa_kernarg_size 76
		.amdhsa_user_sgpr_count 2
		.amdhsa_user_sgpr_dispatch_ptr 0
		.amdhsa_user_sgpr_queue_ptr 0
		.amdhsa_user_sgpr_kernarg_segment_ptr 1
		.amdhsa_user_sgpr_dispatch_id 0
		.amdhsa_user_sgpr_kernarg_preload_length 0
		.amdhsa_user_sgpr_kernarg_preload_offset 0
		.amdhsa_user_sgpr_private_segment_size 0
		.amdhsa_uses_dynamic_stack 0
		.amdhsa_enable_private_segment 0
		.amdhsa_system_sgpr_workgroup_id_x 1
		.amdhsa_system_sgpr_workgroup_id_y 1
		.amdhsa_system_sgpr_workgroup_id_z 1
		.amdhsa_system_sgpr_workgroup_info 0
		.amdhsa_system_vgpr_workitem_id 0
		.amdhsa_next_free_vgpr 17
		.amdhsa_next_free_sgpr 24
		.amdhsa_accum_offset 20
		.amdhsa_reserve_vcc 1
		.amdhsa_float_round_mode_32 0
		.amdhsa_float_round_mode_16_64 0
		.amdhsa_float_denorm_mode_32 3
		.amdhsa_float_denorm_mode_16_64 3
		.amdhsa_dx10_clamp 1
		.amdhsa_ieee_mode 1
		.amdhsa_fp16_overflow 0
		.amdhsa_tg_split 0
		.amdhsa_exception_fp_ieee_invalid_op 0
		.amdhsa_exception_fp_denorm_src 0
		.amdhsa_exception_fp_ieee_div_zero 0
		.amdhsa_exception_fp_ieee_overflow 0
		.amdhsa_exception_fp_ieee_underflow 0
		.amdhsa_exception_fp_ieee_inexact 0
		.amdhsa_exception_int_div_zero 0
	.end_amdhsa_kernel
	.section	.text._ZL33flash_attn_stream_k_fixup_uniformILi256ELi2ELi4EEvPfPK15HIP_vector_typeIfLj2EEiiiiiiS1_IjLj3EES5_S5_,"axG",@progbits,_ZL33flash_attn_stream_k_fixup_uniformILi256ELi2ELi4EEvPfPK15HIP_vector_typeIfLj2EEiiiiiiS1_IjLj3EES5_S5_,comdat
.Lfunc_end21:
	.size	_ZL33flash_attn_stream_k_fixup_uniformILi256ELi2ELi4EEvPfPK15HIP_vector_typeIfLj2EEiiiiiiS1_IjLj3EES5_S5_, .Lfunc_end21-_ZL33flash_attn_stream_k_fixup_uniformILi256ELi2ELi4EEvPfPK15HIP_vector_typeIfLj2EEiiiiiiS1_IjLj3EES5_S5_
                                        ; -- End function
	.set _ZL33flash_attn_stream_k_fixup_uniformILi256ELi2ELi4EEvPfPK15HIP_vector_typeIfLj2EEiiiiiiS1_IjLj3EES5_S5_.num_vgpr, 17
	.set _ZL33flash_attn_stream_k_fixup_uniformILi256ELi2ELi4EEvPfPK15HIP_vector_typeIfLj2EEiiiiiiS1_IjLj3EES5_S5_.num_agpr, 0
	.set _ZL33flash_attn_stream_k_fixup_uniformILi256ELi2ELi4EEvPfPK15HIP_vector_typeIfLj2EEiiiiiiS1_IjLj3EES5_S5_.numbered_sgpr, 24
	.set _ZL33flash_attn_stream_k_fixup_uniformILi256ELi2ELi4EEvPfPK15HIP_vector_typeIfLj2EEiiiiiiS1_IjLj3EES5_S5_.num_named_barrier, 0
	.set _ZL33flash_attn_stream_k_fixup_uniformILi256ELi2ELi4EEvPfPK15HIP_vector_typeIfLj2EEiiiiiiS1_IjLj3EES5_S5_.private_seg_size, 0
	.set _ZL33flash_attn_stream_k_fixup_uniformILi256ELi2ELi4EEvPfPK15HIP_vector_typeIfLj2EEiiiiiiS1_IjLj3EES5_S5_.uses_vcc, 1
	.set _ZL33flash_attn_stream_k_fixup_uniformILi256ELi2ELi4EEvPfPK15HIP_vector_typeIfLj2EEiiiiiiS1_IjLj3EES5_S5_.uses_flat_scratch, 0
	.set _ZL33flash_attn_stream_k_fixup_uniformILi256ELi2ELi4EEvPfPK15HIP_vector_typeIfLj2EEiiiiiiS1_IjLj3EES5_S5_.has_dyn_sized_stack, 0
	.set _ZL33flash_attn_stream_k_fixup_uniformILi256ELi2ELi4EEvPfPK15HIP_vector_typeIfLj2EEiiiiiiS1_IjLj3EES5_S5_.has_recursion, 0
	.set _ZL33flash_attn_stream_k_fixup_uniformILi256ELi2ELi4EEvPfPK15HIP_vector_typeIfLj2EEiiiiiiS1_IjLj3EES5_S5_.has_indirect_call, 0
	.section	.AMDGPU.csdata,"",@progbits
; Kernel info:
; codeLenInByte = 836
; TotalNumSgprs: 30
; NumVgprs: 17
; NumAgprs: 0
; TotalNumVgprs: 17
; ScratchSize: 0
; MemoryBound: 0
; FloatMode: 240
; IeeeMode: 1
; LDSByteSize: 0 bytes/workgroup (compile time only)
; SGPRBlocks: 3
; VGPRBlocks: 2
; NumSGPRsForWavesPerEU: 30
; NumVGPRsForWavesPerEU: 17
; AccumOffset: 20
; Occupancy: 8
; WaveLimiterHint : 0
; COMPUTE_PGM_RSRC2:SCRATCH_EN: 0
; COMPUTE_PGM_RSRC2:USER_SGPR: 2
; COMPUTE_PGM_RSRC2:TRAP_HANDLER: 0
; COMPUTE_PGM_RSRC2:TGID_X_EN: 1
; COMPUTE_PGM_RSRC2:TGID_Y_EN: 1
; COMPUTE_PGM_RSRC2:TGID_Z_EN: 1
; COMPUTE_PGM_RSRC2:TIDIG_COMP_CNT: 0
; COMPUTE_PGM_RSRC3_GFX90A:ACCUM_OFFSET: 4
; COMPUTE_PGM_RSRC3_GFX90A:TG_SPLIT: 0
	.section	.text._ZL33flash_attn_stream_k_fixup_generalILi256ELi2ELi4EEvPfPK15HIP_vector_typeIfLj2EEiiiiS1_IjLj3EES5_S5_S5_,"axG",@progbits,_ZL33flash_attn_stream_k_fixup_generalILi256ELi2ELi4EEvPfPK15HIP_vector_typeIfLj2EEiiiiS1_IjLj3EES5_S5_S5_,comdat
	.globl	_ZL33flash_attn_stream_k_fixup_generalILi256ELi2ELi4EEvPfPK15HIP_vector_typeIfLj2EEiiiiS1_IjLj3EES5_S5_S5_ ; -- Begin function _ZL33flash_attn_stream_k_fixup_generalILi256ELi2ELi4EEvPfPK15HIP_vector_typeIfLj2EEiiiiS1_IjLj3EES5_S5_S5_
	.p2align	8
	.type	_ZL33flash_attn_stream_k_fixup_generalILi256ELi2ELi4EEvPfPK15HIP_vector_typeIfLj2EEiiiiS1_IjLj3EES5_S5_S5_,@function
_ZL33flash_attn_stream_k_fixup_generalILi256ELi2ELi4EEvPfPK15HIP_vector_typeIfLj2EEiiiiS1_IjLj3EES5_S5_S5_: ; @_ZL33flash_attn_stream_k_fixup_generalILi256ELi2ELi4EEvPfPK15HIP_vector_typeIfLj2EEiiiiS1_IjLj3EES5_S5_S5_
; %bb.0:
	s_load_dwordx4 s[8:11], s[0:1], 0x10
	s_load_dword s22, s[0:1], 0x50
	s_mov_b32 s12, 0
	s_waitcnt lgkmcnt(0)
	s_mul_hi_i32 s13, s11, s2
	s_cmp_lg_u64 s[12:13], 0
	s_mul_i32 s5, s11, s2
	s_cbranch_scc0 .LBB22_20
; %bb.1:
	s_add_u32 s6, s22, 0
	s_addc_u32 s7, 0, 0
	s_xor_b64 s[6:7], s[6:7], 0
	v_cvt_f32_u32_e32 v1, s6
	v_cvt_f32_u32_e32 v2, s7
	s_sub_u32 s12, 0, s6
	s_subb_u32 s18, 0, s7
	v_fmamk_f32 v1, v2, 0x4f800000, v1
	v_rcp_f32_e32 v1, v1
	s_nop 0
	v_mul_f32_e32 v1, 0x5f7ffffc, v1
	v_mul_f32_e32 v2, 0x2f800000, v1
	v_trunc_f32_e32 v2, v2
	v_fmamk_f32 v1, v2, 0xcf800000, v1
	v_cvt_u32_f32_e32 v2, v2
	v_cvt_u32_f32_e32 v1, v1
	v_readfirstlane_b32 s19, v2
	v_readfirstlane_b32 s14, v1
	s_mul_i32 s15, s12, s19
	s_mul_hi_u32 s21, s12, s14
	s_mul_i32 s20, s18, s14
	s_add_i32 s15, s21, s15
	s_add_i32 s15, s15, s20
	s_mul_i32 s23, s12, s14
	s_mul_i32 s21, s14, s15
	s_mul_hi_u32 s24, s14, s23
	s_mul_hi_u32 s20, s14, s15
	s_add_u32 s21, s24, s21
	s_addc_u32 s20, 0, s20
	s_mul_hi_u32 s25, s19, s23
	s_mul_i32 s23, s19, s23
	s_add_u32 s21, s21, s23
	s_mul_hi_u32 s24, s19, s15
	s_addc_u32 s20, s20, s25
	s_addc_u32 s21, s24, 0
	s_mul_i32 s15, s19, s15
	s_add_u32 s15, s20, s15
	s_addc_u32 s20, 0, s21
	s_add_u32 s21, s14, s15
	s_cselect_b64 s[14:15], -1, 0
	s_cmp_lg_u64 s[14:15], 0
	s_addc_u32 s19, s19, s20
	s_mul_i32 s14, s12, s19
	s_mul_hi_u32 s15, s12, s21
	s_add_i32 s14, s15, s14
	s_mul_i32 s18, s18, s21
	s_add_i32 s14, s14, s18
	s_mul_i32 s12, s12, s21
	s_mul_hi_u32 s18, s19, s12
	s_mul_i32 s20, s19, s12
	s_mul_i32 s24, s21, s14
	s_mul_hi_u32 s12, s21, s12
	s_mul_hi_u32 s23, s21, s14
	s_add_u32 s12, s12, s24
	s_addc_u32 s23, 0, s23
	s_add_u32 s12, s12, s20
	s_mul_hi_u32 s15, s19, s14
	s_addc_u32 s12, s23, s18
	s_addc_u32 s15, s15, 0
	s_mul_i32 s14, s19, s14
	s_add_u32 s12, s12, s14
	s_addc_u32 s18, 0, s15
	s_add_u32 s20, s21, s12
	s_cselect_b64 s[14:15], -1, 0
	s_cmp_lg_u64 s[14:15], 0
	s_addc_u32 s18, s19, s18
	s_ashr_i32 s14, s13, 31
	s_add_u32 s12, s5, s14
	s_mov_b32 s15, s14
	s_addc_u32 s13, s13, s14
	s_xor_b64 s[12:13], s[12:13], s[14:15]
	s_mul_i32 s21, s12, s18
	s_mul_hi_u32 s23, s12, s20
	s_mul_hi_u32 s19, s12, s18
	s_add_u32 s21, s23, s21
	s_addc_u32 s19, 0, s19
	s_mul_hi_u32 s24, s13, s20
	s_mul_i32 s20, s13, s20
	s_add_u32 s20, s21, s20
	s_mul_hi_u32 s23, s13, s18
	s_addc_u32 s19, s19, s24
	s_addc_u32 s20, s23, 0
	s_mul_i32 s18, s13, s18
	s_add_u32 s23, s19, s18
	s_addc_u32 s24, 0, s20
	s_mul_i32 s18, s6, s24
	s_mul_hi_u32 s19, s6, s23
	s_add_i32 s18, s19, s18
	s_mul_i32 s19, s7, s23
	s_add_i32 s25, s18, s19
	s_sub_i32 s20, s13, s25
	s_mul_i32 s18, s6, s23
	s_sub_u32 s12, s12, s18
	s_cselect_b64 s[18:19], -1, 0
	s_cmp_lg_u64 s[18:19], 0
	s_subb_u32 s26, s20, s7
	s_sub_u32 s27, s12, s6
	s_cselect_b64 s[20:21], -1, 0
	s_cmp_lg_u64 s[20:21], 0
	s_subb_u32 s20, s26, 0
	s_cmp_ge_u32 s20, s7
	s_cselect_b32 s21, -1, 0
	s_cmp_ge_u32 s27, s6
	s_cselect_b32 s26, -1, 0
	s_cmp_eq_u32 s20, s7
	s_cselect_b32 s20, s26, s21
	s_add_u32 s21, s23, 1
	s_addc_u32 s26, s24, 0
	s_add_u32 s27, s23, 2
	s_addc_u32 s28, s24, 0
	s_cmp_lg_u32 s20, 0
	s_cselect_b32 s20, s27, s21
	s_cselect_b32 s21, s28, s26
	s_cmp_lg_u64 s[18:19], 0
	s_subb_u32 s13, s13, s25
	s_cmp_ge_u32 s13, s7
	s_cselect_b32 s18, -1, 0
	s_cmp_ge_u32 s12, s6
	s_cselect_b32 s6, -1, 0
	s_cmp_eq_u32 s13, s7
	s_cselect_b32 s6, s6, s18
	s_cmp_lg_u32 s6, 0
	s_cselect_b32 s7, s21, s24
	s_cselect_b32 s6, s20, s23
	s_xor_b64 s[12:13], s[14:15], 0
	s_xor_b64 s[6:7], s[6:7], s[12:13]
	s_sub_u32 s6, s6, s12
	s_load_dwordx4 s[12:15], s[0:1], 0x44
	s_cbranch_execnz .LBB22_3
.LBB22_2:
	v_cvt_f32_u32_e32 v1, s22
	s_sub_i32 s6, 0, s22
	v_rcp_iflag_f32_e32 v1, v1
	s_nop 0
	v_mul_f32_e32 v1, 0x4f7ffffe, v1
	v_cvt_u32_f32_e32 v1, v1
	s_nop 0
	v_readfirstlane_b32 s7, v1
	s_mul_i32 s6, s6, s7
	s_mul_hi_u32 s6, s7, s6
	s_add_i32 s7, s7, s6
	s_mul_hi_u32 s6, s5, s7
	s_waitcnt lgkmcnt(0)
	s_mul_i32 s15, s6, s22
	s_sub_i32 s5, s5, s15
	s_add_i32 s7, s6, 1
	s_sub_i32 s15, s5, s22
	s_cmp_ge_u32 s5, s22
	s_cselect_b32 s6, s7, s6
	s_cselect_b32 s5, s15, s5
	s_add_i32 s7, s6, 1
	s_cmp_ge_u32 s5, s22
	s_cselect_b32 s6, s7, s6
.LBB22_3:
	s_add_i32 s5, s2, 1
	s_mul_hi_i32 s21, s11, s5
	s_mov_b32 s20, 0
	s_cmp_lg_u64 s[20:21], 0
	s_mul_i32 s5, s11, s5
	s_cbranch_scc0 .LBB22_21
; %bb.4:
	s_add_u32 s16, s22, 0
	s_addc_u32 s17, 0, 0
	s_xor_b64 s[18:19], s[16:17], 0
	v_cvt_f32_u32_e32 v1, s18
	v_cvt_f32_u32_e32 v2, s19
	s_sub_u32 s7, 0, s18
	s_waitcnt lgkmcnt(0)
	s_subb_u32 s15, 0, s19
	v_fmamk_f32 v1, v2, 0x4f800000, v1
	v_rcp_f32_e32 v1, v1
	s_nop 0
	v_mul_f32_e32 v1, 0x5f7ffffc, v1
	v_mul_f32_e32 v2, 0x2f800000, v1
	v_trunc_f32_e32 v2, v2
	v_fmamk_f32 v1, v2, 0xcf800000, v1
	v_cvt_u32_f32_e32 v2, v2
	v_cvt_u32_f32_e32 v1, v1
	v_readfirstlane_b32 s20, v2
	v_readfirstlane_b32 s23, v1
	s_mul_i32 s24, s7, s20
	s_mul_hi_u32 s26, s7, s23
	s_mul_i32 s25, s15, s23
	s_add_i32 s24, s26, s24
	s_add_i32 s24, s24, s25
	s_mul_i32 s27, s7, s23
	s_mul_i32 s26, s23, s24
	s_mul_hi_u32 s28, s23, s27
	s_mul_hi_u32 s25, s23, s24
	s_add_u32 s26, s28, s26
	s_addc_u32 s25, 0, s25
	s_mul_hi_u32 s29, s20, s27
	s_mul_i32 s27, s20, s27
	s_add_u32 s26, s26, s27
	s_mul_hi_u32 s28, s20, s24
	s_addc_u32 s25, s25, s29
	s_addc_u32 s26, s28, 0
	s_mul_i32 s24, s20, s24
	s_add_u32 s24, s25, s24
	s_addc_u32 s26, 0, s26
	s_add_u32 s23, s23, s24
	s_cselect_b64 s[24:25], -1, 0
	s_cmp_lg_u64 s[24:25], 0
	s_addc_u32 s20, s20, s26
	s_mul_i32 s24, s7, s20
	s_mul_hi_u32 s25, s7, s23
	s_add_i32 s24, s25, s24
	s_mul_i32 s15, s15, s23
	s_add_i32 s24, s24, s15
	s_mul_i32 s7, s7, s23
	s_mul_hi_u32 s25, s20, s7
	s_mul_i32 s26, s20, s7
	s_mul_i32 s28, s23, s24
	s_mul_hi_u32 s7, s23, s7
	s_mul_hi_u32 s27, s23, s24
	s_add_u32 s7, s7, s28
	s_addc_u32 s27, 0, s27
	s_add_u32 s7, s7, s26
	s_mul_hi_u32 s15, s20, s24
	s_addc_u32 s7, s27, s25
	s_addc_u32 s15, s15, 0
	s_mul_i32 s24, s20, s24
	s_add_u32 s7, s7, s24
	s_addc_u32 s15, 0, s15
	s_add_u32 s7, s23, s7
	s_cselect_b64 s[24:25], -1, 0
	s_cmp_lg_u64 s[24:25], 0
	s_addc_u32 s15, s20, s15
	s_ashr_i32 s24, s21, 31
	s_add_u32 s20, s5, s24
	s_mov_b32 s25, s24
	s_addc_u32 s21, s21, s24
	s_xor_b64 s[20:21], s[20:21], s[24:25]
	s_mul_i32 s26, s20, s15
	s_mul_hi_u32 s27, s20, s7
	s_mul_hi_u32 s23, s20, s15
	s_add_u32 s26, s27, s26
	s_addc_u32 s23, 0, s23
	s_mul_hi_u32 s28, s21, s7
	s_mul_i32 s7, s21, s7
	s_add_u32 s7, s26, s7
	s_mul_hi_u32 s27, s21, s15
	s_addc_u32 s7, s23, s28
	s_addc_u32 s23, s27, 0
	s_mul_i32 s15, s21, s15
	s_add_u32 s7, s7, s15
	s_addc_u32 s15, 0, s23
	s_mul_i32 s23, s18, s15
	s_mul_hi_u32 s26, s18, s7
	s_add_i32 s23, s26, s23
	s_mul_i32 s26, s19, s7
	s_add_i32 s23, s23, s26
	s_sub_i32 s28, s21, s23
	s_mul_i32 s26, s18, s7
	s_sub_u32 s20, s20, s26
	s_cselect_b64 s[26:27], -1, 0
	s_cmp_lg_u64 s[26:27], 0
	s_subb_u32 s30, s28, s19
	s_sub_u32 s31, s20, s18
	s_cselect_b64 s[28:29], -1, 0
	s_cmp_lg_u64 s[28:29], 0
	s_subb_u32 s28, s30, 0
	s_cmp_ge_u32 s28, s19
	s_cselect_b32 s29, -1, 0
	s_cmp_ge_u32 s31, s18
	s_cselect_b32 s30, -1, 0
	s_cmp_eq_u32 s28, s19
	s_cselect_b32 s28, s30, s29
	s_add_u32 s29, s7, 1
	s_addc_u32 s30, s15, 0
	s_add_u32 s31, s7, 2
	s_addc_u32 s33, s15, 0
	s_cmp_lg_u32 s28, 0
	s_cselect_b32 s28, s31, s29
	s_cselect_b32 s29, s33, s30
	s_cmp_lg_u64 s[26:27], 0
	s_subb_u32 s21, s21, s23
	s_cmp_ge_u32 s21, s19
	s_cselect_b32 s23, -1, 0
	s_cmp_ge_u32 s20, s18
	s_cselect_b32 s18, -1, 0
	s_cmp_eq_u32 s21, s19
	s_cselect_b32 s18, s18, s23
	s_cmp_lg_u32 s18, 0
	s_cselect_b32 s19, s29, s15
	s_cselect_b32 s18, s28, s7
	s_xor_b64 s[20:21], s[24:25], 0
	s_xor_b64 s[18:19], s[18:19], s[20:21]
	s_sub_u32 s18, s18, s20
	s_cbranch_execnz .LBB22_6
.LBB22_5:
	v_cvt_f32_u32_e32 v1, s22
	s_sub_i32 s7, 0, s22
	v_rcp_iflag_f32_e32 v1, v1
	s_nop 0
	v_mul_f32_e32 v1, 0x4f7ffffe, v1
	v_cvt_u32_f32_e32 v1, v1
	s_waitcnt lgkmcnt(0)
	v_readfirstlane_b32 s15, v1
	s_mul_i32 s7, s7, s15
	s_mul_hi_u32 s7, s15, s7
	s_add_i32 s15, s15, s7
	s_mul_hi_u32 s7, s5, s15
	s_mul_i32 s16, s7, s22
	s_sub_i32 s5, s5, s16
	s_add_i32 s15, s7, 1
	s_sub_i32 s16, s5, s22
	s_cmp_ge_u32 s5, s22
	s_cselect_b32 s7, s15, s7
	s_cselect_b32 s5, s16, s5
	s_add_i32 s15, s7, 1
	s_cmp_ge_u32 s5, s22
	s_cselect_b32 s18, s15, s7
.LBB22_6:
	s_cmp_eq_u32 s6, s18
	s_waitcnt lgkmcnt(0)
	s_mul_hi_u32 s5, s6, s12
	s_cselect_b64 s[16:17], -1, 0
	s_add_i32 s5, s5, s6
	s_lshr_b32 s7, s5, s13
	s_mul_i32 s5, s7, s14
	s_cmp_eq_u32 s5, s6
	s_mul_hi_u32 s5, s18, s12
	s_cselect_b64 s[20:21], -1, 0
	s_add_i32 s5, s5, s18
	s_lshr_b32 s5, s5, s13
	s_cmp_eq_u32 s7, s5
	s_mul_i32 s5, s5, s14
	s_cselect_b64 s[24:25], -1, 0
	s_cmp_lg_u32 s5, s18
	s_cselect_b64 s[18:19], -1, 0
	s_and_b64 s[18:19], s[24:25], s[18:19]
	s_or_b64 s[16:17], s[16:17], s[20:21]
	s_or_b64 s[16:17], s[16:17], s[18:19]
	s_and_b64 vcc, exec, s[16:17]
	s_cbranch_vccnz .LBB22_23
; %bb.7:
	s_load_dwordx8 s[24:31], s[0:1], 0x20
	s_load_dword s15, s[0:1], 0x40
	s_waitcnt lgkmcnt(0)
	s_mul_hi_u32 s5, s6, s24
	s_add_i32 s5, s5, s6
	s_lshr_b32 s5, s5, s25
	s_mul_i32 s16, s5, s26
	s_sub_i32 s16, s6, s16
	s_mul_hi_u32 s17, s16, s27
	s_add_i32 s17, s16, s17
	s_lshr_b32 s20, s17, s28
	s_mul_i32 s17, s20, s29
	s_sub_i32 s16, s16, s17
	;; [unrolled: 5-line block ×3, first 2 shown]
	s_mul_hi_u32 s16, s15, s12
	s_add_i32 s15, s15, s16
	s_lshr_b32 s23, s15, s13
	s_lshl_b32 s15, s23, 1
	s_lshl_b32 s21, s17, 2
	s_add_i32 s15, s15, s3
	s_cmp_lt_i32 s15, s8
	s_cselect_b64 s[16:17], -1, 0
	s_add_i32 s15, s21, s4
	s_cmp_lt_i32 s15, s10
	s_cselect_b64 s[18:19], -1, 0
	s_and_b64 s[16:17], s[16:17], s[18:19]
	s_andn2_b64 vcc, exec, s[16:17]
	s_cbranch_vccnz .LBB22_23
; %bb.8:
	s_load_dwordx4 s[16:19], s[0:1], 0x0
	s_mov_b32 s0, 0
	s_lshl_b32 s15, s3, 2
	s_lshl_b32 s24, s22, 5
	s_mov_b32 s25, s0
	s_add_i32 s15, s15, s4
	s_waitcnt lgkmcnt(0)
	v_mov_b32_e32 v2, s16
	v_mov_b32_e32 v3, s17
	s_lshl_b64 s[16:17], s[24:25], 2
	s_add_u32 s16, s18, s16
	s_mul_i32 s1, s5, s8
	s_addc_u32 s17, s19, s17
	s_add_i32 s1, s1, s3
	s_mul_i32 s1, s1, s9
	s_mul_i32 s20, s20, s10
	s_add_i32 s1, s1, s4
	s_add_i32 s1, s1, s20
	s_mul_i32 s5, s9, s23
	s_add_i32 s1, s1, s21
	s_lshl_b32 s5, s5, 9
	s_lshl_b32 s1, s1, 8
	s_add_i32 s5, s5, s1
	v_or_b32_e32 v4, s5, v0
	v_ashrrev_i32_e32 v5, 31, v4
	v_lshl_add_u64 v[2:3], v[4:5], 2, v[2:3]
	global_load_dword v1, v[2:3], off
	v_cvt_f32_u32_e32 v4, s22
	s_lshl_b32 s1, s2, 3
	s_add_i32 s4, s15, s1
	s_ashr_i32 s5, s4, 31
	s_lshl_b64 s[4:5], s[4:5], 3
	v_rcp_iflag_f32_e32 v4, v4
	s_add_u32 s4, s18, s4
	s_addc_u32 s5, s19, s5
	s_load_dwordx2 s[4:5], s[4:5], 0x0
	v_mul_f32_e32 v4, 0x4f7ffffe, v4
	v_cvt_u32_f32_e32 v7, v4
	s_add_i32 s24, s2, -1
	v_lshl_or_b32 v6, s15, 8, v0
	s_waitcnt lgkmcnt(0)
	v_mov_b32_e32 v0, s5
	v_mov_b32_e32 v9, s4
	s_mov_b32 s10, 0x3fb8aa3b
	s_mov_b32 s20, 0xc2ce8ed0
	;; [unrolled: 1-line block ×4, first 2 shown]
	v_mov_b32_e32 v8, 0x7f800000
	s_mul_hi_i32 s1, s24, s11
	s_cmp_lg_u64 s[0:1], 0
	s_mul_i32 s8, s24, s11
	s_cbranch_scc0 .LBB22_19
.LBB22_9:
	s_add_u32 s2, s22, 0
	s_addc_u32 s3, 0, 0
	s_xor_b64 s[2:3], s[2:3], 0
	v_cvt_f32_u32_e32 v4, s2
	v_cvt_f32_u32_e32 v5, s3
	s_sub_u32 s9, 0, s2
	s_subb_u32 s25, 0, s3
	v_fmac_f32_e32 v4, 0x4f800000, v5
	v_rcp_f32_e32 v4, v4
	s_nop 0
	v_mul_f32_e32 v4, 0x5f7ffffc, v4
	v_mul_f32_e32 v5, 0x2f800000, v4
	v_trunc_f32_e32 v5, v5
	v_fmac_f32_e32 v4, 0xcf800000, v5
	v_cvt_u32_f32_e32 v5, v5
	v_cvt_u32_f32_e32 v4, v4
	v_readfirstlane_b32 s26, v5
	v_readfirstlane_b32 s4, v4
	s_mul_i32 s5, s9, s26
	s_mul_hi_u32 s28, s9, s4
	s_mul_i32 s27, s25, s4
	s_add_i32 s5, s28, s5
	s_mul_i32 s29, s9, s4
	s_add_i32 s5, s5, s27
	s_mul_i32 s28, s4, s5
	s_mul_hi_u32 s30, s4, s29
	s_mul_hi_u32 s27, s4, s5
	s_add_u32 s28, s30, s28
	s_addc_u32 s27, 0, s27
	s_mul_hi_u32 s31, s26, s29
	s_mul_i32 s29, s26, s29
	s_add_u32 s28, s28, s29
	s_mul_hi_u32 s30, s26, s5
	s_addc_u32 s27, s27, s31
	s_addc_u32 s28, s30, 0
	s_mul_i32 s5, s26, s5
	s_add_u32 s5, s27, s5
	s_addc_u32 s27, 0, s28
	s_add_u32 s28, s4, s5
	s_cselect_b64 s[4:5], -1, 0
	s_cmp_lg_u64 s[4:5], 0
	s_addc_u32 s26, s26, s27
	s_mul_i32 s4, s9, s26
	s_mul_hi_u32 s5, s9, s28
	s_add_i32 s4, s5, s4
	s_mul_i32 s25, s25, s28
	s_add_i32 s4, s4, s25
	s_mul_i32 s9, s9, s28
	s_mul_hi_u32 s25, s26, s9
	s_mul_i32 s27, s26, s9
	s_mul_i32 s30, s28, s4
	s_mul_hi_u32 s9, s28, s9
	s_mul_hi_u32 s29, s28, s4
	s_add_u32 s9, s9, s30
	s_addc_u32 s29, 0, s29
	s_add_u32 s9, s9, s27
	s_mul_hi_u32 s5, s26, s4
	s_addc_u32 s9, s29, s25
	s_addc_u32 s5, s5, 0
	s_mul_i32 s4, s26, s4
	s_add_u32 s4, s9, s4
	s_addc_u32 s9, 0, s5
	s_add_u32 s25, s28, s4
	s_cselect_b64 s[4:5], -1, 0
	s_cmp_lg_u64 s[4:5], 0
	s_addc_u32 s9, s26, s9
	s_ashr_i32 s4, s1, 31
	s_add_u32 s26, s8, s4
	s_mov_b32 s5, s4
	s_addc_u32 s27, s1, s4
	s_xor_b64 s[26:27], s[26:27], s[4:5]
	s_mul_i32 s28, s26, s9
	s_mul_hi_u32 s29, s26, s25
	s_mul_hi_u32 s1, s26, s9
	s_add_u32 s28, s29, s28
	s_addc_u32 s1, 0, s1
	s_mul_hi_u32 s30, s27, s25
	s_mul_i32 s25, s27, s25
	s_add_u32 s25, s28, s25
	s_mul_hi_u32 s29, s27, s9
	s_addc_u32 s1, s1, s30
	s_addc_u32 s25, s29, 0
	s_mul_i32 s9, s27, s9
	s_add_u32 s1, s1, s9
	s_addc_u32 s9, 0, s25
	s_mul_i32 s25, s2, s9
	s_mul_hi_u32 s28, s2, s1
	s_add_i32 s25, s28, s25
	s_mul_i32 s28, s3, s1
	s_add_i32 s25, s25, s28
	s_sub_i32 s30, s27, s25
	s_mul_i32 s28, s2, s1
	s_sub_u32 s26, s26, s28
	s_cselect_b64 s[28:29], -1, 0
	s_cmp_lg_u64 s[28:29], 0
	s_subb_u32 s33, s30, s3
	s_sub_u32 s34, s26, s2
	s_cselect_b64 s[30:31], -1, 0
	s_cmp_lg_u64 s[30:31], 0
	s_subb_u32 s30, s33, 0
	s_cmp_ge_u32 s30, s3
	s_cselect_b32 s31, -1, 0
	s_cmp_ge_u32 s34, s2
	s_cselect_b32 s33, -1, 0
	s_cmp_eq_u32 s30, s3
	s_cselect_b32 s30, s33, s31
	s_add_u32 s31, s1, 1
	s_addc_u32 s33, s9, 0
	s_add_u32 s34, s1, 2
	s_addc_u32 s35, s9, 0
	s_cmp_lg_u32 s30, 0
	s_cselect_b32 s30, s34, s31
	s_cselect_b32 s31, s35, s33
	s_cmp_lg_u64 s[28:29], 0
	s_subb_u32 s25, s27, s25
	s_cmp_ge_u32 s25, s3
	s_cselect_b32 s27, -1, 0
	s_cmp_ge_u32 s26, s2
	s_cselect_b32 s2, -1, 0
	s_cmp_eq_u32 s25, s3
	s_cselect_b32 s2, s2, s27
	s_cmp_lg_u32 s2, 0
	s_cselect_b32 s3, s31, s9
	s_cselect_b32 s2, s30, s1
	s_xor_b64 s[4:5], s[4:5], 0
	s_xor_b64 s[2:3], s[2:3], s[4:5]
	s_sub_u32 s4, s2, s4
	s_cbranch_execnz .LBB22_11
.LBB22_10:
	s_sub_i32 s1, 0, s22
	v_readfirstlane_b32 s2, v7
	s_mul_i32 s1, s1, s2
	s_mul_hi_u32 s1, s2, s1
	s_add_i32 s2, s2, s1
	s_mul_hi_u32 s1, s8, s2
	s_mul_i32 s3, s1, s22
	s_sub_i32 s3, s8, s3
	s_add_i32 s2, s1, 1
	s_sub_i32 s4, s3, s22
	s_cmp_ge_u32 s3, s22
	s_cselect_b32 s1, s2, s1
	s_cselect_b32 s3, s4, s3
	s_add_i32 s2, s1, 1
	s_cmp_ge_u32 s3, s22
	s_cselect_b32 s4, s2, s1
.LBB22_11:
	s_cmp_lg_u32 s6, s4
	s_cbranch_scc0 .LBB22_15
; %bb.12:
	s_add_i32 s1, s24, s22
	s_lshl_b32 s1, s1, 3
	s_add_i32 s2, s1, s15
	s_mov_b32 s3, s0
	s_lshl_b64 s[2:3], s[2:3], 3
	s_add_u32 s8, s18, s2
	s_mul_hi_u32 s1, s4, s12
	s_addc_u32 s9, s19, s3
	s_add_i32 s1, s1, s4
	s_lshr_b32 s1, s1, s13
	s_mul_i32 s2, s1, s14
	s_cmp_eq_u32 s2, s4
	s_cselect_b64 s[2:3], -1, 0
	s_cmp_lt_u32 s1, s7
	s_cselect_b64 s[26:27], -1, 0
	s_or_b64 s[26:27], s[26:27], s[2:3]
	s_mov_b64 s[2:3], -1
	s_and_b64 vcc, exec, s[26:27]
	s_mov_b32 s1, s24
	s_mov_b32 s25, s6
	s_cbranch_vccnz .LBB22_14
; %bb.13:
	s_add_i32 s1, s24, -1
	s_mov_b64 s[2:3], 0
	s_mov_b32 s25, s4
.LBB22_14:
	v_lshl_add_u32 v4, s24, 11, v6
	v_ashrrev_i32_e32 v5, 31, v4
	v_lshl_add_u64 v[4:5], v[4:5], 2, s[16:17]
	global_load_dword v5, v[4:5], off
	s_load_dwordx2 s[4:5], s[8:9], 0x0
	v_max_f32_e32 v4, v9, v9
	s_waitcnt lgkmcnt(0)
	v_max_f32_e64 v10, s4, s4
	v_max_f32_e32 v10, v4, v10
	v_sub_f32_e32 v11, v9, v10
	v_sub_f32_e32 v13, s4, v10
	v_mul_f32_e32 v4, 0x3fb8aa3b, v11
	v_mul_f32_e32 v12, 0x3fb8aa3b, v13
	v_fma_f32 v14, v11, s10, -v4
	v_rndne_f32_e32 v15, v4
	v_fma_f32 v16, v13, s10, -v12
	v_rndne_f32_e32 v17, v12
	v_fmac_f32_e32 v14, 0x32a5705f, v11
	v_sub_f32_e32 v4, v4, v15
	v_fmac_f32_e32 v16, 0x32a5705f, v13
	v_sub_f32_e32 v12, v12, v17
	v_add_f32_e32 v4, v4, v14
	v_cvt_i32_f32_e32 v15, v15
	v_add_f32_e32 v12, v12, v16
	v_exp_f32_e32 v14, v4
	v_cvt_i32_f32_e32 v17, v17
	v_exp_f32_e32 v12, v12
	v_cmp_ngt_f32_e32 vcc, s20, v11
	v_ldexp_f32 v14, v14, v15
	v_mov_b32_e32 v4, s5
	v_ldexp_f32 v12, v12, v17
	v_cndmask_b32_e32 v14, 0, v14, vcc
	v_cmp_ngt_f32_e32 vcc, s20, v13
	s_nop 1
	v_cndmask_b32_e32 v12, 0, v12, vcc
	v_cmp_nlt_f32_e32 vcc, s21, v11
	s_nop 1
	v_cndmask_b32_e32 v14, v8, v14, vcc
	v_cmp_nlt_f32_e32 vcc, s21, v13
	s_nop 1
	v_cndmask_b32_e32 v15, v8, v12, vcc
	v_cmp_le_f32_e32 vcc, s23, v11
	s_nop 1
	v_cndmask_b32_e32 v12, 0, v14, vcc
	v_cmp_le_f32_e32 vcc, s23, v13
	s_nop 1
	v_cndmask_b32_e32 v14, 0, v15, vcc
	s_waitcnt vmcnt(0)
	v_pk_mul_f32 v[4:5], v[4:5], v[14:15] op_sel_hi:[1,0]
	s_nop 0
	v_pk_fma_f32 v[4:5], v[0:1], v[12:13], v[4:5] op_sel_hi:[1,0,1]
	s_cbranch_execz .LBB22_16
	s_branch .LBB22_17
.LBB22_15:
                                        ; implicit-def: $vgpr4_vgpr5
                                        ; implicit-def: $sgpr2_sgpr3
                                        ; implicit-def: $vgpr10
                                        ; implicit-def: $sgpr1
                                        ; implicit-def: $sgpr25
.LBB22_16:
	s_add_i32 s1, s24, -1
	s_mov_b64 s[2:3], 0
	s_mov_b32 s25, s6
	v_mov_b32_e32 v10, v9
	s_waitcnt vmcnt(0)
	v_mov_b64_e32 v[4:5], v[0:1]
.LBB22_17:
	s_andn2_b64 vcc, exec, s[2:3]
	s_cbranch_vccz .LBB22_22
; %bb.18:
	s_mov_b32 s6, s25
	s_mov_b32 s24, s1
	v_mov_b32_e32 v9, v10
	s_waitcnt vmcnt(0)
	v_mov_b64_e32 v[0:1], v[4:5]
	s_mul_hi_i32 s1, s24, s11
	s_cmp_lg_u64 s[0:1], 0
	s_mul_i32 s8, s24, s11
	s_cbranch_scc1 .LBB22_9
.LBB22_19:
                                        ; implicit-def: $sgpr4_sgpr5
	s_branch .LBB22_10
.LBB22_20:
                                        ; implicit-def: $sgpr6_sgpr7
	s_load_dwordx4 s[12:15], s[0:1], 0x44
	s_branch .LBB22_2
.LBB22_21:
                                        ; implicit-def: $sgpr18_sgpr19
	s_branch .LBB22_5
.LBB22_22:
	v_div_scale_f32 v0, s[0:1], v4, v4, v5
	s_waitcnt vmcnt(0)
	v_rcp_f32_e32 v1, v0
	v_div_scale_f32 v6, vcc, v5, v4, v5
	v_fma_f32 v7, -v0, v1, 1.0
	v_fmac_f32_e32 v1, v7, v1
	v_mul_f32_e32 v7, v6, v1
	v_fma_f32 v8, -v0, v7, v6
	v_fmac_f32_e32 v7, v8, v1
	v_fma_f32 v0, -v0, v7, v6
	v_div_fmas_f32 v0, v0, v1, v7
	v_div_fixup_f32 v0, v0, v4, v5
	global_store_dword v[2:3], v0, off
.LBB22_23:
	s_endpgm
	.section	.rodata,"a",@progbits
	.p2align	6, 0x0
	.amdhsa_kernel _ZL33flash_attn_stream_k_fixup_generalILi256ELi2ELi4EEvPfPK15HIP_vector_typeIfLj2EEiiiiS1_IjLj3EES5_S5_S5_
		.amdhsa_group_segment_fixed_size 0
		.amdhsa_private_segment_fixed_size 0
		.amdhsa_kernarg_size 336
		.amdhsa_user_sgpr_count 2
		.amdhsa_user_sgpr_dispatch_ptr 0
		.amdhsa_user_sgpr_queue_ptr 0
		.amdhsa_user_sgpr_kernarg_segment_ptr 1
		.amdhsa_user_sgpr_dispatch_id 0
		.amdhsa_user_sgpr_kernarg_preload_length 0
		.amdhsa_user_sgpr_kernarg_preload_offset 0
		.amdhsa_user_sgpr_private_segment_size 0
		.amdhsa_uses_dynamic_stack 0
		.amdhsa_enable_private_segment 0
		.amdhsa_system_sgpr_workgroup_id_x 1
		.amdhsa_system_sgpr_workgroup_id_y 1
		.amdhsa_system_sgpr_workgroup_id_z 1
		.amdhsa_system_sgpr_workgroup_info 0
		.amdhsa_system_vgpr_workitem_id 0
		.amdhsa_next_free_vgpr 18
		.amdhsa_next_free_sgpr 36
		.amdhsa_accum_offset 20
		.amdhsa_reserve_vcc 1
		.amdhsa_float_round_mode_32 0
		.amdhsa_float_round_mode_16_64 0
		.amdhsa_float_denorm_mode_32 3
		.amdhsa_float_denorm_mode_16_64 3
		.amdhsa_dx10_clamp 1
		.amdhsa_ieee_mode 1
		.amdhsa_fp16_overflow 0
		.amdhsa_tg_split 0
		.amdhsa_exception_fp_ieee_invalid_op 0
		.amdhsa_exception_fp_denorm_src 0
		.amdhsa_exception_fp_ieee_div_zero 0
		.amdhsa_exception_fp_ieee_overflow 0
		.amdhsa_exception_fp_ieee_underflow 0
		.amdhsa_exception_fp_ieee_inexact 0
		.amdhsa_exception_int_div_zero 0
	.end_amdhsa_kernel
	.section	.text._ZL33flash_attn_stream_k_fixup_generalILi256ELi2ELi4EEvPfPK15HIP_vector_typeIfLj2EEiiiiS1_IjLj3EES5_S5_S5_,"axG",@progbits,_ZL33flash_attn_stream_k_fixup_generalILi256ELi2ELi4EEvPfPK15HIP_vector_typeIfLj2EEiiiiS1_IjLj3EES5_S5_S5_,comdat
.Lfunc_end22:
	.size	_ZL33flash_attn_stream_k_fixup_generalILi256ELi2ELi4EEvPfPK15HIP_vector_typeIfLj2EEiiiiS1_IjLj3EES5_S5_S5_, .Lfunc_end22-_ZL33flash_attn_stream_k_fixup_generalILi256ELi2ELi4EEvPfPK15HIP_vector_typeIfLj2EEiiiiS1_IjLj3EES5_S5_S5_
                                        ; -- End function
	.set _ZL33flash_attn_stream_k_fixup_generalILi256ELi2ELi4EEvPfPK15HIP_vector_typeIfLj2EEiiiiS1_IjLj3EES5_S5_S5_.num_vgpr, 18
	.set _ZL33flash_attn_stream_k_fixup_generalILi256ELi2ELi4EEvPfPK15HIP_vector_typeIfLj2EEiiiiS1_IjLj3EES5_S5_S5_.num_agpr, 0
	.set _ZL33flash_attn_stream_k_fixup_generalILi256ELi2ELi4EEvPfPK15HIP_vector_typeIfLj2EEiiiiS1_IjLj3EES5_S5_S5_.numbered_sgpr, 36
	.set _ZL33flash_attn_stream_k_fixup_generalILi256ELi2ELi4EEvPfPK15HIP_vector_typeIfLj2EEiiiiS1_IjLj3EES5_S5_S5_.num_named_barrier, 0
	.set _ZL33flash_attn_stream_k_fixup_generalILi256ELi2ELi4EEvPfPK15HIP_vector_typeIfLj2EEiiiiS1_IjLj3EES5_S5_S5_.private_seg_size, 0
	.set _ZL33flash_attn_stream_k_fixup_generalILi256ELi2ELi4EEvPfPK15HIP_vector_typeIfLj2EEiiiiS1_IjLj3EES5_S5_S5_.uses_vcc, 1
	.set _ZL33flash_attn_stream_k_fixup_generalILi256ELi2ELi4EEvPfPK15HIP_vector_typeIfLj2EEiiiiS1_IjLj3EES5_S5_S5_.uses_flat_scratch, 0
	.set _ZL33flash_attn_stream_k_fixup_generalILi256ELi2ELi4EEvPfPK15HIP_vector_typeIfLj2EEiiiiS1_IjLj3EES5_S5_S5_.has_dyn_sized_stack, 0
	.set _ZL33flash_attn_stream_k_fixup_generalILi256ELi2ELi4EEvPfPK15HIP_vector_typeIfLj2EEiiiiS1_IjLj3EES5_S5_S5_.has_recursion, 0
	.set _ZL33flash_attn_stream_k_fixup_generalILi256ELi2ELi4EEvPfPK15HIP_vector_typeIfLj2EEiiiiS1_IjLj3EES5_S5_S5_.has_indirect_call, 0
	.section	.AMDGPU.csdata,"",@progbits
; Kernel info:
; codeLenInByte = 2940
; TotalNumSgprs: 42
; NumVgprs: 18
; NumAgprs: 0
; TotalNumVgprs: 18
; ScratchSize: 0
; MemoryBound: 0
; FloatMode: 240
; IeeeMode: 1
; LDSByteSize: 0 bytes/workgroup (compile time only)
; SGPRBlocks: 5
; VGPRBlocks: 2
; NumSGPRsForWavesPerEU: 42
; NumVGPRsForWavesPerEU: 18
; AccumOffset: 20
; Occupancy: 8
; WaveLimiterHint : 0
; COMPUTE_PGM_RSRC2:SCRATCH_EN: 0
; COMPUTE_PGM_RSRC2:USER_SGPR: 2
; COMPUTE_PGM_RSRC2:TRAP_HANDLER: 0
; COMPUTE_PGM_RSRC2:TGID_X_EN: 1
; COMPUTE_PGM_RSRC2:TGID_Y_EN: 1
; COMPUTE_PGM_RSRC2:TGID_Z_EN: 1
; COMPUTE_PGM_RSRC2:TIDIG_COMP_CNT: 0
; COMPUTE_PGM_RSRC3_GFX90A:ACCUM_OFFSET: 4
; COMPUTE_PGM_RSRC3_GFX90A:TG_SPLIT: 0
	.section	.text._ZL15flash_attn_tileILi256ELi256ELi1ELi4ELb0EEvPKcS1_S1_S1_S1_PKiPfP15HIP_vector_typeIfLj2EEffffjfiS5_IjLj3EEiiiiiiiiiiiliiliiiiil,"axG",@progbits,_ZL15flash_attn_tileILi256ELi256ELi1ELi4ELb0EEvPKcS1_S1_S1_S1_PKiPfP15HIP_vector_typeIfLj2EEffffjfiS5_IjLj3EEiiiiiiiiiiiliiliiiiil,comdat
	.globl	_ZL15flash_attn_tileILi256ELi256ELi1ELi4ELb0EEvPKcS1_S1_S1_S1_PKiPfP15HIP_vector_typeIfLj2EEffffjfiS5_IjLj3EEiiiiiiiiiiiliiliiiiil ; -- Begin function _ZL15flash_attn_tileILi256ELi256ELi1ELi4ELb0EEvPKcS1_S1_S1_S1_PKiPfP15HIP_vector_typeIfLj2EEffffjfiS5_IjLj3EEiiiiiiiiiiiliiliiiiil
	.p2align	8
	.type	_ZL15flash_attn_tileILi256ELi256ELi1ELi4ELb0EEvPKcS1_S1_S1_S1_PKiPfP15HIP_vector_typeIfLj2EEffffjfiS5_IjLj3EEiiiiiiiiiiiliiliiiiil,@function
_ZL15flash_attn_tileILi256ELi256ELi1ELi4ELb0EEvPKcS1_S1_S1_S1_PKiPfP15HIP_vector_typeIfLj2EEffffjfiS5_IjLj3EEiiiiiiiiiiiliiliiiiil: ; @_ZL15flash_attn_tileILi256ELi256ELi1ELi4ELb0EEvPKcS1_S1_S1_S1_PKiPfP15HIP_vector_typeIfLj2EEffffjfiS5_IjLj3EEiiiiiiiiiiiliiliiiiil
; %bb.0:
	s_load_dwordx4 s[20:23], s[0:1], 0x5c
	s_load_dwordx2 s[28:29], s[0:1], 0x80
	s_load_dwordx2 s[34:35], s[0:1], 0xb8
	s_mov_b64 s[30:31], 0
	s_waitcnt lgkmcnt(0)
	s_ashr_i32 s5, s23, 31
	s_lshr_b32 s5, s5, 30
	s_add_i32 s5, s23, s5
	s_ashr_i32 s5, s5, 2
	v_cvt_f32_u32_e32 v1, s5
	s_sub_i32 s6, 0, s5
	v_rcp_iflag_f32_e32 v1, v1
	s_nop 0
	v_mul_f32_e32 v1, 0x4f7ffffe, v1
	v_cvt_u32_f32_e32 v1, v1
	s_nop 0
	v_readfirstlane_b32 s7, v1
	s_mul_i32 s6, s6, s7
	s_mul_hi_u32 s6, s7, s6
	s_add_i32 s7, s7, s6
	s_mul_hi_u32 s6, s4, s7
	s_mul_i32 s7, s6, s5
	s_sub_i32 s7, s4, s7
	s_add_i32 s8, s6, 1
	s_sub_i32 s9, s7, s5
	s_cmp_ge_u32 s7, s5
	s_cselect_b32 s6, s8, s6
	s_cselect_b32 s7, s9, s7
	s_add_i32 s8, s6, 1
	s_cmp_ge_u32 s7, s5
	s_cselect_b32 s33, s8, s6
	s_abs_i32 s5, s29
	v_cvt_f32_u32_e32 v1, s5
	s_lshl_b32 s4, s4, 2
	s_mul_i32 s8, s33, s23
	s_xor_b32 s6, s23, s29
	v_rcp_iflag_f32_e32 v1, v1
	s_sub_i32 s9, 0, s5
	s_sub_i32 s29, s4, s8
	s_abs_i32 s7, s23
	v_mul_f32_e32 v1, 0x4f7ffffe, v1
	v_cvt_u32_f32_e32 v1, v1
	s_ashr_i32 s6, s6, 31
	v_readfirstlane_b32 s4, v1
	s_mul_i32 s9, s9, s4
	s_mul_hi_u32 s8, s4, s9
	s_add_i32 s4, s4, s8
	s_mul_hi_u32 s4, s7, s4
	s_mul_i32 s8, s4, s5
	s_sub_i32 s7, s7, s8
	s_add_i32 s9, s4, 1
	s_sub_i32 s8, s7, s5
	s_cmp_ge_u32 s7, s5
	s_cselect_b32 s4, s9, s4
	s_cselect_b32 s7, s8, s7
	s_add_i32 s8, s4, 1
	s_cmp_ge_u32 s7, s5
	s_cselect_b32 s4, s8, s4
	s_xor_b32 s4, s4, s6
	s_sub_i32 s37, s4, s6
	s_abs_i32 s36, s37
	v_cvt_f32_u32_e32 v1, s36
	s_load_dwordx16 s[4:19], s[0:1], 0x0
	v_rcp_iflag_f32_e32 v1, v1
	s_waitcnt lgkmcnt(0)
	s_cmp_eq_u64 s[10:11], 0
	v_mul_f32_e32 v1, 0x4f7ffffe, v1
	v_cvt_u32_f32_e32 v1, v1
	s_nop 0
	v_readfirstlane_b32 s38, v1
	s_cbranch_scc1 .LBB23_2
; %bb.1:
	s_abs_i32 s26, s34
	v_cvt_f32_u32_e32 v1, s26
	s_sub_i32 s31, 0, s26
	s_abs_i32 s30, s33
	s_ashr_i32 s27, s33, 31
	v_rcp_iflag_f32_e32 v1, v1
	s_load_dwordx2 s[24:25], s[0:1], 0xc8
	v_mul_f32_e32 v1, 0x4f7ffffe, v1
	v_cvt_u32_f32_e32 v1, v1
	s_nop 0
	v_readfirstlane_b32 s34, v1
	s_mul_i32 s31, s31, s34
	s_mul_hi_u32 s31, s34, s31
	s_add_i32 s34, s34, s31
	s_mul_hi_u32 s31, s30, s34
	s_mul_i32 s31, s31, s26
	s_sub_i32 s30, s30, s31
	s_sub_i32 s31, s30, s26
	s_cmp_ge_u32 s30, s26
	s_cselect_b32 s30, s31, s30
	s_sub_i32 s31, s30, s26
	s_cmp_ge_u32 s30, s26
	s_cselect_b32 s26, s31, s30
	s_xor_b32 s26, s26, s27
	s_sub_i32 s26, s26, s27
	s_ashr_i32 s27, s26, 31
	s_waitcnt lgkmcnt(0)
	s_mul_hi_u32 s30, s24, s26
	s_mul_i32 s27, s24, s27
	s_mul_i32 s25, s25, s26
	s_add_i32 s27, s30, s27
	s_add_i32 s27, s27, s25
	s_mul_i32 s24, s24, s26
	s_add_u32 s30, s10, s24
	s_addc_u32 s31, s11, s27
.LBB23_2:
	s_load_dwordx4 s[24:27], s[0:1], 0x70
	v_lshrrev_b32_e32 v10, 10, v0
	v_bfe_u32 v1, v10, 3, 7
	v_bfe_u32 v40, v0, 10, 10
	v_add_u32_e32 v36, s2, v1
	s_waitcnt lgkmcnt(0)
	s_mul_i32 s10, s33, s26
	s_ashr_i32 s26, s10, 31
	s_mul_i32 s11, s29, s25
	s_add_u32 s4, s4, s10
	s_addc_u32 s5, s5, s26
	s_ashr_i32 s10, s11, 31
	s_add_u32 s4, s4, s11
	s_addc_u32 s5, s5, s10
	s_ashr_i32 s11, s25, 31
	s_mov_b32 s10, s25
	v_bfe_u32 v39, v40, 1, 2
	s_lshr_b64 s[26:27], s[10:11], 2
	v_mul_hi_u32 v1, s20, v36
	s_lshr_b32 s25, s11, 2
	v_mad_u64_u32 v[2:3], s[10:11], s26, v39, 0
	v_add_u32_e32 v1, v36, v1
	v_mov_b32_e32 v4, v3
	v_lshrrev_b32_e32 v1, s21, v1
	v_mad_u64_u32 v[4:5], s[10:11], s25, v39, v[4:5]
	v_mul_lo_u32 v1, v1, s22
	s_ashr_i32 s25, s24, 31
	v_sub_u32_e32 v1, v36, v1
	s_lshr_b64 s[10:11], s[24:25], 2
	v_mad_u64_u32 v[6:7], s[10:11], s10, v1, 0
	v_mov_b32_e32 v3, v4
	v_mov_b32_e32 v4, v7
	s_lshr_b32 s10, s25, 2
	v_mad_u64_u32 v[4:5], s[10:11], s10, v1, v[4:5]
	v_mov_b32_e32 v7, v4
	v_and_b32_e32 v37, 0x3ff, v0
	v_lshl_add_u64 v[2:3], v[2:3], 2, s[4:5]
	v_lshlrev_b32_e32 v0, 9, v40
	v_mov_b32_e32 v5, 0
	v_lshl_add_u64 v[2:3], v[6:7], 2, v[2:3]
	v_and_b32_e32 v4, 0x200, v0
	v_lshl_add_u64 v[2:3], v[2:3], 0, v[4:5]
	v_lshlrev_b32_e32 v4, 4, v37
	v_lshl_add_u64 v[2:3], v[2:3], 0, v[4:5]
	global_load_dwordx4 v[6:9], v[2:3], off
	s_load_dword s4, s[0:1], 0x40
	v_lshlrev_b32_e32 v3, 8, v40
	v_bfe_u32 v2, v10, 1, 9
	v_and_b32_e32 v3, 0x100, v3
	v_lshlrev_b32_e32 v0, 3, v37
	v_lshl_or_b32 v2, v2, 9, v3
	v_add_u32_e32 v5, v2, v0
	s_cmp_eq_u64 s[14:15], 0
	s_waitcnt vmcnt(0) lgkmcnt(0)
	v_fma_mixlo_f16 v2, s4, v6, 0
	v_fma_mixlo_f16 v3, s4, v8, 0
	v_mov_b32_e32 v6, v9
	v_and_b32_e32 v8, 0xffff, v2
	v_and_b32_e32 v9, 0xffff, v3
	v_pk_mul_f32 v[2:3], s[4:5], v[6:7] op_sel_hi:[0,1]
	v_cvt_pk_f16_f32 v2, v2, v3
	v_lshlrev_b32_e32 v3, 16, v2
	v_and_b32_e32 v2, 0xffff0000, v2
	v_or_b32_e32 v2, v2, v8
	v_or3_b32 v3, v3, v9, 0
	v_or3_b32 v2, 0, 0, v2
	ds_write_b64 v5, v[2:3] offset:17408
	s_waitcnt lgkmcnt(0)
	s_barrier
	s_cbranch_scc1 .LBB23_4
; %bb.3:
	s_load_dword s4, s[0:1], 0xd0
	s_mov_b32 s5, 0
	s_waitcnt lgkmcnt(0)
	s_mul_i32 s4, s4, s33
	s_add_i32 s4, s4, s2
	s_lshl_b64 s[4:5], s[4:5], 2
	s_add_u32 s4, s14, s4
	s_addc_u32 s5, s15, s5
	s_load_dword s28, s[4:5], 0x0
.LBB23_4:
	s_lshl_b32 s2, s3, 6
	v_lshlrev_b32_e32 v38, 2, v37
	s_waitcnt lgkmcnt(0)
	s_cmp_lt_i32 s2, s28
	v_mbcnt_lo_u32_b32 v2, -1, 0
	v_and_b32_e32 v5, 1, v40
	s_cbranch_scc1 .LBB23_7
; %bb.5:
	v_mbcnt_hi_u32_b32 v17, -1, v2
	v_and_b32_e32 v3, 0x60, v17
	v_add_u32_e32 v41, 32, v3
	v_xor_b32_e32 v46, 16, v17
	v_xor_b32_e32 v45, 8, v17
	;; [unrolled: 1-line block ×5, first 2 shown]
	v_and_b32_e32 v6, 1, v40
	v_cmp_eq_u32_e64 s[4:5], 0, v37
	s_cbranch_execz .LBB23_8
; %bb.6:
	v_mov_b32_e32 v3, 0
	v_mov_b32_e32 v52, 0
	;; [unrolled: 1-line block ×6, first 2 shown]
	s_branch .LBB23_14
.LBB23_7:
                                        ; implicit-def: $vgpr17
                                        ; implicit-def: $vgpr41
                                        ; implicit-def: $vgpr46
                                        ; implicit-def: $vgpr45
                                        ; implicit-def: $vgpr44
                                        ; implicit-def: $vgpr43
                                        ; implicit-def: $vgpr42
                                        ; implicit-def: $vgpr6
	v_cmp_eq_u32_e64 s[4:5], 0, v37
.LBB23_8:
	s_sub_i32 s10, 0, s36
	s_mul_i32 s10, s10, s38
	s_mul_hi_u32 s10, s38, s10
	s_add_i32 s38, s38, s10
	s_load_dwordx2 s[10:11], s[0:1], 0x8c
	s_load_dwordx4 s[24:27], s[0:1], 0x98
	s_abs_i32 s34, s29
	s_mul_hi_u32 s38, s34, s38
	s_ashr_i32 s39, s29, 31
	s_waitcnt lgkmcnt(0)
	s_ashr_i32 s21, s10, 2
	s_ashr_i32 s10, s33, 31
	;; [unrolled: 1-line block ×3, first 2 shown]
	s_mul_hi_u32 s26, s24, s33
	s_mul_i32 s40, s24, s10
	s_add_i32 s26, s26, s40
	s_mul_i32 s25, s25, s33
	s_ashr_i32 s37, s37, 31
	s_ashr_i32 s35, s35, 1
	s_add_i32 s26, s26, s25
	s_mul_i32 s24, s24, s33
	s_add_u32 s6, s6, s24
	s_mul_i32 s25, s38, s36
	s_addc_u32 s7, s7, s26
	s_sub_i32 s25, s34, s25
	s_xor_b32 s24, s39, s37
	s_add_i32 s26, s38, 1
	s_sub_i32 s34, s25, s36
	s_cmp_ge_u32 s25, s36
	s_cselect_b32 s26, s26, s38
	s_cselect_b32 s25, s34, s25
	s_add_i32 s34, s26, 1
	s_cmp_ge_u32 s25, s36
	s_cselect_b32 s25, s34, s26
	s_load_dwordx2 s[14:15], s[0:1], 0xa8
	s_xor_b32 s25, s25, s24
	s_sub_i32 s26, s25, s24
	s_mul_i32 s11, s26, s11
	s_ashr_i32 s25, s11, 31
	s_add_u32 s24, s6, s11
	s_addc_u32 s25, s7, s25
	s_waitcnt lgkmcnt(0)
	s_mul_hi_u32 s6, s14, s33
	s_mul_i32 s7, s14, s10
	s_add_i32 s6, s6, s7
	s_mul_i32 s7, s15, s33
	s_add_i32 s6, s6, s7
	s_mul_i32 s7, s14, s33
	s_add_u32 s7, s8, s7
	s_mul_i32 s26, s26, s27
	s_addc_u32 s6, s9, s6
	s_ashr_i32 s8, s26, 31
	s_add_u32 s26, s7, s26
	v_lshrrev_b32_e32 v6, 4, v37
	v_and_b32_e32 v18, 60, v38
	s_addc_u32 s27, s6, s8
	v_lshl_add_u32 v6, v40, 1, v6
	v_lshlrev_b32_e32 v8, 2, v18
	s_movk_i32 s6, 0x110
	v_mad_u32_u24 v47, v6, s6, v8
	v_mul_lo_u32 v8, s21, v6
	s_lshl_b32 s6, s21, 4
	v_lshlrev_b32_e32 v6, 5, v40
	v_lshlrev_b32_e32 v3, 6, v40
	v_add_u32_e32 v10, s6, v8
	v_and_b32_e32 v19, 32, v6
	v_mov_b32_e32 v7, 0
	v_add_u32_e32 v12, s6, v10
	v_add_u32_e32 v6, v19, v37
	v_and_b32_e32 v3, 0xff80, v3
	v_mov_b32_e32 v16, 0x4400
	v_add_u32_e32 v14, s6, v12
	v_lshl_add_u32 v53, v3, 2, v16
	v_mad_u64_u32 v[16:17], s[6:7], v1, s35, v[6:7]
	v_mul_u32_u24_e32 v51, 0x110, v6
	v_and_b32_e32 v6, 1, v37
	s_movk_i32 s6, 0x3fe
	v_and_or_b32 v6, v40, s6, v6
	v_mul_lo_u32 v20, s20, v40
	s_lshl_b32 s6, s20, 3
	v_add_u32_e32 v22, s6, v20
	v_mov_b32_e32 v1, 0x4e00
	v_add_u32_e32 v24, s6, v22
	v_lshl_add_u32 v54, v40, 2, v1
	v_lshl_add_u32 v55, v6, 2, v1
	v_add_u32_e32 v1, 0x4c00, v3
	v_lshlrev_b32_e32 v6, 2, v38
	v_add_u32_e32 v26, s6, v24
	v_mbcnt_hi_u32_b32 v17, -1, v2
	v_lshl_or_b32 v3, v19, 1, v1
	v_lshl_add_u32 v57, v40, 9, v6
	v_ashrrev_i32_e32 v21, 31, v20
	v_ashrrev_i32_e32 v23, 31, v22
	;; [unrolled: 1-line block ×4, first 2 shown]
	v_lshl_add_u32 v62, v5, 9, v0
	s_add_u32 s14, s0, 0xd0
	v_and_b32_e32 v0, 0x60, v17
	v_ashrrev_i32_e32 v9, 31, v8
	v_add_u32_e32 v48, 0x1100, v47
	v_ashrrev_i32_e32 v11, 31, v10
	v_add_u32_e32 v49, 0x2200, v47
	;; [unrolled: 2-line block ×3, first 2 shown]
	v_ashrrev_i32_e32 v15, 31, v14
	v_lshl_add_u32 v56, v37, 1, v3
	v_add_u32_e32 v58, 0x1000, v57
	v_add_u32_e32 v59, 0x2000, v57
	;; [unrolled: 1-line block ×3, first 2 shown]
	v_lshl_or_b32 v61, v5, 1, v1
	s_addc_u32 s15, s1, 0
	v_mov_b32_e32 v64, 0xfeffffff
	v_lshlrev_b32_e32 v18, 2, v18
	v_mov_b32_e32 v19, v7
	v_add_u32_e32 v41, 32, v0
	v_xor_b32_e32 v46, 16, v17
	v_xor_b32_e32 v45, 8, v17
	;; [unrolled: 1-line block ×5, first 2 shown]
	s_mov_b32 s34, 0x3fb8aa3b
	s_mov_b32 s35, 0xc2ce8ed0
	;; [unrolled: 1-line block ×3, first 2 shown]
	v_lshlrev_b64 v[20:21], 2, v[20:21]
	v_lshlrev_b64 v[22:23], 2, v[22:23]
	;; [unrolled: 1-line block ×4, first 2 shown]
	v_mov_b32_e32 v63, 0x7f800000
	v_mov_b32_e32 v0, v7
	;; [unrolled: 1-line block ×6, first 2 shown]
.LBB23_9:                               ; =>This Inner Loop Header: Depth=1
	s_mul_hi_i32 s7, s2, s21
	s_mul_i32 s6, s2, s21
	s_lshl_b64 s[6:7], s[6:7], 2
	s_add_u32 s6, s24, s6
	s_addc_u32 s7, s25, s7
	v_lshl_add_u64 v[28:29], v[8:9], 2, s[6:7]
	v_lshl_add_u64 v[32:33], v[12:13], 2, s[6:7]
	;; [unrolled: 1-line block ×7, first 2 shown]
	global_load_dwordx4 v[66:69], v[28:29], off
	global_load_dwordx4 v[70:73], v[30:31], off
	v_lshl_add_u64 v[34:35], v[34:35], 0, v[18:19]
	global_load_dwordx4 v[74:77], v[32:33], off
	global_load_dwordx4 v[78:81], v[34:35], off
	v_mov_b32_e32 v65, 0
	v_cmp_lt_i32_e32 vcc, v46, v41
	s_waitcnt vmcnt(3)
	ds_write_b128 v47, v[66:69]
	s_waitcnt vmcnt(2)
	ds_write_b128 v48, v[70:73]
	;; [unrolled: 2-line block ×4, first 2 shown]
	s_waitcnt lgkmcnt(0)
	s_barrier
	ds_read_b128 v[66:69], v51
	ds_read_b128 v[70:73], v53
	s_waitcnt lgkmcnt(0)
	;;#ASMSTART
	v_dot2_f32_f16 v65, v66, v70, v65
	;;#ASMEND
	s_nop 0
	;;#ASMSTART
	v_dot2_f32_f16 v65, v67, v71, v65
	;;#ASMEND
	s_nop 0
	;;#ASMSTART
	v_dot2_f32_f16 v65, v68, v72, v65
	;;#ASMEND
	s_nop 0
	;;#ASMSTART
	v_dot2_f32_f16 v65, v69, v73, v65
	;;#ASMEND
	ds_read_b128 v[66:69], v51 offset:16
	ds_read_b128 v[70:73], v53 offset:16
	s_waitcnt lgkmcnt(0)
	;;#ASMSTART
	v_dot2_f32_f16 v65, v66, v70, v65
	;;#ASMEND
	s_nop 0
	;;#ASMSTART
	v_dot2_f32_f16 v65, v67, v71, v65
	;;#ASMEND
	s_nop 0
	;;#ASMSTART
	v_dot2_f32_f16 v65, v68, v72, v65
	;;#ASMEND
	s_nop 0
	;;#ASMSTART
	v_dot2_f32_f16 v65, v69, v73, v65
	;;#ASMEND
	ds_read_b128 v[66:69], v51 offset:32
	ds_read_b128 v[70:73], v53 offset:32
	;; [unrolled: 18-line block ×15, first 2 shown]
	s_waitcnt lgkmcnt(0)
	;;#ASMSTART
	v_dot2_f32_f16 v65, v66, v70, v65
	;;#ASMEND
	s_nop 0
	;;#ASMSTART
	v_dot2_f32_f16 v65, v67, v71, v65
	;;#ASMEND
	s_nop 0
	;; [unrolled: 4-line block ×3, first 2 shown]
	;;#ASMSTART
	v_dot2_f32_f16 v65, v69, v73, v65
	;;#ASMEND
	s_barrier
	global_load_dwordx4 v[66:69], v[28:29], off offset:256
	global_load_dwordx4 v[70:73], v[30:31], off offset:256
	;; [unrolled: 1-line block ×4, first 2 shown]
	s_waitcnt vmcnt(3)
	ds_write_b128 v47, v[66:69]
	s_waitcnt vmcnt(2)
	ds_write_b128 v48, v[70:73]
	;; [unrolled: 2-line block ×4, first 2 shown]
	s_waitcnt lgkmcnt(0)
	s_barrier
	ds_read_b128 v[28:31], v51
	ds_read_b128 v[32:35], v53 offset:256
	s_waitcnt lgkmcnt(0)
	;;#ASMSTART
	v_dot2_f32_f16 v65, v28, v32, v65
	;;#ASMEND
	s_nop 0
	;;#ASMSTART
	v_dot2_f32_f16 v65, v29, v33, v65
	;;#ASMEND
	v_add_u32_e32 v66, s2, v16
	;;#ASMSTART
	v_dot2_f32_f16 v65, v30, v34, v65
	;;#ASMEND
	v_ashrrev_i32_e32 v67, 31, v66
	;;#ASMSTART
	v_dot2_f32_f16 v65, v31, v35, v65
	;;#ASMEND
	ds_read_b128 v[28:31], v51 offset:16
	ds_read_b128 v[32:35], v53 offset:272
	s_waitcnt lgkmcnt(0)
	;;#ASMSTART
	v_dot2_f32_f16 v65, v28, v32, v65
	;;#ASMEND
	s_nop 0
	;;#ASMSTART
	v_dot2_f32_f16 v65, v29, v33, v65
	;;#ASMEND
	v_lshl_add_u64 v[66:67], v[66:67], 1, s[30:31]
	;;#ASMSTART
	v_dot2_f32_f16 v65, v30, v34, v65
	;;#ASMEND
	s_nop 0
	;;#ASMSTART
	v_dot2_f32_f16 v65, v31, v35, v65
	;;#ASMEND
	ds_read_b128 v[28:31], v51 offset:32
	ds_read_b128 v[32:35], v53 offset:288
	s_waitcnt lgkmcnt(0)
	;;#ASMSTART
	v_dot2_f32_f16 v65, v28, v32, v65
	;;#ASMEND
	s_nop 0
	;;#ASMSTART
	v_dot2_f32_f16 v65, v29, v33, v65
	;;#ASMEND
	s_nop 0
	;;#ASMSTART
	v_dot2_f32_f16 v65, v30, v34, v65
	;;#ASMEND
	s_nop 0
	;;#ASMSTART
	v_dot2_f32_f16 v65, v31, v35, v65
	;;#ASMEND
	ds_read_b128 v[28:31], v51 offset:48
	ds_read_b128 v[32:35], v53 offset:304
	s_waitcnt lgkmcnt(0)
	;;#ASMSTART
	v_dot2_f32_f16 v65, v28, v32, v65
	;;#ASMEND
	s_nop 0
	;;#ASMSTART
	v_dot2_f32_f16 v65, v29, v33, v65
	;;#ASMEND
	s_nop 0
	;; [unrolled: 18-line block ×13, first 2 shown]
	;;#ASMSTART
	v_dot2_f32_f16 v65, v30, v34, v65
	;;#ASMEND
	s_nop 0
	;;#ASMSTART
	v_dot2_f32_f16 v65, v31, v35, v65
	;;#ASMEND
	ds_read_b128 v[28:31], v51 offset:240
	ds_read_b128 v[32:35], v53 offset:496
	s_waitcnt lgkmcnt(0)
	;;#ASMSTART
	v_dot2_f32_f16 v65, v28, v32, v65
	;;#ASMEND
	s_nop 0
	;;#ASMSTART
	v_dot2_f32_f16 v65, v29, v33, v65
	;;#ASMEND
	v_cndmask_b32_e32 v29, v17, v46, vcc
	;;#ASMSTART
	v_dot2_f32_f16 v65, v30, v34, v65
	;;#ASMEND
	v_lshlrev_b32_e32 v30, 2, v29
	;;#ASMSTART
	v_dot2_f32_f16 v65, v31, v35, v65
	;;#ASMEND
	global_load_ushort v28, v[66:67], off
	v_max_f32_e32 v31, v64, v64
	v_cmp_lt_i32_e32 vcc, v45, v41
	s_waitcnt vmcnt(0)
	v_cvt_f32_f16_e32 v28, v28
	v_add_f32_e32 v29, v65, v28
	v_add_f32_e32 v28, 0x40051340, v29
	v_max_f32_e32 v28, v31, v28
	ds_bpermute_b32 v30, v30, v28
	v_cndmask_b32_e32 v31, v17, v45, vcc
	v_lshlrev_b32_e32 v31, 2, v31
	v_cmp_lt_i32_e32 vcc, v44, v41
	s_waitcnt lgkmcnt(0)
	v_max_f32_e32 v30, v30, v30
	v_max_f32_e32 v28, v28, v30
	ds_bpermute_b32 v30, v31, v28
	v_cndmask_b32_e32 v31, v17, v44, vcc
	v_lshlrev_b32_e32 v31, 2, v31
	v_cmp_lt_i32_e32 vcc, v43, v41
	s_waitcnt lgkmcnt(0)
	v_max_f32_e32 v30, v30, v30
	;; [unrolled: 7-line block ×3, first 2 shown]
	v_max_f32_e32 v28, v28, v30
	ds_bpermute_b32 v30, v31, v28
	v_cndmask_b32_e32 v31, v17, v42, vcc
	v_lshlrev_b32_e32 v31, 2, v31
	s_waitcnt lgkmcnt(0)
	v_max_f32_e32 v30, v30, v30
	v_max_f32_e32 v28, v28, v30
	ds_bpermute_b32 v30, v31, v28
	s_and_saveexec_b64 s[6:7], s[4:5]
	s_cbranch_execz .LBB23_11
; %bb.10:                               ;   in Loop: Header=BB23_9 Depth=1
	s_waitcnt lgkmcnt(0)
	v_max_f32_e32 v30, v30, v30
	v_max_f32_e32 v28, v28, v28
	v_max_f32_e32 v28, v28, v30
	ds_write_b32 v54, v28
.LBB23_11:                              ;   in Loop: Header=BB23_9 Depth=1
	s_or_b64 exec, exec, s[6:7]
	s_mul_hi_i32 s7, s2, s20
	s_mul_i32 s6, s2, s20
	s_lshl_b64 s[6:7], s[6:7], 2
	s_add_u32 s6, s26, s6
	s_addc_u32 s7, s27, s7
	s_waitcnt lgkmcnt(0)
	v_lshl_add_u64 v[30:31], s[6:7], 0, v[20:21]
	v_lshl_add_u64 v[34:35], v[30:31], 0, v[6:7]
	;; [unrolled: 1-line block ×3, first 2 shown]
	s_barrier
	v_lshl_add_u64 v[70:71], v[30:31], 0, v[6:7]
	global_load_dwordx4 v[30:33], v[34:35], off
	global_load_dwordx4 v[66:69], v[70:71], off
	v_lshl_add_u64 v[34:35], s[6:7], 0, v[24:25]
	v_lshl_add_u64 v[34:35], v[34:35], 0, v[6:7]
	;; [unrolled: 1-line block ×4, first 2 shown]
	global_load_dwordx4 v[70:73], v[34:35], off
	global_load_dwordx4 v[74:77], v[78:79], off
	ds_read_b32 v28, v55
	v_and_b32_e32 v34, 0x7e, v17
	v_add_u32_e32 v34, 2, v34
	v_cmp_lt_i32_e32 vcc, v42, v34
	v_add_u32_e32 v107, 0x800, v62
	v_add_u32_e32 v108, 0x1000, v62
	v_cndmask_b32_e32 v34, v17, v42, vcc
	v_lshlrev_b32_e32 v34, 2, v34
	s_waitcnt lgkmcnt(0)
	ds_bpermute_b32 v34, v34, v28
	v_max_f32_e32 v28, v28, v28
	v_add_u32_e32 v109, 0x1800, v62
	v_add_u32_e32 v114, 0x2000, v62
	;; [unrolled: 1-line block ×3, first 2 shown]
	s_waitcnt lgkmcnt(0)
	v_max_f32_e32 v34, v34, v34
	v_max_f32_e32 v28, v28, v34
	v_sub_f32_e32 v29, v29, v28
	v_mul_f32_e32 v35, 0x3fb8aa3b, v29
	v_sub_f32_e32 v34, v64, v28
	v_fma_f32 v65, v29, s34, -v35
	v_rndne_f32_e32 v78, v35
	v_mul_f32_e32 v64, 0x3fb8aa3b, v34
	v_fmac_f32_e32 v65, 0x32a5705f, v29
	v_sub_f32_e32 v35, v35, v78
	v_fma_f32 v79, v34, s34, -v64
	v_rndne_f32_e32 v80, v64
	v_add_f32_e32 v35, v35, v65
	v_cvt_i32_f32_e32 v78, v78
	v_fmac_f32_e32 v79, 0x32a5705f, v34
	v_sub_f32_e32 v64, v64, v80
	v_exp_f32_e32 v35, v35
	v_add_f32_e32 v64, v64, v79
	v_cvt_i32_f32_e32 v80, v80
	v_exp_f32_e32 v64, v64
	v_cmp_ngt_f32_e32 vcc, s35, v29
	v_cmp_nlt_f32_e64 s[8:9], s36, v29
	v_ldexp_f32 v29, v35, v78
	v_cndmask_b32_e32 v29, 0, v29, vcc
	v_cmp_ngt_f32_e64 s[6:7], s35, v34
	v_cmp_nlt_f32_e64 s[10:11], s36, v34
	v_ldexp_f32 v34, v64, v80
	v_cndmask_b32_e64 v29, v63, v29, s[8:9]
	v_cndmask_b32_e64 v34, 0, v34, s[6:7]
	v_cvt_f16_f32_e32 v35, v29
	v_cndmask_b32_e64 v98, v63, v34, s[10:11]
	v_cvt_f16_f32_e32 v34, v98
	s_or_b32 s6, s2, 32
	ds_write_b16 v56, v35
	s_mul_hi_i32 s7, s6, s20
	v_mul_u32_u24_e32 v34, 0x10001, v34
	v_pk_mul_f16 v2, v2, v34
	v_pk_mul_f16 v3, v3, v34
	s_mul_i32 s6, s6, s20
	s_lshl_b64 s[6:7], s[6:7], 2
	s_add_u32 s6, s26, s6
	s_addc_u32 s7, s27, s7
	v_add_u32_e32 v116, 0x3000, v62
	v_add_u32_e32 v117, 0x3800, v62
	v_lshl_add_u64 v[88:89], s[6:7], 0, v[22:23]
	v_lshl_add_u64 v[96:97], v[88:89], 0, v[6:7]
	v_fma_f32 v52, v52, v98, v29
	s_waitcnt vmcnt(3)
	ds_write_b128 v57, v[30:33]
	s_waitcnt vmcnt(2)
	ds_write_b128 v58, v[66:69]
	s_waitcnt vmcnt(1)
	ds_write_b128 v59, v[70:73]
	s_waitcnt vmcnt(0)
	ds_write_b128 v60, v[74:77]
	s_waitcnt lgkmcnt(0)
	s_barrier
	ds_read2_b64 v[30:33], v62 offset1:32
	ds_read_u16 v35, v61
	ds_read_u16 v68, v61 offset:4
	ds_read_u16 v69, v61 offset:8
	ds_read_u16 v70, v61 offset:12
	ds_read_u16 v71, v61 offset:16
	ds_read_u16 v72, v61 offset:20
	ds_read_u16 v73, v61 offset:24
	ds_read_u16 v74, v61 offset:28
	ds_read_u16 v99, v61 offset:32
	ds_read_u16 v100, v61 offset:36
	ds_read_u16 v101, v61 offset:40
	ds_read_u16 v102, v61 offset:44
	ds_read_u16 v103, v61 offset:48
	ds_read_u16 v104, v61 offset:52
	ds_read_u16 v105, v61 offset:56
	ds_read_u16 v106, v61 offset:60
	ds_read2_b64 v[64:67], v62 offset0:128 offset1:160
	s_waitcnt lgkmcnt(14)
	v_mul_u32_u24_e32 v35, 0x10001, v35
	v_pk_mul_f16 v30, v30, v35
	v_pk_mul_f16 v31, v31, v35
	v_pk_fma_f16 v0, v0, v34, v30
	v_pk_fma_f16 v30, v1, v34, v31
	;; [unrolled: 1-line block ×4, first 2 shown]
	v_mul_u32_u24_e32 v33, 0x10001, v68
	s_waitcnt lgkmcnt(0)
	v_pk_fma_f16 v34, v64, v33, v0
	ds_read2_b64 v[0:3], v107 offset1:32
	v_pk_fma_f16 v35, v65, v33, v30
	v_pk_fma_f16 v64, v66, v33, v31
	;; [unrolled: 1-line block ×3, first 2 shown]
	ds_read2_b64 v[30:33], v107 offset0:128 offset1:160
	v_mul_u32_u24_e32 v66, 0x10001, v69
	s_waitcnt lgkmcnt(1)
	v_pk_fma_f16 v0, v0, v66, v34
	v_pk_fma_f16 v34, v1, v66, v35
	;; [unrolled: 1-line block ×4, first 2 shown]
	v_mul_u32_u24_e32 v65, 0x10001, v70
	s_waitcnt lgkmcnt(0)
	v_pk_fma_f16 v30, v30, v65, v0
	ds_read2_b64 v[0:3], v108 offset1:32
	v_pk_fma_f16 v34, v31, v65, v34
	v_pk_fma_f16 v35, v32, v65, v35
	;; [unrolled: 1-line block ×3, first 2 shown]
	v_mul_u32_u24_e32 v65, 0x10001, v71
	s_waitcnt lgkmcnt(0)
	v_pk_fma_f16 v0, v0, v65, v30
	ds_read2_b64 v[30:33], v108 offset0:128 offset1:160
	v_pk_fma_f16 v34, v1, v65, v34
	v_pk_fma_f16 v35, v2, v65, v35
	;; [unrolled: 1-line block ×3, first 2 shown]
	v_mul_u32_u24_e32 v65, 0x10001, v72
	s_waitcnt lgkmcnt(0)
	v_pk_fma_f16 v30, v30, v65, v0
	ds_read2_b64 v[0:3], v109 offset1:32
	v_pk_fma_f16 v34, v31, v65, v34
	v_pk_fma_f16 v35, v32, v65, v35
	;; [unrolled: 1-line block ×3, first 2 shown]
	v_mul_u32_u24_e32 v65, 0x10001, v73
	s_waitcnt lgkmcnt(0)
	v_pk_fma_f16 v0, v0, v65, v30
	ds_read2_b64 v[30:33], v109 offset0:128 offset1:160
	v_pk_fma_f16 v1, v1, v65, v34
	v_pk_fma_f16 v2, v2, v65, v35
	;; [unrolled: 1-line block ×3, first 2 shown]
	v_mul_u32_u24_e32 v34, 0x10001, v74
	s_waitcnt lgkmcnt(0)
	v_pk_fma_f16 v110, v30, v34, v0
	v_pk_fma_f16 v111, v31, v34, v1
	;; [unrolled: 1-line block ×4, first 2 shown]
	ds_read2_b64 v[0:3], v114 offset1:32
	ds_read2_b64 v[30:33], v114 offset0:128 offset1:160
	v_lshl_add_u64 v[34:35], s[6:7], 0, v[20:21]
	v_lshl_add_u64 v[34:35], v[34:35], 0, v[6:7]
	ds_read2_b64 v[64:67], v115 offset1:32
	ds_read2_b64 v[68:71], v115 offset0:128 offset1:160
	ds_read2_b64 v[72:75], v116 offset1:32
	ds_read2_b64 v[76:79], v116 offset0:128 offset1:160
	;; [unrolled: 2-line block ×3, first 2 shown]
	s_waitcnt lgkmcnt(0)
	s_barrier
	global_load_dwordx4 v[88:91], v[34:35], off
	global_load_dwordx4 v[92:95], v[96:97], off
	v_mul_u32_u24_e32 v34, 0x10001, v99
	v_pk_fma_f16 v99, v0, v34, v110
	v_pk_fma_f16 v110, v1, v34, v111
	v_lshl_add_u64 v[0:1], s[6:7], 0, v[24:25]
	v_pk_fma_f16 v2, v2, v34, v112
	v_pk_fma_f16 v3, v3, v34, v113
	v_lshl_add_u64 v[34:35], v[0:1], 0, v[6:7]
	v_lshl_add_u64 v[0:1], s[6:7], 0, v[26:27]
	;; [unrolled: 1-line block ×3, first 2 shown]
	v_mul_u32_u24_e32 v0, 0x10001, v100
	v_pk_fma_f16 v99, v30, v0, v99
	v_pk_fma_f16 v100, v31, v0, v110
	;; [unrolled: 1-line block ×4, first 2 shown]
	global_load_dwordx4 v[0:3], v[34:35], off
	global_load_dwordx4 v[30:33], v[96:97], off
	v_mul_u32_u24_e32 v29, 0x10001, v101
	v_pk_fma_f16 v34, v64, v29, v99
	v_pk_fma_f16 v35, v65, v29, v100
	v_pk_fma_f16 v64, v66, v29, v110
	v_pk_fma_f16 v29, v67, v29, v111
	v_mul_u32_u24_e32 v65, 0x10001, v102
	v_pk_fma_f16 v34, v68, v65, v34
	v_pk_fma_f16 v35, v69, v65, v35
	v_pk_fma_f16 v64, v70, v65, v64
	v_pk_fma_f16 v29, v71, v65, v29
	;; [unrolled: 5-line block ×6, first 2 shown]
	s_waitcnt vmcnt(3)
	ds_write_b128 v57, v[88:91]
	s_waitcnt vmcnt(2)
	ds_write_b128 v58, v[92:95]
	;; [unrolled: 2-line block ×4, first 2 shown]
	s_waitcnt lgkmcnt(0)
	s_barrier
	ds_read2_b64 v[0:3], v62 offset1:32
	ds_read_u16 v30, v61 offset:64
	ds_read_u16 v65, v61 offset:68
	;; [unrolled: 1-line block ×16, first 2 shown]
	s_waitcnt lgkmcnt(14)
	v_mul_u32_u24_e32 v80, 0x10001, v30
	ds_read2_b64 v[30:33], v62 offset0:128 offset1:160
	v_pk_fma_f16 v0, v0, v80, v34
	v_pk_fma_f16 v34, v1, v80, v35
	;; [unrolled: 1-line block ×3, first 2 shown]
	v_mul_u32_u24_e32 v64, 0x10001, v65
	v_pk_fma_f16 v29, v3, v80, v29
	s_waitcnt lgkmcnt(0)
	v_pk_fma_f16 v30, v30, v64, v0
	ds_read2_b64 v[0:3], v107 offset1:32
	v_pk_fma_f16 v34, v31, v64, v34
	v_pk_fma_f16 v35, v32, v64, v35
	v_pk_fma_f16 v29, v33, v64, v29
	v_mul_u32_u24_e32 v64, 0x10001, v66
	s_waitcnt lgkmcnt(0)
	v_pk_fma_f16 v0, v0, v64, v30
	ds_read2_b64 v[30:33], v107 offset0:128 offset1:160
	v_pk_fma_f16 v34, v1, v64, v34
	v_pk_fma_f16 v35, v2, v64, v35
	v_pk_fma_f16 v29, v3, v64, v29
	v_mul_u32_u24_e32 v64, 0x10001, v67
	s_waitcnt lgkmcnt(0)
	v_pk_fma_f16 v30, v30, v64, v0
	ds_read2_b64 v[0:3], v108 offset1:32
	v_pk_fma_f16 v34, v31, v64, v34
	v_pk_fma_f16 v35, v32, v64, v35
	v_pk_fma_f16 v29, v33, v64, v29
	v_mul_u32_u24_e32 v64, 0x10001, v68
	s_waitcnt lgkmcnt(0)
	v_pk_fma_f16 v0, v0, v64, v30
	ds_read2_b64 v[30:33], v108 offset0:128 offset1:160
	v_pk_fma_f16 v34, v1, v64, v34
	v_pk_fma_f16 v35, v2, v64, v35
	v_pk_fma_f16 v29, v3, v64, v29
	v_mul_u32_u24_e32 v64, 0x10001, v69
	s_waitcnt lgkmcnt(0)
	v_pk_fma_f16 v30, v30, v64, v0
	ds_read2_b64 v[0:3], v109 offset1:32
	v_pk_fma_f16 v34, v31, v64, v34
	v_pk_fma_f16 v35, v32, v64, v35
	v_pk_fma_f16 v29, v33, v64, v29
	v_mul_u32_u24_e32 v64, 0x10001, v70
	s_waitcnt lgkmcnt(0)
	v_pk_fma_f16 v0, v0, v64, v30
	ds_read2_b64 v[30:33], v109 offset0:128 offset1:160
	v_pk_fma_f16 v34, v1, v64, v34
	v_pk_fma_f16 v35, v2, v64, v35
	v_pk_fma_f16 v29, v3, v64, v29
	v_mul_u32_u24_e32 v64, 0x10001, v71
	s_waitcnt lgkmcnt(0)
	v_pk_fma_f16 v30, v30, v64, v0
	ds_read2_b64 v[0:3], v114 offset1:32
	v_pk_fma_f16 v34, v31, v64, v34
	v_pk_fma_f16 v35, v32, v64, v35
	v_pk_fma_f16 v29, v33, v64, v29
	v_mul_u32_u24_e32 v64, 0x10001, v72
	s_waitcnt lgkmcnt(0)
	v_pk_fma_f16 v0, v0, v64, v30
	ds_read2_b64 v[30:33], v114 offset0:128 offset1:160
	v_pk_fma_f16 v34, v1, v64, v34
	v_pk_fma_f16 v35, v2, v64, v35
	v_pk_fma_f16 v29, v3, v64, v29
	v_mul_u32_u24_e32 v64, 0x10001, v73
	s_waitcnt lgkmcnt(0)
	v_pk_fma_f16 v30, v30, v64, v0
	ds_read2_b64 v[0:3], v115 offset1:32
	v_pk_fma_f16 v34, v31, v64, v34
	v_pk_fma_f16 v35, v32, v64, v35
	v_pk_fma_f16 v29, v33, v64, v29
	v_mul_u32_u24_e32 v64, 0x10001, v74
	s_waitcnt lgkmcnt(0)
	v_pk_fma_f16 v0, v0, v64, v30
	ds_read2_b64 v[30:33], v115 offset0:128 offset1:160
	v_pk_fma_f16 v34, v1, v64, v34
	v_pk_fma_f16 v35, v2, v64, v35
	v_pk_fma_f16 v29, v3, v64, v29
	v_mul_u32_u24_e32 v64, 0x10001, v75
	s_waitcnt lgkmcnt(0)
	v_pk_fma_f16 v30, v30, v64, v0
	ds_read2_b64 v[0:3], v116 offset1:32
	v_pk_fma_f16 v34, v31, v64, v34
	v_pk_fma_f16 v35, v32, v64, v35
	v_pk_fma_f16 v29, v33, v64, v29
	v_mul_u32_u24_e32 v64, 0x10001, v76
	s_waitcnt lgkmcnt(0)
	v_pk_fma_f16 v0, v0, v64, v30
	ds_read2_b64 v[30:33], v116 offset0:128 offset1:160
	v_pk_fma_f16 v34, v1, v64, v34
	v_pk_fma_f16 v35, v2, v64, v35
	v_pk_fma_f16 v29, v3, v64, v29
	v_mul_u32_u24_e32 v64, 0x10001, v77
	s_waitcnt lgkmcnt(0)
	v_pk_fma_f16 v30, v30, v64, v0
	ds_read2_b64 v[0:3], v117 offset1:32
	v_pk_fma_f16 v31, v31, v64, v34
	v_pk_fma_f16 v32, v32, v64, v35
	v_pk_fma_f16 v29, v33, v64, v29
	v_mul_u32_u24_e32 v33, 0x10001, v78
	s_waitcnt lgkmcnt(0)
	v_pk_fma_f16 v30, v0, v33, v30
	v_pk_fma_f16 v31, v1, v33, v31
	v_pk_fma_f16 v32, v2, v33, v32
	v_pk_fma_f16 v29, v3, v33, v29
	ds_read2_b64 v[0:3], v117 offset0:128 offset1:160
	s_waitcnt lgkmcnt(0)
	s_barrier
	s_load_dword s6, s[14:15], 0x4
	v_mul_u32_u24_e32 v33, 0x10001, v79
	v_pk_fma_f16 v0, v0, v33, v30
	v_pk_fma_f16 v1, v1, v33, v31
	;; [unrolled: 1-line block ×3, first 2 shown]
	s_waitcnt lgkmcnt(0)
	s_lshl_b32 s6, s6, 6
	s_add_i32 s2, s6, s2
	s_cmp_ge_i32 s2, s28
	v_pk_fma_f16 v3, v3, v33, v29
	s_cbranch_scc1 .LBB23_13
; %bb.12:                               ;   in Loop: Header=BB23_9 Depth=1
	v_mov_b32_e32 v64, v28
	s_branch .LBB23_9
.LBB23_13:
	v_mov_b32_e32 v6, v5
.LBB23_14:
	v_cmp_lt_i32_e32 vcc, v46, v41
	v_cmp_ne_u32_e64 s[4:5], 0, v6
	s_nop 0
	v_cndmask_b32_e32 v5, v17, v46, vcc
	v_lshlrev_b32_e32 v5, 2, v5
	ds_bpermute_b32 v5, v5, v52
	v_cmp_lt_i32_e32 vcc, v45, v41
	s_waitcnt lgkmcnt(0)
	v_add_f32_e32 v5, v52, v5
	v_cndmask_b32_e32 v7, v17, v45, vcc
	v_lshlrev_b32_e32 v7, 2, v7
	ds_bpermute_b32 v7, v7, v5
	v_cmp_lt_i32_e32 vcc, v44, v41
	s_waitcnt lgkmcnt(0)
	v_add_f32_e32 v5, v5, v7
	;; [unrolled: 6-line block ×4, first 2 shown]
	v_cndmask_b32_e32 v8, v17, v42, vcc
	v_lshlrev_b32_e32 v8, 2, v8
	ds_bpermute_b32 v7, v8, v5
	v_cmp_eq_u32_e32 vcc, 0, v6
	s_waitcnt lgkmcnt(0)
	v_add_f32_e32 v29, v5, v7
	s_and_saveexec_b64 s[6:7], s[4:5]
	s_xor_b64 s[6:7], exec, s[6:7]
	s_cbranch_execnz .LBB23_18
; %bb.15:
	s_andn2_saveexec_b64 s[4:5], s[6:7]
	s_cbranch_execnz .LBB23_21
.LBB23_16:
	s_or_b64 exec, exec, s[4:5]
	s_and_saveexec_b64 s[4:5], vcc
	s_cbranch_execnz .LBB23_22
.LBB23_17:
	s_endpgm
.LBB23_18:
	v_lshl_add_u32 v4, v40, 9, v4
	v_cmp_eq_u32_e64 s[4:5], 0, v37
	ds_write_b128 v4, v[0:3]
	s_and_saveexec_b64 s[8:9], s[4:5]
; %bb.19:
	v_lshlrev_b32_e32 v4, 2, v40
	ds_write_b32 v4, v29 offset:17408
; %bb.20:
	s_or_b64 exec, exec, s[8:9]
                                        ; implicit-def: $vgpr40
                                        ; implicit-def: $vgpr4
	s_andn2_saveexec_b64 s[4:5], s[6:7]
	s_cbranch_execz .LBB23_16
.LBB23_21:
	v_lshl_add_u32 v4, v40, 9, v4
	v_lshlrev_b32_e32 v8, 2, v40
	s_waitcnt lgkmcnt(0)
	s_barrier
	ds_read_b128 v[4:7], v4 offset:512
	ds_read_b32 v8, v8 offset:17412
	s_waitcnt lgkmcnt(1)
	v_pk_add_f16 v0, v4, v0
	v_pk_add_f16 v1, v5, v1
	v_pk_add_f16 v2, v6, v2
	v_pk_add_f16 v3, v7, v3
	s_waitcnt lgkmcnt(0)
	v_add_f32_e32 v29, v29, v8
	s_or_b64 exec, exec, s[4:5]
	s_and_saveexec_b64 s[4:5], vcc
	s_cbranch_execz .LBB23_17
.LBB23_22:
	s_cmp_eq_u64 s[12:13], 0
	s_cselect_b64 s[4:5], -1, 0
	s_cmp_lg_u32 s3, 0
	s_cselect_b64 s[6:7], -1, 0
	s_or_b64 s[4:5], s[6:7], s[4:5]
	v_add_u32_e32 v4, s29, v39
	s_and_b64 vcc, exec, s[4:5]
	s_cbranch_vccnz .LBB23_24
; %bb.23:
	v_ashrrev_i32_e32 v5, 31, v4
	v_lshl_add_u64 v[6:7], v[4:5], 2, s[12:13]
	global_load_dword v5, v[6:7], off
	v_max_f32_e32 v6, v28, v28
	s_mov_b32 s2, 0x3fb8aa3b
	s_mov_b32 s4, 0xc2ce8ed0
	s_waitcnt vmcnt(0)
	v_max_f32_e32 v7, v5, v5
	v_max_f32_e32 v6, v6, v7
	v_sub_f32_e32 v7, v28, v6
	v_sub_f32_e32 v5, v5, v6
	v_mul_f32_e32 v8, 0x3fb8aa3b, v7
	v_mul_f32_e32 v9, 0x3fb8aa3b, v5
	v_fma_f32 v10, v7, s2, -v8
	v_rndne_f32_e32 v11, v8
	v_fma_f32 v12, v5, s2, -v9
	v_rndne_f32_e32 v13, v9
	v_fmac_f32_e32 v10, 0x32a5705f, v7
	v_sub_f32_e32 v8, v8, v11
	v_fmac_f32_e32 v12, 0x32a5705f, v5
	v_sub_f32_e32 v9, v9, v13
	v_add_f32_e32 v8, v8, v10
	v_cvt_i32_f32_e32 v11, v11
	v_add_f32_e32 v9, v9, v12
	v_exp_f32_e32 v8, v8
	v_cvt_i32_f32_e32 v13, v13
	v_exp_f32_e32 v9, v9
	v_cmp_ngt_f32_e32 vcc, s4, v7
	v_ldexp_f32 v8, v8, v11
	s_mov_b32 s2, 0x42b17218
	v_ldexp_f32 v9, v9, v13
	v_cndmask_b32_e32 v8, 0, v8, vcc
	v_cmp_ngt_f32_e32 vcc, s4, v5
	v_mov_b32_e32 v10, 0x7f800000
	s_nop 0
	v_cndmask_b32_e32 v9, 0, v9, vcc
	v_cmp_nlt_f32_e32 vcc, s2, v7
	s_nop 1
	v_cndmask_b32_e32 v8, v10, v8, vcc
	v_cvt_f16_f32_e32 v11, v8
	v_cmp_nlt_f32_e32 vcc, s2, v5
	v_mul_u32_u24_e32 v5, 0x10001, v11
	s_nop 0
	v_cndmask_b32_e32 v7, v10, v9, vcc
	v_fmac_f32_e32 v7, v29, v8
	v_pk_mul_f16 v0, v0, v5
	v_pk_mul_f16 v1, v1, v5
	;; [unrolled: 1-line block ×4, first 2 shown]
	v_mov_b64_e32 v[28:29], v[6:7]
	s_branch .LBB23_25
.LBB23_24:
	v_mov_b32_e32 v7, v29
.LBB23_25:
	s_load_dword s2, s[0:1], 0xd4
	v_div_scale_f32 v5, s[0:1], v7, v7, 1.0
	v_rcp_f32_e32 v6, v5
	s_mul_i32 s33, s33, s22
	s_waitcnt lgkmcnt(0)
	s_cmp_lg_u32 s2, 1
	s_cselect_b64 s[0:1], -1, 0
	v_fma_f32 v8, -v5, v6, 1.0
	v_fmac_f32_e32 v6, v8, v6
	v_div_scale_f32 v8, vcc, 1.0, v7, 1.0
	v_mul_f32_e32 v9, v8, v6
	v_fma_f32 v10, -v5, v9, v8
	v_fmac_f32_e32 v9, v10, v6
	v_fma_f32 v5, -v5, v9, v8
	v_div_fmas_f32 v5, v5, v6, v9
	v_div_fixup_f32 v5, v5, v7, 1.0
	v_cndmask_b32_e64 v10, v5, 1.0, s[0:1]
	v_add_u32_e32 v5, s33, v36
	v_mad_u64_u32 v[4:5], s[4:5], v5, s23, v[4:5]
	v_cvt_f32_f16_sdwa v7, v0 dst_sel:DWORD dst_unused:UNUSED_PAD src0_sel:WORD_1
	v_cvt_f32_f16_e32 v6, v0
	v_cvt_f32_f16_sdwa v9, v1 dst_sel:DWORD dst_unused:UNUSED_PAD src0_sel:WORD_1
	v_cvt_f32_f16_e32 v8, v1
	v_mul_lo_u32 v4, s2, v4
	v_add_u32_e32 v4, s3, v4
	v_lshl_add_u32 v12, v4, 8, v38
	v_mov_b32_e32 v13, 0
	v_lshl_add_u64 v[0:1], v[12:13], 2, s[16:17]
	v_pk_mul_f32 v[6:7], v[10:11], v[6:7] op_sel_hi:[0,1]
	v_pk_mul_f32 v[8:9], v[10:11], v[8:9] op_sel_hi:[0,1]
	global_store_dwordx4 v[0:1], v[6:9], off
	v_cvt_f32_f16_sdwa v1, v2 dst_sel:DWORD dst_unused:UNUSED_PAD src0_sel:WORD_1
	v_cvt_f32_f16_e32 v0, v2
	v_cvt_f32_f16_sdwa v7, v3 dst_sel:DWORD dst_unused:UNUSED_PAD src0_sel:WORD_1
	v_cvt_f32_f16_e32 v6, v3
	v_cmp_eq_u32_e32 vcc, 0, v37
	v_add_u32_e32 v12, 0x80, v12
	v_lshl_add_u64 v[8:9], v[12:13], 2, s[16:17]
	v_pk_mul_f32 v[0:1], v[10:11], v[0:1] op_sel_hi:[0,1]
	v_pk_mul_f32 v[2:3], v[10:11], v[6:7] op_sel_hi:[0,1]
	s_and_b64 s[0:1], vcc, s[0:1]
	global_store_dwordx4 v[8:9], v[0:3], off
	s_and_b64 exec, exec, s[0:1]
	s_cbranch_execz .LBB23_17
; %bb.26:
	v_mov_b32_e32 v0, s18
	v_mov_b32_e32 v1, s19
	v_ashrrev_i32_e32 v5, 31, v4
	v_lshl_add_u64 v[0:1], v[4:5], 3, v[0:1]
	global_store_dwordx2 v[0:1], v[28:29], off
	s_endpgm
	.section	.rodata,"a",@progbits
	.p2align	6, 0x0
	.amdhsa_kernel _ZL15flash_attn_tileILi256ELi256ELi1ELi4ELb0EEvPKcS1_S1_S1_S1_PKiPfP15HIP_vector_typeIfLj2EEffffjfiS5_IjLj3EEiiiiiiiiiiiliiliiiiil
		.amdhsa_group_segment_fixed_size 20000
		.amdhsa_private_segment_fixed_size 0
		.amdhsa_kernarg_size 464
		.amdhsa_user_sgpr_count 2
		.amdhsa_user_sgpr_dispatch_ptr 0
		.amdhsa_user_sgpr_queue_ptr 0
		.amdhsa_user_sgpr_kernarg_segment_ptr 1
		.amdhsa_user_sgpr_dispatch_id 0
		.amdhsa_user_sgpr_kernarg_preload_length 0
		.amdhsa_user_sgpr_kernarg_preload_offset 0
		.amdhsa_user_sgpr_private_segment_size 0
		.amdhsa_uses_dynamic_stack 0
		.amdhsa_enable_private_segment 0
		.amdhsa_system_sgpr_workgroup_id_x 1
		.amdhsa_system_sgpr_workgroup_id_y 1
		.amdhsa_system_sgpr_workgroup_id_z 1
		.amdhsa_system_sgpr_workgroup_info 0
		.amdhsa_system_vgpr_workitem_id 1
		.amdhsa_next_free_vgpr 118
		.amdhsa_next_free_sgpr 41
		.amdhsa_accum_offset 120
		.amdhsa_reserve_vcc 1
		.amdhsa_float_round_mode_32 0
		.amdhsa_float_round_mode_16_64 0
		.amdhsa_float_denorm_mode_32 3
		.amdhsa_float_denorm_mode_16_64 3
		.amdhsa_dx10_clamp 1
		.amdhsa_ieee_mode 1
		.amdhsa_fp16_overflow 0
		.amdhsa_tg_split 0
		.amdhsa_exception_fp_ieee_invalid_op 0
		.amdhsa_exception_fp_denorm_src 0
		.amdhsa_exception_fp_ieee_div_zero 0
		.amdhsa_exception_fp_ieee_overflow 0
		.amdhsa_exception_fp_ieee_underflow 0
		.amdhsa_exception_fp_ieee_inexact 0
		.amdhsa_exception_int_div_zero 0
	.end_amdhsa_kernel
	.section	.text._ZL15flash_attn_tileILi256ELi256ELi1ELi4ELb0EEvPKcS1_S1_S1_S1_PKiPfP15HIP_vector_typeIfLj2EEffffjfiS5_IjLj3EEiiiiiiiiiiiliiliiiiil,"axG",@progbits,_ZL15flash_attn_tileILi256ELi256ELi1ELi4ELb0EEvPKcS1_S1_S1_S1_PKiPfP15HIP_vector_typeIfLj2EEffffjfiS5_IjLj3EEiiiiiiiiiiiliiliiiiil,comdat
.Lfunc_end23:
	.size	_ZL15flash_attn_tileILi256ELi256ELi1ELi4ELb0EEvPKcS1_S1_S1_S1_PKiPfP15HIP_vector_typeIfLj2EEffffjfiS5_IjLj3EEiiiiiiiiiiiliiliiiiil, .Lfunc_end23-_ZL15flash_attn_tileILi256ELi256ELi1ELi4ELb0EEvPKcS1_S1_S1_S1_PKiPfP15HIP_vector_typeIfLj2EEffffjfiS5_IjLj3EEiiiiiiiiiiiliiliiiiil
                                        ; -- End function
	.set _ZL15flash_attn_tileILi256ELi256ELi1ELi4ELb0EEvPKcS1_S1_S1_S1_PKiPfP15HIP_vector_typeIfLj2EEffffjfiS5_IjLj3EEiiiiiiiiiiiliiliiiiil.num_vgpr, 118
	.set _ZL15flash_attn_tileILi256ELi256ELi1ELi4ELb0EEvPKcS1_S1_S1_S1_PKiPfP15HIP_vector_typeIfLj2EEffffjfiS5_IjLj3EEiiiiiiiiiiiliiliiiiil.num_agpr, 0
	.set _ZL15flash_attn_tileILi256ELi256ELi1ELi4ELb0EEvPKcS1_S1_S1_S1_PKiPfP15HIP_vector_typeIfLj2EEffffjfiS5_IjLj3EEiiiiiiiiiiiliiliiiiil.numbered_sgpr, 41
	.set _ZL15flash_attn_tileILi256ELi256ELi1ELi4ELb0EEvPKcS1_S1_S1_S1_PKiPfP15HIP_vector_typeIfLj2EEffffjfiS5_IjLj3EEiiiiiiiiiiiliiliiiiil.num_named_barrier, 0
	.set _ZL15flash_attn_tileILi256ELi256ELi1ELi4ELb0EEvPKcS1_S1_S1_S1_PKiPfP15HIP_vector_typeIfLj2EEffffjfiS5_IjLj3EEiiiiiiiiiiiliiliiiiil.private_seg_size, 0
	.set _ZL15flash_attn_tileILi256ELi256ELi1ELi4ELb0EEvPKcS1_S1_S1_S1_PKiPfP15HIP_vector_typeIfLj2EEffffjfiS5_IjLj3EEiiiiiiiiiiiliiliiiiil.uses_vcc, 1
	.set _ZL15flash_attn_tileILi256ELi256ELi1ELi4ELb0EEvPKcS1_S1_S1_S1_PKiPfP15HIP_vector_typeIfLj2EEffffjfiS5_IjLj3EEiiiiiiiiiiiliiliiiiil.uses_flat_scratch, 0
	.set _ZL15flash_attn_tileILi256ELi256ELi1ELi4ELb0EEvPKcS1_S1_S1_S1_PKiPfP15HIP_vector_typeIfLj2EEffffjfiS5_IjLj3EEiiiiiiiiiiiliiliiiiil.has_dyn_sized_stack, 0
	.set _ZL15flash_attn_tileILi256ELi256ELi1ELi4ELb0EEvPKcS1_S1_S1_S1_PKiPfP15HIP_vector_typeIfLj2EEffffjfiS5_IjLj3EEiiiiiiiiiiiliiliiiiil.has_recursion, 0
	.set _ZL15flash_attn_tileILi256ELi256ELi1ELi4ELb0EEvPKcS1_S1_S1_S1_PKiPfP15HIP_vector_typeIfLj2EEffffjfiS5_IjLj3EEiiiiiiiiiiiliiliiiiil.has_indirect_call, 0
	.section	.AMDGPU.csdata,"",@progbits
; Kernel info:
; codeLenInByte = 8888
; TotalNumSgprs: 47
; NumVgprs: 118
; NumAgprs: 0
; TotalNumVgprs: 118
; ScratchSize: 0
; MemoryBound: 0
; FloatMode: 240
; IeeeMode: 1
; LDSByteSize: 20000 bytes/workgroup (compile time only)
; SGPRBlocks: 5
; VGPRBlocks: 14
; NumSGPRsForWavesPerEU: 47
; NumVGPRsForWavesPerEU: 118
; AccumOffset: 120
; Occupancy: 4
; WaveLimiterHint : 1
; COMPUTE_PGM_RSRC2:SCRATCH_EN: 0
; COMPUTE_PGM_RSRC2:USER_SGPR: 2
; COMPUTE_PGM_RSRC2:TRAP_HANDLER: 0
; COMPUTE_PGM_RSRC2:TGID_X_EN: 1
; COMPUTE_PGM_RSRC2:TGID_Y_EN: 1
; COMPUTE_PGM_RSRC2:TGID_Z_EN: 1
; COMPUTE_PGM_RSRC2:TIDIG_COMP_CNT: 1
; COMPUTE_PGM_RSRC3_GFX90A:ACCUM_OFFSET: 29
; COMPUTE_PGM_RSRC3_GFX90A:TG_SPLIT: 0
	.section	.text._ZL33flash_attn_stream_k_fixup_uniformILi256ELi1ELi4EEvPfPK15HIP_vector_typeIfLj2EEiiiiiiS1_IjLj3EES5_S5_,"axG",@progbits,_ZL33flash_attn_stream_k_fixup_uniformILi256ELi1ELi4EEvPfPK15HIP_vector_typeIfLj2EEiiiiiiS1_IjLj3EES5_S5_,comdat
	.globl	_ZL33flash_attn_stream_k_fixup_uniformILi256ELi1ELi4EEvPfPK15HIP_vector_typeIfLj2EEiiiiiiS1_IjLj3EES5_S5_ ; -- Begin function _ZL33flash_attn_stream_k_fixup_uniformILi256ELi1ELi4EEvPfPK15HIP_vector_typeIfLj2EEiiiiiiS1_IjLj3EES5_S5_
	.p2align	8
	.type	_ZL33flash_attn_stream_k_fixup_uniformILi256ELi1ELi4EEvPfPK15HIP_vector_typeIfLj2EEiiiiiiS1_IjLj3EES5_S5_,@function
_ZL33flash_attn_stream_k_fixup_uniformILi256ELi1ELi4EEvPfPK15HIP_vector_typeIfLj2EEiiiiiiS1_IjLj3EES5_S5_: ; @_ZL33flash_attn_stream_k_fixup_uniformILi256ELi1ELi4EEvPfPK15HIP_vector_typeIfLj2EEiiiiiiS1_IjLj3EES5_S5_
; %bb.0:
	s_load_dwordx8 s[8:15], s[0:1], 0x1c
	s_load_dwordx2 s[6:7], s[0:1], 0x10
	s_load_dwordx4 s[16:19], s[0:1], 0x3c
	s_waitcnt lgkmcnt(0)
	s_mul_hi_u32 s5, s11, s2
	s_add_i32 s5, s2, s5
	s_lshr_b32 s5, s5, s12
	s_mul_i32 s11, s5, s13
	s_sub_i32 s12, s2, s11
	s_mul_hi_u32 s11, s12, s14
	s_add_i32 s11, s12, s11
	s_lshr_b32 s11, s11, s15
	s_mul_i32 s13, s11, s16
	s_sub_i32 s12, s12, s13
	;; [unrolled: 5-line block ×3, first 2 shown]
	s_lshl_b32 s16, s13, 2
	s_add_i32 s17, s17, s3
	s_cmp_lt_i32 s17, s6
	s_cselect_b64 s[12:13], -1, 0
	s_add_i32 s16, s16, s4
	s_cmp_lt_i32 s16, s9
	s_cselect_b64 s[14:15], -1, 0
	s_and_b64 s[12:13], s[12:13], s[14:15]
	s_andn2_b64 vcc, exec, s[12:13]
	s_cbranch_vccnz .LBB24_6
; %bb.1:
	s_load_dwordx4 s[12:15], s[0:1], 0x0
	s_mul_i32 s5, s5, s6
	s_mul_i32 s11, s11, s9
	s_add_i32 s0, s17, s5
	s_mul_i32 s0, s0, s7
	s_add_i32 s1, s16, s11
	s_add_i32 s1, s1, s0
	v_lshl_or_b32 v4, s1, 8, v0
	s_waitcnt lgkmcnt(0)
	v_mov_b32_e32 v2, s12
	v_mov_b32_e32 v3, s13
	v_ashrrev_i32_e32 v5, 31, v4
	v_lshl_add_u64 v[2:3], v[4:5], 2, v[2:3]
	global_load_dword v5, v[2:3], off
	s_mul_i32 s9, s10, s2
	s_add_i32 s5, s9, s10
	s_add_i32 s0, s3, s5
	s_lshl_b32 s0, s0, 2
	s_add_i32 s0, s0, s4
	s_add_i32 s0, s0, -4
	s_ashr_i32 s1, s0, 31
	s_lshl_b64 s[0:1], s[0:1], 3
	s_add_u32 s0, s14, s0
	s_addc_u32 s1, s15, s1
	s_load_dword s12, s[0:1], 0x4
	s_add_i32 s6, s5, -2
	s_cmp_lt_i32 s6, s9
	s_cbranch_scc1 .LBB24_4
; %bb.2:
	s_lshl_b32 s6, s8, 4
	s_ashr_i32 s7, s6, 31
	s_lshl_b64 s[6:7], s[6:7], 2
	s_add_u32 s6, s14, s6
	s_addc_u32 s7, s15, s7
	s_load_dword s0, s[0:1], 0x0
	s_add_i32 s2, s2, 1
	s_lshl_b32 s1, s4, 8
	s_add_i32 s8, s3, s8
	s_mul_i32 s2, s10, s2
	s_lshl_b32 s3, s3, 10
	s_add_i32 s8, s8, s5
	s_lshl_b32 s2, s2, 10
	s_add_i32 s1, s1, s3
	s_add_i32 s11, s5, -1
	s_lshl_b32 s5, s8, 2
	s_add_i32 s1, s1, s2
	s_add_i32 s4, s4, s5
	v_or_b32_e32 v0, s1, v0
	s_add_i32 s4, s4, -8
	v_add_u32_e32 v0, 0xfffff800, v0
	s_waitcnt lgkmcnt(0)
	v_mov_b32_e32 v7, s0
	v_mov_b32_e32 v4, s12
	s_mov_b32 s2, 0x3fb8aa3b
	s_mov_b32 s3, 0xc2ce8ed0
	;; [unrolled: 1-line block ×3, first 2 shown]
	v_mov_b32_e32 v6, 0x7f800000
	s_mov_b32 s10, 0xc1a00000
.LBB24_3:                               ; =>This Inner Loop Header: Depth=1
	v_ashrrev_i32_e32 v1, 31, v0
	v_lshl_add_u64 v[8:9], v[0:1], 2, s[6:7]
	global_load_dword v9, v[8:9], off
	s_ashr_i32 s5, s4, 31
	s_lshl_b64 s[0:1], s[4:5], 3
	s_add_u32 s0, s14, s0
	s_addc_u32 s1, s15, s1
	s_load_dwordx2 s[0:1], s[0:1], 0x0
	v_max_f32_e32 v1, v7, v7
	s_add_i32 s11, s11, -1
	s_add_i32 s4, s4, -4
	v_add_u32_e32 v0, 0xfffffc00, v0
	s_waitcnt lgkmcnt(0)
	v_max_f32_e64 v10, s0, s0
	v_max_f32_e32 v1, v1, v10
	v_sub_f32_e32 v11, s0, v1
	v_sub_f32_e32 v10, v7, v1
	v_mul_f32_e32 v12, 0x3fb8aa3b, v11
	v_mov_b32_e32 v7, v1
	v_mul_f32_e32 v1, 0x3fb8aa3b, v10
	v_fma_f32 v15, v11, s2, -v12
	v_rndne_f32_e32 v16, v12
	v_fma_f32 v13, v10, s2, -v1
	v_rndne_f32_e32 v14, v1
	v_fmac_f32_e32 v15, 0x32a5705f, v11
	v_sub_f32_e32 v12, v12, v16
	v_fmac_f32_e32 v13, 0x32a5705f, v10
	v_sub_f32_e32 v1, v1, v14
	v_add_f32_e32 v12, v12, v15
	v_cvt_i32_f32_e32 v16, v16
	v_add_f32_e32 v1, v1, v13
	v_exp_f32_e32 v12, v12
	v_cvt_i32_f32_e32 v14, v14
	v_exp_f32_e32 v1, v1
	v_cmp_ngt_f32_e32 vcc, s3, v11
	v_ldexp_f32 v12, v12, v16
	v_mov_b32_e32 v8, s1
	v_ldexp_f32 v1, v1, v14
	v_cmp_ngt_f32_e64 s[0:1], s3, v10
	v_cndmask_b32_e32 v12, 0, v12, vcc
	v_cmp_nlt_f32_e32 vcc, s8, v11
	v_cndmask_b32_e64 v1, 0, v1, s[0:1]
	v_cmp_nlt_f32_e64 s[0:1], s8, v10
	v_cndmask_b32_e32 v12, v6, v12, vcc
	v_cmp_le_f32_e32 vcc, s10, v11
	v_cndmask_b32_e64 v1, v6, v1, s[0:1]
	v_cmp_le_f32_e64 s[0:1], s10, v10
	v_cndmask_b32_e32 v12, 0, v12, vcc
	s_cmp_le_i32 s11, s9
	v_cndmask_b32_e64 v10, 0, v1, s[0:1]
	s_waitcnt vmcnt(0)
	v_pk_mul_f32 v[8:9], v[8:9], v[12:13] op_sel_hi:[1,0]
	s_nop 0
	v_pk_fma_f32 v[4:5], v[4:5], v[10:11], v[8:9] op_sel_hi:[1,0,1]
	s_cbranch_scc0 .LBB24_3
	s_branch .LBB24_5
.LBB24_4:
	s_waitcnt lgkmcnt(0)
	v_mov_b32_e32 v4, s12
.LBB24_5:
	s_waitcnt vmcnt(0)
	v_div_scale_f32 v0, s[0:1], v4, v4, v5
	v_rcp_f32_e32 v1, v0
	v_div_scale_f32 v6, vcc, v5, v4, v5
	v_fma_f32 v7, -v0, v1, 1.0
	v_fmac_f32_e32 v1, v7, v1
	v_mul_f32_e32 v7, v6, v1
	v_fma_f32 v8, -v0, v7, v6
	v_fmac_f32_e32 v7, v8, v1
	v_fma_f32 v0, -v0, v7, v6
	v_div_fmas_f32 v0, v0, v1, v7
	v_div_fixup_f32 v0, v0, v4, v5
	global_store_dword v[2:3], v0, off
.LBB24_6:
	s_endpgm
	.section	.rodata,"a",@progbits
	.p2align	6, 0x0
	.amdhsa_kernel _ZL33flash_attn_stream_k_fixup_uniformILi256ELi1ELi4EEvPfPK15HIP_vector_typeIfLj2EEiiiiiiS1_IjLj3EES5_S5_
		.amdhsa_group_segment_fixed_size 0
		.amdhsa_private_segment_fixed_size 0
		.amdhsa_kernarg_size 76
		.amdhsa_user_sgpr_count 2
		.amdhsa_user_sgpr_dispatch_ptr 0
		.amdhsa_user_sgpr_queue_ptr 0
		.amdhsa_user_sgpr_kernarg_segment_ptr 1
		.amdhsa_user_sgpr_dispatch_id 0
		.amdhsa_user_sgpr_kernarg_preload_length 0
		.amdhsa_user_sgpr_kernarg_preload_offset 0
		.amdhsa_user_sgpr_private_segment_size 0
		.amdhsa_uses_dynamic_stack 0
		.amdhsa_enable_private_segment 0
		.amdhsa_system_sgpr_workgroup_id_x 1
		.amdhsa_system_sgpr_workgroup_id_y 1
		.amdhsa_system_sgpr_workgroup_id_z 1
		.amdhsa_system_sgpr_workgroup_info 0
		.amdhsa_system_vgpr_workitem_id 0
		.amdhsa_next_free_vgpr 17
		.amdhsa_next_free_sgpr 20
		.amdhsa_accum_offset 20
		.amdhsa_reserve_vcc 1
		.amdhsa_float_round_mode_32 0
		.amdhsa_float_round_mode_16_64 0
		.amdhsa_float_denorm_mode_32 3
		.amdhsa_float_denorm_mode_16_64 3
		.amdhsa_dx10_clamp 1
		.amdhsa_ieee_mode 1
		.amdhsa_fp16_overflow 0
		.amdhsa_tg_split 0
		.amdhsa_exception_fp_ieee_invalid_op 0
		.amdhsa_exception_fp_denorm_src 0
		.amdhsa_exception_fp_ieee_div_zero 0
		.amdhsa_exception_fp_ieee_overflow 0
		.amdhsa_exception_fp_ieee_underflow 0
		.amdhsa_exception_fp_ieee_inexact 0
		.amdhsa_exception_int_div_zero 0
	.end_amdhsa_kernel
	.section	.text._ZL33flash_attn_stream_k_fixup_uniformILi256ELi1ELi4EEvPfPK15HIP_vector_typeIfLj2EEiiiiiiS1_IjLj3EES5_S5_,"axG",@progbits,_ZL33flash_attn_stream_k_fixup_uniformILi256ELi1ELi4EEvPfPK15HIP_vector_typeIfLj2EEiiiiiiS1_IjLj3EES5_S5_,comdat
.Lfunc_end24:
	.size	_ZL33flash_attn_stream_k_fixup_uniformILi256ELi1ELi4EEvPfPK15HIP_vector_typeIfLj2EEiiiiiiS1_IjLj3EES5_S5_, .Lfunc_end24-_ZL33flash_attn_stream_k_fixup_uniformILi256ELi1ELi4EEvPfPK15HIP_vector_typeIfLj2EEiiiiiiS1_IjLj3EES5_S5_
                                        ; -- End function
	.set _ZL33flash_attn_stream_k_fixup_uniformILi256ELi1ELi4EEvPfPK15HIP_vector_typeIfLj2EEiiiiiiS1_IjLj3EES5_S5_.num_vgpr, 17
	.set _ZL33flash_attn_stream_k_fixup_uniformILi256ELi1ELi4EEvPfPK15HIP_vector_typeIfLj2EEiiiiiiS1_IjLj3EES5_S5_.num_agpr, 0
	.set _ZL33flash_attn_stream_k_fixup_uniformILi256ELi1ELi4EEvPfPK15HIP_vector_typeIfLj2EEiiiiiiS1_IjLj3EES5_S5_.numbered_sgpr, 20
	.set _ZL33flash_attn_stream_k_fixup_uniformILi256ELi1ELi4EEvPfPK15HIP_vector_typeIfLj2EEiiiiiiS1_IjLj3EES5_S5_.num_named_barrier, 0
	.set _ZL33flash_attn_stream_k_fixup_uniformILi256ELi1ELi4EEvPfPK15HIP_vector_typeIfLj2EEiiiiiiS1_IjLj3EES5_S5_.private_seg_size, 0
	.set _ZL33flash_attn_stream_k_fixup_uniformILi256ELi1ELi4EEvPfPK15HIP_vector_typeIfLj2EEiiiiiiS1_IjLj3EES5_S5_.uses_vcc, 1
	.set _ZL33flash_attn_stream_k_fixup_uniformILi256ELi1ELi4EEvPfPK15HIP_vector_typeIfLj2EEiiiiiiS1_IjLj3EES5_S5_.uses_flat_scratch, 0
	.set _ZL33flash_attn_stream_k_fixup_uniformILi256ELi1ELi4EEvPfPK15HIP_vector_typeIfLj2EEiiiiiiS1_IjLj3EES5_S5_.has_dyn_sized_stack, 0
	.set _ZL33flash_attn_stream_k_fixup_uniformILi256ELi1ELi4EEvPfPK15HIP_vector_typeIfLj2EEiiiiiiS1_IjLj3EES5_S5_.has_recursion, 0
	.set _ZL33flash_attn_stream_k_fixup_uniformILi256ELi1ELi4EEvPfPK15HIP_vector_typeIfLj2EEiiiiiiS1_IjLj3EES5_S5_.has_indirect_call, 0
	.section	.AMDGPU.csdata,"",@progbits
; Kernel info:
; codeLenInByte = 808
; TotalNumSgprs: 26
; NumVgprs: 17
; NumAgprs: 0
; TotalNumVgprs: 17
; ScratchSize: 0
; MemoryBound: 0
; FloatMode: 240
; IeeeMode: 1
; LDSByteSize: 0 bytes/workgroup (compile time only)
; SGPRBlocks: 3
; VGPRBlocks: 2
; NumSGPRsForWavesPerEU: 26
; NumVGPRsForWavesPerEU: 17
; AccumOffset: 20
; Occupancy: 8
; WaveLimiterHint : 0
; COMPUTE_PGM_RSRC2:SCRATCH_EN: 0
; COMPUTE_PGM_RSRC2:USER_SGPR: 2
; COMPUTE_PGM_RSRC2:TRAP_HANDLER: 0
; COMPUTE_PGM_RSRC2:TGID_X_EN: 1
; COMPUTE_PGM_RSRC2:TGID_Y_EN: 1
; COMPUTE_PGM_RSRC2:TGID_Z_EN: 1
; COMPUTE_PGM_RSRC2:TIDIG_COMP_CNT: 0
; COMPUTE_PGM_RSRC3_GFX90A:ACCUM_OFFSET: 4
; COMPUTE_PGM_RSRC3_GFX90A:TG_SPLIT: 0
	.section	.text._ZL33flash_attn_stream_k_fixup_generalILi256ELi1ELi4EEvPfPK15HIP_vector_typeIfLj2EEiiiiS1_IjLj3EES5_S5_S5_,"axG",@progbits,_ZL33flash_attn_stream_k_fixup_generalILi256ELi1ELi4EEvPfPK15HIP_vector_typeIfLj2EEiiiiS1_IjLj3EES5_S5_S5_,comdat
	.globl	_ZL33flash_attn_stream_k_fixup_generalILi256ELi1ELi4EEvPfPK15HIP_vector_typeIfLj2EEiiiiS1_IjLj3EES5_S5_S5_ ; -- Begin function _ZL33flash_attn_stream_k_fixup_generalILi256ELi1ELi4EEvPfPK15HIP_vector_typeIfLj2EEiiiiS1_IjLj3EES5_S5_S5_
	.p2align	8
	.type	_ZL33flash_attn_stream_k_fixup_generalILi256ELi1ELi4EEvPfPK15HIP_vector_typeIfLj2EEiiiiS1_IjLj3EES5_S5_S5_,@function
_ZL33flash_attn_stream_k_fixup_generalILi256ELi1ELi4EEvPfPK15HIP_vector_typeIfLj2EEiiiiS1_IjLj3EES5_S5_S5_: ; @_ZL33flash_attn_stream_k_fixup_generalILi256ELi1ELi4EEvPfPK15HIP_vector_typeIfLj2EEiiiiS1_IjLj3EES5_S5_S5_
; %bb.0:
	s_load_dwordx4 s[8:11], s[0:1], 0x10
	s_load_dword s5, s[0:1], 0x50
	s_mov_b32 s12, 0
	s_waitcnt lgkmcnt(0)
	s_mul_hi_i32 s13, s11, s2
	s_cmp_lg_u64 s[12:13], 0
	s_mul_i32 s18, s11, s2
	s_cbranch_scc0 .LBB25_20
; %bb.1:
	s_add_u32 s6, s5, 0
	s_addc_u32 s7, 0, 0
	s_xor_b64 s[6:7], s[6:7], 0
	v_cvt_f32_u32_e32 v1, s6
	v_cvt_f32_u32_e32 v2, s7
	s_sub_u32 s12, 0, s6
	s_subb_u32 s19, 0, s7
	v_fmamk_f32 v1, v2, 0x4f800000, v1
	v_rcp_f32_e32 v1, v1
	s_nop 0
	v_mul_f32_e32 v1, 0x5f7ffffc, v1
	v_mul_f32_e32 v2, 0x2f800000, v1
	v_trunc_f32_e32 v2, v2
	v_fmamk_f32 v1, v2, 0xcf800000, v1
	v_cvt_u32_f32_e32 v2, v2
	v_cvt_u32_f32_e32 v1, v1
	v_readfirstlane_b32 s20, v2
	v_readfirstlane_b32 s14, v1
	s_mul_i32 s15, s12, s20
	s_mul_hi_u32 s22, s12, s14
	s_mul_i32 s21, s19, s14
	s_add_i32 s15, s22, s15
	s_add_i32 s15, s15, s21
	s_mul_i32 s23, s12, s14
	s_mul_i32 s22, s14, s15
	s_mul_hi_u32 s24, s14, s23
	s_mul_hi_u32 s21, s14, s15
	s_add_u32 s22, s24, s22
	s_addc_u32 s21, 0, s21
	s_mul_hi_u32 s25, s20, s23
	s_mul_i32 s23, s20, s23
	s_add_u32 s22, s22, s23
	s_mul_hi_u32 s24, s20, s15
	s_addc_u32 s21, s21, s25
	s_addc_u32 s22, s24, 0
	s_mul_i32 s15, s20, s15
	s_add_u32 s15, s21, s15
	s_addc_u32 s21, 0, s22
	s_add_u32 s22, s14, s15
	s_cselect_b64 s[14:15], -1, 0
	s_cmp_lg_u64 s[14:15], 0
	s_addc_u32 s20, s20, s21
	s_mul_i32 s14, s12, s20
	s_mul_hi_u32 s15, s12, s22
	s_add_i32 s14, s15, s14
	s_mul_i32 s19, s19, s22
	s_add_i32 s14, s14, s19
	s_mul_i32 s12, s12, s22
	s_mul_hi_u32 s19, s20, s12
	s_mul_i32 s21, s20, s12
	s_mul_i32 s24, s22, s14
	s_mul_hi_u32 s12, s22, s12
	s_mul_hi_u32 s23, s22, s14
	s_add_u32 s12, s12, s24
	s_addc_u32 s23, 0, s23
	s_add_u32 s12, s12, s21
	s_mul_hi_u32 s15, s20, s14
	s_addc_u32 s12, s23, s19
	s_addc_u32 s15, s15, 0
	s_mul_i32 s14, s20, s14
	s_add_u32 s12, s12, s14
	s_addc_u32 s19, 0, s15
	s_add_u32 s21, s22, s12
	s_cselect_b64 s[14:15], -1, 0
	s_cmp_lg_u64 s[14:15], 0
	s_addc_u32 s19, s20, s19
	s_ashr_i32 s14, s13, 31
	s_add_u32 s12, s18, s14
	s_mov_b32 s15, s14
	s_addc_u32 s13, s13, s14
	s_xor_b64 s[12:13], s[12:13], s[14:15]
	s_mul_i32 s22, s12, s19
	s_mul_hi_u32 s23, s12, s21
	s_mul_hi_u32 s20, s12, s19
	s_add_u32 s22, s23, s22
	s_addc_u32 s20, 0, s20
	s_mul_hi_u32 s24, s13, s21
	s_mul_i32 s21, s13, s21
	s_add_u32 s21, s22, s21
	s_mul_hi_u32 s23, s13, s19
	s_addc_u32 s20, s20, s24
	s_addc_u32 s21, s23, 0
	s_mul_i32 s19, s13, s19
	s_add_u32 s19, s20, s19
	s_addc_u32 s24, 0, s21
	s_mul_i32 s20, s6, s24
	s_mul_hi_u32 s21, s6, s19
	s_add_i32 s20, s21, s20
	s_mul_i32 s21, s7, s19
	s_add_i32 s25, s20, s21
	s_sub_i32 s22, s13, s25
	s_mul_i32 s20, s6, s19
	s_sub_u32 s12, s12, s20
	s_cselect_b64 s[20:21], -1, 0
	s_cmp_lg_u64 s[20:21], 0
	s_subb_u32 s26, s22, s7
	s_sub_u32 s27, s12, s6
	s_cselect_b64 s[22:23], -1, 0
	s_cmp_lg_u64 s[22:23], 0
	s_subb_u32 s22, s26, 0
	s_cmp_ge_u32 s22, s7
	s_cselect_b32 s23, -1, 0
	s_cmp_ge_u32 s27, s6
	s_cselect_b32 s26, -1, 0
	s_cmp_eq_u32 s22, s7
	s_cselect_b32 s22, s26, s23
	s_add_u32 s23, s19, 1
	s_addc_u32 s26, s24, 0
	s_add_u32 s27, s19, 2
	s_addc_u32 s28, s24, 0
	s_cmp_lg_u32 s22, 0
	s_cselect_b32 s22, s27, s23
	s_cselect_b32 s23, s28, s26
	s_cmp_lg_u64 s[20:21], 0
	s_subb_u32 s13, s13, s25
	s_cmp_ge_u32 s13, s7
	s_cselect_b32 s20, -1, 0
	s_cmp_ge_u32 s12, s6
	s_cselect_b32 s6, -1, 0
	s_cmp_eq_u32 s13, s7
	s_cselect_b32 s6, s6, s20
	s_cmp_lg_u32 s6, 0
	s_cselect_b32 s7, s23, s24
	s_cselect_b32 s6, s22, s19
	s_xor_b64 s[12:13], s[14:15], 0
	s_xor_b64 s[6:7], s[6:7], s[12:13]
	s_sub_u32 s6, s6, s12
	s_load_dwordx4 s[12:15], s[0:1], 0x44
	s_cbranch_execnz .LBB25_3
.LBB25_2:
	v_cvt_f32_u32_e32 v1, s5
	s_sub_i32 s6, 0, s5
	v_rcp_iflag_f32_e32 v1, v1
	s_nop 0
	v_mul_f32_e32 v1, 0x4f7ffffe, v1
	v_cvt_u32_f32_e32 v1, v1
	s_nop 0
	v_readfirstlane_b32 s7, v1
	s_mul_i32 s6, s6, s7
	s_mul_hi_u32 s6, s7, s6
	s_add_i32 s7, s7, s6
	s_mul_hi_u32 s6, s18, s7
	s_waitcnt lgkmcnt(0)
	s_mul_i32 s15, s6, s5
	s_sub_i32 s15, s18, s15
	s_add_i32 s7, s6, 1
	s_sub_i32 s16, s15, s5
	s_cmp_ge_u32 s15, s5
	s_cselect_b32 s6, s7, s6
	s_cselect_b32 s15, s16, s15
	s_add_i32 s7, s6, 1
	s_cmp_ge_u32 s15, s5
	s_cselect_b32 s6, s7, s6
.LBB25_3:
	s_add_i32 s7, s2, 1
	s_mul_hi_i32 s21, s11, s7
	s_mov_b32 s20, 0
	s_cmp_lg_u64 s[20:21], 0
	s_mul_i32 s7, s11, s7
	s_cbranch_scc0 .LBB25_21
; %bb.4:
	s_add_u32 s16, s5, 0
	s_addc_u32 s17, 0, 0
	s_xor_b64 s[18:19], s[16:17], 0
	v_cvt_f32_u32_e32 v1, s18
	v_cvt_f32_u32_e32 v2, s19
	s_waitcnt lgkmcnt(0)
	s_sub_u32 s15, 0, s18
	s_subb_u32 s20, 0, s19
	v_fmamk_f32 v1, v2, 0x4f800000, v1
	v_rcp_f32_e32 v1, v1
	s_nop 0
	v_mul_f32_e32 v1, 0x5f7ffffc, v1
	v_mul_f32_e32 v2, 0x2f800000, v1
	v_trunc_f32_e32 v2, v2
	v_fmamk_f32 v1, v2, 0xcf800000, v1
	v_cvt_u32_f32_e32 v2, v2
	v_cvt_u32_f32_e32 v1, v1
	v_readfirstlane_b32 s24, v2
	v_readfirstlane_b32 s22, v1
	s_mul_i32 s23, s15, s24
	s_mul_hi_u32 s26, s15, s22
	s_mul_i32 s25, s20, s22
	s_add_i32 s23, s26, s23
	s_add_i32 s23, s23, s25
	s_mul_i32 s27, s15, s22
	s_mul_i32 s26, s22, s23
	s_mul_hi_u32 s28, s22, s27
	s_mul_hi_u32 s25, s22, s23
	s_add_u32 s26, s28, s26
	s_addc_u32 s25, 0, s25
	s_mul_hi_u32 s29, s24, s27
	s_mul_i32 s27, s24, s27
	s_add_u32 s26, s26, s27
	s_mul_hi_u32 s28, s24, s23
	s_addc_u32 s25, s25, s29
	s_addc_u32 s26, s28, 0
	s_mul_i32 s23, s24, s23
	s_add_u32 s23, s25, s23
	s_addc_u32 s25, 0, s26
	s_add_u32 s26, s22, s23
	s_cselect_b64 s[22:23], -1, 0
	s_cmp_lg_u64 s[22:23], 0
	s_addc_u32 s24, s24, s25
	s_mul_i32 s22, s15, s24
	s_mul_hi_u32 s23, s15, s26
	s_add_i32 s22, s23, s22
	s_mul_i32 s20, s20, s26
	s_add_i32 s22, s22, s20
	s_mul_i32 s15, s15, s26
	s_mul_hi_u32 s23, s24, s15
	s_mul_i32 s25, s24, s15
	s_mul_i32 s28, s26, s22
	s_mul_hi_u32 s15, s26, s15
	s_mul_hi_u32 s27, s26, s22
	s_add_u32 s15, s15, s28
	s_addc_u32 s27, 0, s27
	s_add_u32 s15, s15, s25
	s_mul_hi_u32 s20, s24, s22
	s_addc_u32 s15, s27, s23
	s_addc_u32 s20, s20, 0
	s_mul_i32 s22, s24, s22
	s_add_u32 s15, s15, s22
	s_addc_u32 s20, 0, s20
	s_add_u32 s15, s26, s15
	s_cselect_b64 s[22:23], -1, 0
	s_cmp_lg_u64 s[22:23], 0
	s_addc_u32 s24, s24, s20
	s_ashr_i32 s22, s21, 31
	s_add_u32 s20, s7, s22
	s_mov_b32 s23, s22
	s_addc_u32 s21, s21, s22
	s_xor_b64 s[20:21], s[20:21], s[22:23]
	s_mul_i32 s26, s20, s24
	s_mul_hi_u32 s27, s20, s15
	s_mul_hi_u32 s25, s20, s24
	s_add_u32 s26, s27, s26
	s_addc_u32 s25, 0, s25
	s_mul_hi_u32 s28, s21, s15
	s_mul_i32 s15, s21, s15
	s_add_u32 s15, s26, s15
	s_mul_hi_u32 s27, s21, s24
	s_addc_u32 s15, s25, s28
	s_addc_u32 s25, s27, 0
	s_mul_i32 s24, s21, s24
	s_add_u32 s15, s15, s24
	s_addc_u32 s28, 0, s25
	s_mul_i32 s24, s18, s28
	s_mul_hi_u32 s25, s18, s15
	s_add_i32 s24, s25, s24
	s_mul_i32 s25, s19, s15
	s_add_i32 s29, s24, s25
	s_sub_i32 s26, s21, s29
	s_mul_i32 s24, s18, s15
	s_sub_u32 s20, s20, s24
	s_cselect_b64 s[24:25], -1, 0
	s_cmp_lg_u64 s[24:25], 0
	s_subb_u32 s30, s26, s19
	s_sub_u32 s31, s20, s18
	s_cselect_b64 s[26:27], -1, 0
	s_cmp_lg_u64 s[26:27], 0
	s_subb_u32 s26, s30, 0
	s_cmp_ge_u32 s26, s19
	s_cselect_b32 s27, -1, 0
	s_cmp_ge_u32 s31, s18
	s_cselect_b32 s30, -1, 0
	s_cmp_eq_u32 s26, s19
	s_cselect_b32 s26, s30, s27
	s_add_u32 s27, s15, 1
	s_addc_u32 s30, s28, 0
	s_add_u32 s31, s15, 2
	s_addc_u32 s33, s28, 0
	s_cmp_lg_u32 s26, 0
	s_cselect_b32 s26, s31, s27
	s_cselect_b32 s27, s33, s30
	s_cmp_lg_u64 s[24:25], 0
	s_subb_u32 s21, s21, s29
	s_cmp_ge_u32 s21, s19
	s_cselect_b32 s24, -1, 0
	s_cmp_ge_u32 s20, s18
	s_cselect_b32 s18, -1, 0
	s_cmp_eq_u32 s21, s19
	s_cselect_b32 s18, s18, s24
	s_cmp_lg_u32 s18, 0
	s_cselect_b32 s19, s27, s28
	s_cselect_b32 s18, s26, s15
	s_xor_b64 s[20:21], s[22:23], 0
	s_xor_b64 s[18:19], s[18:19], s[20:21]
	s_sub_u32 s18, s18, s20
	s_cbranch_execnz .LBB25_6
.LBB25_5:
	v_cvt_f32_u32_e32 v1, s5
	s_waitcnt lgkmcnt(0)
	s_sub_i32 s15, 0, s5
	v_rcp_iflag_f32_e32 v1, v1
	s_nop 0
	v_mul_f32_e32 v1, 0x4f7ffffe, v1
	v_cvt_u32_f32_e32 v1, v1
	s_nop 0
	v_readfirstlane_b32 s16, v1
	s_mul_i32 s15, s15, s16
	s_mul_hi_u32 s15, s16, s15
	s_add_i32 s16, s16, s15
	s_mul_hi_u32 s15, s7, s16
	s_mul_i32 s17, s15, s5
	s_sub_i32 s7, s7, s17
	s_add_i32 s16, s15, 1
	s_sub_i32 s17, s7, s5
	s_cmp_ge_u32 s7, s5
	s_cselect_b32 s15, s16, s15
	s_cselect_b32 s7, s17, s7
	s_add_i32 s16, s15, 1
	s_cmp_ge_u32 s7, s5
	s_cselect_b32 s18, s16, s15
.LBB25_6:
	s_cmp_eq_u32 s6, s18
	s_waitcnt lgkmcnt(0)
	s_mul_hi_u32 s7, s6, s12
	s_cselect_b64 s[16:17], -1, 0
	s_add_i32 s7, s7, s6
	s_lshr_b32 s7, s7, s13
	s_mul_i32 s15, s7, s14
	s_cmp_eq_u32 s15, s6
	s_mul_hi_u32 s15, s18, s12
	s_cselect_b64 s[20:21], -1, 0
	s_add_i32 s15, s15, s18
	s_lshr_b32 s15, s15, s13
	s_cmp_eq_u32 s7, s15
	s_mul_i32 s15, s15, s14
	s_cselect_b64 s[22:23], -1, 0
	s_cmp_lg_u32 s15, s18
	s_cselect_b64 s[18:19], -1, 0
	s_and_b64 s[18:19], s[22:23], s[18:19]
	s_or_b64 s[16:17], s[16:17], s[20:21]
	s_or_b64 s[16:17], s[16:17], s[18:19]
	s_and_b64 vcc, exec, s[16:17]
	s_cbranch_vccnz .LBB25_23
; %bb.7:
	s_load_dwordx8 s[16:23], s[0:1], 0x20
	s_load_dword s24, s[0:1], 0x40
	s_waitcnt lgkmcnt(0)
	s_mul_hi_u32 s15, s6, s16
	s_add_i32 s15, s15, s6
	s_lshr_b32 s15, s15, s17
	s_mul_i32 s16, s15, s18
	s_sub_i32 s16, s6, s16
	s_mul_hi_u32 s17, s16, s19
	s_add_i32 s17, s16, s17
	s_lshr_b32 s20, s17, s20
	s_mul_i32 s17, s20, s21
	s_sub_i32 s16, s16, s17
	;; [unrolled: 5-line block ×3, first 2 shown]
	s_lshl_b32 s22, s17, 2
	s_mul_hi_u32 s17, s16, s12
	s_add_i32 s16, s16, s17
	s_lshr_b32 s21, s16, s13
	s_add_i32 s21, s21, s3
	s_cmp_lt_i32 s21, s8
	s_cselect_b64 s[16:17], -1, 0
	s_add_i32 s22, s22, s4
	s_cmp_lt_i32 s22, s10
	s_cselect_b64 s[18:19], -1, 0
	s_and_b64 s[16:17], s[16:17], s[18:19]
	s_andn2_b64 vcc, exec, s[16:17]
	s_cbranch_vccnz .LBB25_23
; %bb.8:
	s_load_dwordx4 s[16:19], s[0:1], 0x0
	s_mov_b32 s0, 0
	s_lshl_b32 s24, s5, 4
	s_mov_b32 s25, s0
	s_mul_i32 s15, s15, s8
	s_waitcnt lgkmcnt(0)
	v_mov_b32_e32 v2, s16
	v_mov_b32_e32 v3, s17
	s_lshl_b64 s[16:17], s[24:25], 2
	s_add_u32 s16, s18, s16
	s_addc_u32 s17, s19, s17
	s_mul_i32 s20, s20, s10
	s_add_i32 s1, s21, s15
	s_mul_i32 s1, s1, s9
	s_add_i32 s8, s22, s20
	s_add_i32 s8, s8, s1
	v_lshl_or_b32 v4, s8, 8, v0
	v_ashrrev_i32_e32 v5, 31, v4
	v_lshl_add_u64 v[2:3], v[4:5], 2, v[2:3]
	global_load_dword v1, v[2:3], off
	s_add_i32 s1, s3, s2
	v_cvt_f32_u32_e32 v4, s5
	s_lshl_b32 s1, s1, 2
	s_add_i32 s8, s1, s4
	s_ashr_i32 s9, s8, 31
	s_lshl_b64 s[8:9], s[8:9], 3
	v_rcp_iflag_f32_e32 v4, v4
	s_add_u32 s8, s18, s8
	s_addc_u32 s9, s19, s9
	s_load_dwordx2 s[8:9], s[8:9], 0x0
	v_mul_f32_e32 v4, 0x4f7ffffe, v4
	v_cvt_u32_f32_e32 v7, v4
	s_add_i32 s25, s2, -1
	v_lshl_or_b32 v6, s4, 8, v0
	s_waitcnt lgkmcnt(0)
	v_mov_b32_e32 v0, s9
	v_mov_b32_e32 v9, s8
	s_mov_b32 s2, 0x3fb8aa3b
	s_mov_b32 s10, 0xc2ce8ed0
	s_mov_b32 s15, 0x42b17218
	s_mov_b32 s24, 0xc1a00000
	v_mov_b32_e32 v8, 0x7f800000
	s_mul_hi_i32 s1, s25, s11
	s_cmp_lg_u64 s[0:1], 0
	s_mul_i32 s22, s25, s11
	s_cbranch_scc0 .LBB25_19
.LBB25_9:
	s_add_u32 s8, s5, 0
	s_addc_u32 s9, 0, 0
	s_xor_b64 s[8:9], s[8:9], 0
	v_cvt_f32_u32_e32 v4, s8
	v_cvt_f32_u32_e32 v5, s9
	s_sub_u32 s23, 0, s8
	s_subb_u32 s26, 0, s9
	v_fmac_f32_e32 v4, 0x4f800000, v5
	v_rcp_f32_e32 v4, v4
	s_nop 0
	v_mul_f32_e32 v4, 0x5f7ffffc, v4
	v_mul_f32_e32 v5, 0x2f800000, v4
	v_trunc_f32_e32 v5, v5
	v_fmac_f32_e32 v4, 0xcf800000, v5
	v_cvt_u32_f32_e32 v5, v5
	v_cvt_u32_f32_e32 v4, v4
	v_readfirstlane_b32 s27, v5
	v_readfirstlane_b32 s20, v4
	s_mul_i32 s21, s23, s27
	s_mul_hi_u32 s29, s23, s20
	s_mul_i32 s28, s26, s20
	s_add_i32 s21, s29, s21
	s_mul_i32 s30, s23, s20
	s_add_i32 s21, s21, s28
	s_mul_i32 s29, s20, s21
	s_mul_hi_u32 s31, s20, s30
	s_mul_hi_u32 s28, s20, s21
	s_add_u32 s29, s31, s29
	s_addc_u32 s28, 0, s28
	s_mul_hi_u32 s33, s27, s30
	s_mul_i32 s30, s27, s30
	s_add_u32 s29, s29, s30
	s_mul_hi_u32 s31, s27, s21
	s_addc_u32 s28, s28, s33
	s_addc_u32 s29, s31, 0
	s_mul_i32 s21, s27, s21
	s_add_u32 s21, s28, s21
	s_addc_u32 s28, 0, s29
	s_add_u32 s29, s20, s21
	s_cselect_b64 s[20:21], -1, 0
	s_cmp_lg_u64 s[20:21], 0
	s_addc_u32 s27, s27, s28
	s_mul_i32 s20, s23, s27
	s_mul_hi_u32 s21, s23, s29
	s_add_i32 s20, s21, s20
	s_mul_i32 s26, s26, s29
	s_add_i32 s20, s20, s26
	s_mul_i32 s23, s23, s29
	s_mul_hi_u32 s26, s27, s23
	s_mul_i32 s28, s27, s23
	s_mul_i32 s31, s29, s20
	s_mul_hi_u32 s23, s29, s23
	s_mul_hi_u32 s30, s29, s20
	s_add_u32 s23, s23, s31
	s_addc_u32 s30, 0, s30
	s_add_u32 s23, s23, s28
	s_mul_hi_u32 s21, s27, s20
	s_addc_u32 s23, s30, s26
	s_addc_u32 s21, s21, 0
	s_mul_i32 s20, s27, s20
	s_add_u32 s20, s23, s20
	s_addc_u32 s23, 0, s21
	s_add_u32 s28, s29, s20
	s_cselect_b64 s[20:21], -1, 0
	s_cmp_lg_u64 s[20:21], 0
	s_addc_u32 s23, s27, s23
	s_ashr_i32 s20, s1, 31
	s_add_u32 s26, s22, s20
	s_mov_b32 s21, s20
	s_addc_u32 s27, s1, s20
	s_xor_b64 s[26:27], s[26:27], s[20:21]
	s_mul_i32 s29, s26, s23
	s_mul_hi_u32 s30, s26, s28
	s_mul_hi_u32 s1, s26, s23
	s_add_u32 s29, s30, s29
	s_addc_u32 s1, 0, s1
	s_mul_hi_u32 s31, s27, s28
	s_mul_i32 s28, s27, s28
	s_add_u32 s28, s29, s28
	s_mul_hi_u32 s30, s27, s23
	s_addc_u32 s1, s1, s31
	s_addc_u32 s28, s30, 0
	s_mul_i32 s23, s27, s23
	s_add_u32 s1, s1, s23
	s_addc_u32 s23, 0, s28
	s_mul_i32 s28, s8, s23
	s_mul_hi_u32 s29, s8, s1
	s_add_i32 s28, s29, s28
	s_mul_i32 s29, s9, s1
	s_add_i32 s33, s28, s29
	s_sub_i32 s30, s27, s33
	s_mul_i32 s28, s8, s1
	s_sub_u32 s26, s26, s28
	s_cselect_b64 s[28:29], -1, 0
	s_cmp_lg_u64 s[28:29], 0
	s_subb_u32 s34, s30, s9
	s_sub_u32 s35, s26, s8
	s_cselect_b64 s[30:31], -1, 0
	s_cmp_lg_u64 s[30:31], 0
	s_subb_u32 s30, s34, 0
	s_cmp_ge_u32 s30, s9
	s_cselect_b32 s31, -1, 0
	s_cmp_ge_u32 s35, s8
	s_cselect_b32 s34, -1, 0
	s_cmp_eq_u32 s30, s9
	s_cselect_b32 s30, s34, s31
	s_add_u32 s31, s1, 1
	s_addc_u32 s34, s23, 0
	s_add_u32 s35, s1, 2
	s_addc_u32 s36, s23, 0
	s_cmp_lg_u32 s30, 0
	s_cselect_b32 s30, s35, s31
	s_cselect_b32 s31, s36, s34
	s_cmp_lg_u64 s[28:29], 0
	s_subb_u32 s27, s27, s33
	s_cmp_ge_u32 s27, s9
	s_cselect_b32 s28, -1, 0
	s_cmp_ge_u32 s26, s8
	s_cselect_b32 s8, -1, 0
	s_cmp_eq_u32 s27, s9
	s_cselect_b32 s8, s8, s28
	s_cmp_lg_u32 s8, 0
	s_cselect_b32 s9, s31, s23
	s_cselect_b32 s8, s30, s1
	s_xor_b64 s[20:21], s[20:21], 0
	s_xor_b64 s[8:9], s[8:9], s[20:21]
	s_sub_u32 s20, s8, s20
	s_cbranch_execnz .LBB25_11
.LBB25_10:
	s_sub_i32 s1, 0, s5
	v_readfirstlane_b32 s8, v7
	s_mul_i32 s1, s1, s8
	s_mul_hi_u32 s1, s8, s1
	s_add_i32 s8, s8, s1
	s_mul_hi_u32 s1, s22, s8
	s_mul_i32 s9, s1, s5
	s_sub_i32 s9, s22, s9
	s_add_i32 s8, s1, 1
	s_sub_i32 s20, s9, s5
	s_cmp_ge_u32 s9, s5
	s_cselect_b32 s1, s8, s1
	s_cselect_b32 s9, s20, s9
	s_add_i32 s8, s1, 1
	s_cmp_ge_u32 s9, s5
	s_cselect_b32 s20, s8, s1
.LBB25_11:
	s_cmp_lg_u32 s6, s20
	s_cbranch_scc0 .LBB25_15
; %bb.12:
	s_add_i32 s21, s25, s3
	s_add_i32 s1, s21, s5
	s_lshl_b32 s1, s1, 2
	s_add_i32 s8, s1, s4
	s_mov_b32 s9, s0
	s_lshl_b64 s[8:9], s[8:9], 3
	s_add_u32 s22, s18, s8
	s_mul_hi_u32 s1, s20, s12
	s_addc_u32 s23, s19, s9
	s_add_i32 s1, s1, s20
	s_lshr_b32 s1, s1, s13
	s_mul_i32 s8, s1, s14
	s_cmp_eq_u32 s8, s20
	s_cselect_b64 s[8:9], -1, 0
	s_cmp_lt_u32 s1, s7
	s_cselect_b64 s[26:27], -1, 0
	s_or_b64 s[26:27], s[26:27], s[8:9]
	s_mov_b64 s[8:9], -1
	s_and_b64 vcc, exec, s[26:27]
	s_mov_b32 s1, s25
	s_mov_b32 s26, s6
	s_cbranch_vccnz .LBB25_14
; %bb.13:
	s_add_i32 s1, s25, -1
	s_mov_b64 s[8:9], 0
	s_mov_b32 s26, s20
.LBB25_14:
	v_lshl_add_u32 v4, s21, 10, v6
	v_ashrrev_i32_e32 v5, 31, v4
	v_lshl_add_u64 v[4:5], v[4:5], 2, s[16:17]
	global_load_dword v5, v[4:5], off
	s_load_dwordx2 s[20:21], s[22:23], 0x0
	v_max_f32_e32 v4, v9, v9
	s_waitcnt lgkmcnt(0)
	v_max_f32_e64 v10, s20, s20
	v_max_f32_e32 v10, v4, v10
	v_sub_f32_e32 v11, v9, v10
	v_sub_f32_e32 v13, s20, v10
	v_mul_f32_e32 v4, 0x3fb8aa3b, v11
	v_mul_f32_e32 v12, 0x3fb8aa3b, v13
	v_fma_f32 v14, v11, s2, -v4
	v_rndne_f32_e32 v15, v4
	v_fma_f32 v16, v13, s2, -v12
	v_rndne_f32_e32 v17, v12
	v_fmac_f32_e32 v14, 0x32a5705f, v11
	v_sub_f32_e32 v4, v4, v15
	v_fmac_f32_e32 v16, 0x32a5705f, v13
	v_sub_f32_e32 v12, v12, v17
	v_add_f32_e32 v4, v4, v14
	v_cvt_i32_f32_e32 v15, v15
	v_add_f32_e32 v12, v12, v16
	v_exp_f32_e32 v14, v4
	v_cvt_i32_f32_e32 v17, v17
	v_exp_f32_e32 v12, v12
	v_cmp_ngt_f32_e32 vcc, s10, v11
	v_ldexp_f32 v14, v14, v15
	v_mov_b32_e32 v4, s21
	v_ldexp_f32 v12, v12, v17
	v_cndmask_b32_e32 v14, 0, v14, vcc
	v_cmp_ngt_f32_e32 vcc, s10, v13
	s_nop 1
	v_cndmask_b32_e32 v12, 0, v12, vcc
	v_cmp_nlt_f32_e32 vcc, s15, v11
	s_nop 1
	v_cndmask_b32_e32 v14, v8, v14, vcc
	v_cmp_nlt_f32_e32 vcc, s15, v13
	s_nop 1
	v_cndmask_b32_e32 v15, v8, v12, vcc
	v_cmp_le_f32_e32 vcc, s24, v11
	s_nop 1
	v_cndmask_b32_e32 v12, 0, v14, vcc
	v_cmp_le_f32_e32 vcc, s24, v13
	s_nop 1
	v_cndmask_b32_e32 v14, 0, v15, vcc
	s_waitcnt vmcnt(0)
	v_pk_mul_f32 v[4:5], v[4:5], v[14:15] op_sel_hi:[1,0]
	s_nop 0
	v_pk_fma_f32 v[4:5], v[0:1], v[12:13], v[4:5] op_sel_hi:[1,0,1]
	s_cbranch_execz .LBB25_16
	s_branch .LBB25_17
.LBB25_15:
                                        ; implicit-def: $vgpr4_vgpr5
                                        ; implicit-def: $sgpr8_sgpr9
                                        ; implicit-def: $vgpr10
                                        ; implicit-def: $sgpr1
                                        ; implicit-def: $sgpr26
.LBB25_16:
	s_add_i32 s1, s25, -1
	s_mov_b64 s[8:9], 0
	s_mov_b32 s26, s6
	v_mov_b32_e32 v10, v9
	s_waitcnt vmcnt(0)
	v_mov_b64_e32 v[4:5], v[0:1]
.LBB25_17:
	s_andn2_b64 vcc, exec, s[8:9]
	s_cbranch_vccz .LBB25_22
; %bb.18:
	s_mov_b32 s6, s26
	s_mov_b32 s25, s1
	v_mov_b32_e32 v9, v10
	s_waitcnt vmcnt(0)
	v_mov_b64_e32 v[0:1], v[4:5]
	s_mul_hi_i32 s1, s25, s11
	s_cmp_lg_u64 s[0:1], 0
	s_mul_i32 s22, s25, s11
	s_cbranch_scc1 .LBB25_9
.LBB25_19:
                                        ; implicit-def: $sgpr20_sgpr21
	s_branch .LBB25_10
.LBB25_20:
                                        ; implicit-def: $sgpr6_sgpr7
	s_load_dwordx4 s[12:15], s[0:1], 0x44
	s_branch .LBB25_2
.LBB25_21:
                                        ; implicit-def: $sgpr18_sgpr19
	s_branch .LBB25_5
.LBB25_22:
	v_div_scale_f32 v0, s[0:1], v4, v4, v5
	s_waitcnt vmcnt(0)
	v_rcp_f32_e32 v1, v0
	v_div_scale_f32 v6, vcc, v5, v4, v5
	v_fma_f32 v7, -v0, v1, 1.0
	v_fmac_f32_e32 v1, v7, v1
	v_mul_f32_e32 v7, v6, v1
	v_fma_f32 v8, -v0, v7, v6
	v_fmac_f32_e32 v7, v8, v1
	v_fma_f32 v0, -v0, v7, v6
	v_div_fmas_f32 v0, v0, v1, v7
	v_div_fixup_f32 v0, v0, v4, v5
	global_store_dword v[2:3], v0, off
.LBB25_23:
	s_endpgm
	.section	.rodata,"a",@progbits
	.p2align	6, 0x0
	.amdhsa_kernel _ZL33flash_attn_stream_k_fixup_generalILi256ELi1ELi4EEvPfPK15HIP_vector_typeIfLj2EEiiiiS1_IjLj3EES5_S5_S5_
		.amdhsa_group_segment_fixed_size 0
		.amdhsa_private_segment_fixed_size 0
		.amdhsa_kernarg_size 336
		.amdhsa_user_sgpr_count 2
		.amdhsa_user_sgpr_dispatch_ptr 0
		.amdhsa_user_sgpr_queue_ptr 0
		.amdhsa_user_sgpr_kernarg_segment_ptr 1
		.amdhsa_user_sgpr_dispatch_id 0
		.amdhsa_user_sgpr_kernarg_preload_length 0
		.amdhsa_user_sgpr_kernarg_preload_offset 0
		.amdhsa_user_sgpr_private_segment_size 0
		.amdhsa_uses_dynamic_stack 0
		.amdhsa_enable_private_segment 0
		.amdhsa_system_sgpr_workgroup_id_x 1
		.amdhsa_system_sgpr_workgroup_id_y 1
		.amdhsa_system_sgpr_workgroup_id_z 1
		.amdhsa_system_sgpr_workgroup_info 0
		.amdhsa_system_vgpr_workitem_id 0
		.amdhsa_next_free_vgpr 18
		.amdhsa_next_free_sgpr 37
		.amdhsa_accum_offset 20
		.amdhsa_reserve_vcc 1
		.amdhsa_float_round_mode_32 0
		.amdhsa_float_round_mode_16_64 0
		.amdhsa_float_denorm_mode_32 3
		.amdhsa_float_denorm_mode_16_64 3
		.amdhsa_dx10_clamp 1
		.amdhsa_ieee_mode 1
		.amdhsa_fp16_overflow 0
		.amdhsa_tg_split 0
		.amdhsa_exception_fp_ieee_invalid_op 0
		.amdhsa_exception_fp_denorm_src 0
		.amdhsa_exception_fp_ieee_div_zero 0
		.amdhsa_exception_fp_ieee_overflow 0
		.amdhsa_exception_fp_ieee_underflow 0
		.amdhsa_exception_fp_ieee_inexact 0
		.amdhsa_exception_int_div_zero 0
	.end_amdhsa_kernel
	.section	.text._ZL33flash_attn_stream_k_fixup_generalILi256ELi1ELi4EEvPfPK15HIP_vector_typeIfLj2EEiiiiS1_IjLj3EES5_S5_S5_,"axG",@progbits,_ZL33flash_attn_stream_k_fixup_generalILi256ELi1ELi4EEvPfPK15HIP_vector_typeIfLj2EEiiiiS1_IjLj3EES5_S5_S5_,comdat
.Lfunc_end25:
	.size	_ZL33flash_attn_stream_k_fixup_generalILi256ELi1ELi4EEvPfPK15HIP_vector_typeIfLj2EEiiiiS1_IjLj3EES5_S5_S5_, .Lfunc_end25-_ZL33flash_attn_stream_k_fixup_generalILi256ELi1ELi4EEvPfPK15HIP_vector_typeIfLj2EEiiiiS1_IjLj3EES5_S5_S5_
                                        ; -- End function
	.set _ZL33flash_attn_stream_k_fixup_generalILi256ELi1ELi4EEvPfPK15HIP_vector_typeIfLj2EEiiiiS1_IjLj3EES5_S5_S5_.num_vgpr, 18
	.set _ZL33flash_attn_stream_k_fixup_generalILi256ELi1ELi4EEvPfPK15HIP_vector_typeIfLj2EEiiiiS1_IjLj3EES5_S5_S5_.num_agpr, 0
	.set _ZL33flash_attn_stream_k_fixup_generalILi256ELi1ELi4EEvPfPK15HIP_vector_typeIfLj2EEiiiiS1_IjLj3EES5_S5_S5_.numbered_sgpr, 37
	.set _ZL33flash_attn_stream_k_fixup_generalILi256ELi1ELi4EEvPfPK15HIP_vector_typeIfLj2EEiiiiS1_IjLj3EES5_S5_S5_.num_named_barrier, 0
	.set _ZL33flash_attn_stream_k_fixup_generalILi256ELi1ELi4EEvPfPK15HIP_vector_typeIfLj2EEiiiiS1_IjLj3EES5_S5_S5_.private_seg_size, 0
	.set _ZL33flash_attn_stream_k_fixup_generalILi256ELi1ELi4EEvPfPK15HIP_vector_typeIfLj2EEiiiiS1_IjLj3EES5_S5_S5_.uses_vcc, 1
	.set _ZL33flash_attn_stream_k_fixup_generalILi256ELi1ELi4EEvPfPK15HIP_vector_typeIfLj2EEiiiiS1_IjLj3EES5_S5_S5_.uses_flat_scratch, 0
	.set _ZL33flash_attn_stream_k_fixup_generalILi256ELi1ELi4EEvPfPK15HIP_vector_typeIfLj2EEiiiiS1_IjLj3EES5_S5_S5_.has_dyn_sized_stack, 0
	.set _ZL33flash_attn_stream_k_fixup_generalILi256ELi1ELi4EEvPfPK15HIP_vector_typeIfLj2EEiiiiS1_IjLj3EES5_S5_S5_.has_recursion, 0
	.set _ZL33flash_attn_stream_k_fixup_generalILi256ELi1ELi4EEvPfPK15HIP_vector_typeIfLj2EEiiiiS1_IjLj3EES5_S5_S5_.has_indirect_call, 0
	.section	.AMDGPU.csdata,"",@progbits
; Kernel info:
; codeLenInByte = 2924
; TotalNumSgprs: 43
; NumVgprs: 18
; NumAgprs: 0
; TotalNumVgprs: 18
; ScratchSize: 0
; MemoryBound: 0
; FloatMode: 240
; IeeeMode: 1
; LDSByteSize: 0 bytes/workgroup (compile time only)
; SGPRBlocks: 5
; VGPRBlocks: 2
; NumSGPRsForWavesPerEU: 43
; NumVGPRsForWavesPerEU: 18
; AccumOffset: 20
; Occupancy: 8
; WaveLimiterHint : 0
; COMPUTE_PGM_RSRC2:SCRATCH_EN: 0
; COMPUTE_PGM_RSRC2:USER_SGPR: 2
; COMPUTE_PGM_RSRC2:TRAP_HANDLER: 0
; COMPUTE_PGM_RSRC2:TGID_X_EN: 1
; COMPUTE_PGM_RSRC2:TGID_Y_EN: 1
; COMPUTE_PGM_RSRC2:TGID_Z_EN: 1
; COMPUTE_PGM_RSRC2:TIDIG_COMP_CNT: 0
; COMPUTE_PGM_RSRC3_GFX90A:ACCUM_OFFSET: 4
; COMPUTE_PGM_RSRC3_GFX90A:TG_SPLIT: 0
	.section	.text._ZL15flash_attn_tileILi256ELi256ELi16ELi2ELb0EEvPKcS1_S1_S1_S1_PKiPfP15HIP_vector_typeIfLj2EEffffjfiS5_IjLj3EEiiiiiiiiiiiliiliiiiil,"axG",@progbits,_ZL15flash_attn_tileILi256ELi256ELi16ELi2ELb0EEvPKcS1_S1_S1_S1_PKiPfP15HIP_vector_typeIfLj2EEffffjfiS5_IjLj3EEiiiiiiiiiiiliiliiiiil,comdat
	.globl	_ZL15flash_attn_tileILi256ELi256ELi16ELi2ELb0EEvPKcS1_S1_S1_S1_PKiPfP15HIP_vector_typeIfLj2EEffffjfiS5_IjLj3EEiiiiiiiiiiiliiliiiiil ; -- Begin function _ZL15flash_attn_tileILi256ELi256ELi16ELi2ELb0EEvPKcS1_S1_S1_S1_PKiPfP15HIP_vector_typeIfLj2EEffffjfiS5_IjLj3EEiiiiiiiiiiiliiliiiiil
	.p2align	8
	.type	_ZL15flash_attn_tileILi256ELi256ELi16ELi2ELb0EEvPKcS1_S1_S1_S1_PKiPfP15HIP_vector_typeIfLj2EEffffjfiS5_IjLj3EEiiiiiiiiiiiliiliiiiil,@function
_ZL15flash_attn_tileILi256ELi256ELi16ELi2ELb0EEvPKcS1_S1_S1_S1_PKiPfP15HIP_vector_typeIfLj2EEffffjfiS5_IjLj3EEiiiiiiiiiiiliiliiiiil: ; @_ZL15flash_attn_tileILi256ELi256ELi16ELi2ELb0EEvPKcS1_S1_S1_S1_PKiPfP15HIP_vector_typeIfLj2EEffffjfiS5_IjLj3EEiiiiiiiiiiiliiliiiiil
; %bb.0:
	s_load_dwordx4 s[28:31], s[0:1], 0x5c
	s_load_dwordx2 s[36:37], s[0:1], 0x80
	s_load_dwordx16 s[12:27], s[0:1], 0x0
	s_mov_b64 s[38:39], 0
	s_waitcnt lgkmcnt(0)
	s_lshr_b32 s5, s31, 31
	s_add_i32 s5, s31, s5
	s_ashr_i32 s5, s5, 1
	v_cvt_f32_u32_e32 v1, s5
	s_sub_i32 s6, 0, s5
	v_rcp_iflag_f32_e32 v1, v1
	s_nop 0
	v_mul_f32_e32 v1, 0x4f7ffffe, v1
	v_cvt_u32_f32_e32 v1, v1
	s_nop 0
	v_readfirstlane_b32 s7, v1
	s_mul_i32 s6, s6, s7
	s_mul_hi_u32 s6, s7, s6
	s_add_i32 s7, s7, s6
	s_mul_hi_u32 s6, s4, s7
	s_mul_i32 s7, s6, s5
	s_sub_i32 s7, s4, s7
	s_add_i32 s8, s6, 1
	s_sub_i32 s9, s7, s5
	s_cmp_ge_u32 s7, s5
	s_cselect_b32 s6, s8, s6
	s_cselect_b32 s7, s9, s7
	s_add_i32 s8, s6, 1
	s_cmp_ge_u32 s7, s5
	s_cselect_b32 s33, s8, s6
	s_abs_i32 s5, s37
	v_cvt_f32_u32_e32 v1, s5
	s_lshl_b32 s4, s4, 1
	s_mul_i32 s8, s33, s31
	s_sub_i32 s9, 0, s5
	v_rcp_iflag_f32_e32 v1, v1
	s_sub_i32 s34, s4, s8
	s_abs_i32 s7, s31
	s_xor_b32 s6, s31, s37
	v_mul_f32_e32 v1, 0x4f7ffffe, v1
	v_cvt_u32_f32_e32 v1, v1
	s_ashr_i32 s6, s6, 31
	v_readfirstlane_b32 s4, v1
	s_mul_i32 s9, s9, s4
	s_mul_hi_u32 s8, s4, s9
	s_add_i32 s4, s4, s8
	s_mul_hi_u32 s4, s7, s4
	s_mul_i32 s8, s4, s5
	s_sub_i32 s7, s7, s8
	s_add_i32 s9, s4, 1
	s_sub_i32 s8, s7, s5
	s_cmp_ge_u32 s7, s5
	s_cselect_b32 s4, s9, s4
	s_cselect_b32 s7, s8, s7
	s_add_i32 s8, s4, 1
	s_cmp_ge_u32 s7, s5
	s_cselect_b32 s4, s8, s4
	s_xor_b32 s4, s4, s6
	s_sub_i32 s40, s4, s6
	s_abs_i32 s35, s40
	v_cvt_f32_u32_e32 v1, s35
	s_load_dwordx2 s[8:9], s[0:1], 0xb8
	s_cmp_eq_u64 s[18:19], 0
	v_rcp_iflag_f32_e32 v1, v1
	s_nop 0
	v_mul_f32_e32 v1, 0x4f7ffffe, v1
	v_cvt_u32_f32_e32 v1, v1
	s_nop 0
	v_readfirstlane_b32 s41, v1
	s_cbranch_scc1 .LBB26_2
; %bb.1:
	s_waitcnt lgkmcnt(0)
	s_abs_i32 s6, s8
	v_cvt_f32_u32_e32 v1, s6
	s_sub_i32 s10, 0, s6
	s_abs_i32 s8, s33
	s_ashr_i32 s7, s33, 31
	v_rcp_iflag_f32_e32 v1, v1
	s_load_dwordx2 s[4:5], s[0:1], 0xc8
	v_mul_f32_e32 v1, 0x4f7ffffe, v1
	v_cvt_u32_f32_e32 v1, v1
	s_nop 0
	v_readfirstlane_b32 s11, v1
	s_mul_i32 s10, s10, s11
	s_mul_hi_u32 s10, s11, s10
	s_add_i32 s11, s11, s10
	s_mul_hi_u32 s10, s8, s11
	s_mul_i32 s10, s10, s6
	s_sub_i32 s8, s8, s10
	s_sub_i32 s10, s8, s6
	s_cmp_ge_u32 s8, s6
	s_cselect_b32 s8, s10, s8
	s_sub_i32 s10, s8, s6
	s_cmp_ge_u32 s8, s6
	s_cselect_b32 s6, s10, s8
	s_xor_b32 s6, s6, s7
	s_sub_i32 s6, s6, s7
	s_ashr_i32 s7, s6, 31
	s_waitcnt lgkmcnt(0)
	s_mul_hi_u32 s8, s4, s6
	s_mul_i32 s7, s4, s7
	s_mul_i32 s5, s5, s6
	s_add_i32 s7, s8, s7
	s_add_i32 s7, s7, s5
	s_mul_i32 s4, s4, s6
	s_add_u32 s38, s18, s4
	s_addc_u32 s39, s19, s7
.LBB26_2:
	s_load_dwordx4 s[4:7], s[0:1], 0x70
	v_bfe_u32 v1, v0, 10, 10
	s_lshl_b32 s37, s2, 4
	v_lshlrev_b32_e32 v43, 1, v1
	v_add_u32_e32 v45, s37, v43
	s_waitcnt lgkmcnt(0)
	s_mul_i32 s6, s33, s6
	s_ashr_i32 s8, s6, 31
	s_mul_i32 s7, s34, s5
	s_add_u32 s6, s12, s6
	v_and_b32_e32 v44, 0x3ff, v0
	v_mul_hi_u32 v0, v45, s28
	s_addc_u32 s8, s13, s8
	s_ashr_i32 s11, s7, 31
	v_add_u32_e32 v0, v45, v0
	s_add_u32 s10, s6, s7
	v_lshrrev_b32_e32 v0, s29, v0
	s_addc_u32 s11, s8, s11
	s_ashr_i32 s13, s4, 31
	s_mov_b32 s12, s4
	v_mul_lo_u32 v0, v0, s30
	s_lshr_b64 s[6:7], s[12:13], 2
	v_sub_u32_e32 v0, v45, v0
	v_mad_u64_u32 v[4:5], s[18:19], s6, v0, 0
	v_lshlrev_b32_e32 v26, 2, v1
	v_mov_b32_e32 v3, 0
	v_mov_b32_e32 v2, v5
	s_lshr_b32 s8, s13, 2
	v_or_b32_e32 v36, 2, v26
	v_mad_u64_u32 v[6:7], s[12:13], s8, v0, v[2:3]
	v_lshrrev_b32_e32 v40, 1, v36
	v_mov_b32_e32 v5, v6
	v_add_u32_e32 v41, s37, v40
	v_lshlrev_b64 v[12:13], 2, v[4:5]
	v_mul_hi_u32 v20, v41, s28
	v_lshl_add_u64 v[4:5], s[10:11], 0, v[12:13]
	v_lshlrev_b32_e32 v2, 4, v44
	v_add_u32_e32 v20, v41, v20
	v_lshl_add_u64 v[14:15], v[4:5], 0, v[2:3]
	s_ashr_i32 s7, s5, 31
	s_and_b32 s4, s5, -4
	v_lshrrev_b32_e32 v20, s29, v20
	global_load_dwordx4 v[4:7], v[14:15], off
	global_load_dwordx4 v[8:11], v[14:15], off offset:512
	s_add_u32 s4, s10, s4
	v_mul_lo_u32 v20, v20, s30
	s_addc_u32 s5, s11, s7
	v_sub_u32_e32 v23, v41, v20
	v_lshl_add_u64 v[12:13], s[4:5], 0, v[12:13]
	v_mad_u64_u32 v[20:21], s[12:13], s6, v23, 0
	v_lshl_add_u64 v[16:17], v[12:13], 0, v[2:3]
	v_mov_b32_e32 v22, v21
	global_load_dwordx4 v[12:15], v[16:17], off
	v_mad_u64_u32 v[22:23], s[12:13], s8, v23, v[22:23]
	v_mov_b32_e32 v21, v22
	v_lshl_add_u64 v[20:21], v[20:21], 2, s[10:11]
	v_lshl_add_u64 v[24:25], v[20:21], 0, v[2:3]
	global_load_dwordx4 v[20:23], v[24:25], off
	v_or_b32_e32 v37, 3, v26
	global_load_dwordx4 v[16:19], v[16:17], off offset:512
	v_lshrrev_b32_e32 v38, 1, v37
	v_add_u32_e32 v39, s37, v38
	v_mul_hi_u32 v28, v39, s28
	v_add_u32_e32 v28, v39, v28
	v_lshrrev_b32_e32 v28, s29, v28
	v_mul_lo_u32 v28, v28, s30
	v_sub_u32_e32 v31, v39, v28
	v_mad_u64_u32 v[28:29], s[6:7], s6, v31, 0
	global_load_dwordx4 v[24:27], v[24:25], off offset:512
	v_mov_b32_e32 v30, v29
	v_mad_u64_u32 v[30:31], s[6:7], s8, v31, v[30:31]
	v_mov_b32_e32 v29, v30
	v_lshl_add_u64 v[28:29], v[28:29], 2, s[4:5]
	v_lshl_add_u64 v[32:33], v[28:29], 0, v[2:3]
	global_load_dwordx4 v[28:31], v[32:33], off
	s_load_dword s4, s[0:1], 0x40
	global_load_dwordx4 v[32:35], v[32:33], off offset:512
	v_lshlrev_b32_e32 v2, 3, v44
	v_lshlrev_b32_e32 v46, 11, v1
	v_add_u32_e32 v3, v2, v46
	s_cmp_eq_u64 s[22:23], 0
	s_waitcnt vmcnt(7) lgkmcnt(0)
	v_fma_mixlo_f16 v4, s4, v4, 0
	v_fma_mixlo_f16 v5, s4, v5, 0
	;; [unrolled: 1-line block ×4, first 2 shown]
	s_waitcnt vmcnt(6)
	v_fma_mixlo_f16 v8, s4, v8, 0
	v_fma_mixlo_f16 v9, s4, v9, 0
	;; [unrolled: 1-line block ×4, first 2 shown]
	v_lshlrev_b32_e32 v5, 16, v5
	v_and_b32_e32 v4, 0xffff, v4
	v_lshlrev_b32_e32 v7, 16, v7
	v_and_b32_e32 v6, 0xffff, v6
	;; [unrolled: 2-line block ×3, first 2 shown]
	v_or_b32_e32 v4, v5, v4
	v_or3_b32 v5, v7, v6, 0
	v_or_b32_e32 v6, v9, v8
	v_lshlrev_b32_e32 v7, 16, v11
	v_and_b32_e32 v8, 0xffff, v10
	v_or3_b32 v4, 0, 0, v4
	v_or3_b32 v7, v7, v8, 0
	;; [unrolled: 1-line block ×3, first 2 shown]
	ds_write2_b64 v3, v[4:5], v[6:7] offset1:32
	s_waitcnt vmcnt(5)
	v_fma_mixlo_f16 v4, s4, v12, 0
	v_fma_mixlo_f16 v5, s4, v13, 0
	v_lshlrev_b32_e32 v5, 16, v5
	v_and_b32_e32 v4, 0xffff, v4
	v_or_b32_e32 v4, v5, v4
	v_fma_mixlo_f16 v5, s4, v14, 0
	v_fma_mixlo_f16 v6, s4, v15, 0
	v_lshlrev_b32_e32 v6, 16, v6
	v_and_b32_e32 v5, 0xffff, v5
	v_or3_b32 v5, v6, v5, 0
	s_waitcnt vmcnt(3)
	v_fma_mixlo_f16 v6, s4, v16, 0
	v_fma_mixlo_f16 v7, s4, v17, 0
	v_lshlrev_b32_e32 v7, 16, v7
	v_and_b32_e32 v6, 0xffff, v6
	v_or_b32_e32 v6, v7, v6
	v_fma_mixlo_f16 v7, s4, v18, 0
	v_fma_mixlo_f16 v8, s4, v19, 0
	v_lshlrev_b32_e32 v8, 16, v8
	v_and_b32_e32 v7, 0xffff, v7
	v_or3_b32 v4, 0, 0, v4
	v_or3_b32 v7, v8, v7, 0
	v_or3_b32 v6, 0, 0, v6
	ds_write2_b64 v3, v[4:5], v[6:7] offset0:64 offset1:96
	v_fma_mixlo_f16 v4, s4, v20, 0
	v_fma_mixlo_f16 v5, s4, v21, 0
	v_lshlrev_b32_e32 v5, 16, v5
	v_and_b32_e32 v4, 0xffff, v4
	v_or_b32_e32 v4, v5, v4
	v_fma_mixlo_f16 v5, s4, v22, 0
	v_fma_mixlo_f16 v6, s4, v23, 0
	v_lshlrev_b32_e32 v6, 16, v6
	v_and_b32_e32 v5, 0xffff, v5
	v_or3_b32 v5, v6, v5, 0
	s_waitcnt vmcnt(2)
	v_fma_mixlo_f16 v6, s4, v24, 0
	v_fma_mixlo_f16 v7, s4, v25, 0
	v_lshlrev_b32_e32 v7, 16, v7
	v_and_b32_e32 v6, 0xffff, v6
	v_or_b32_e32 v6, v7, v6
	v_fma_mixlo_f16 v7, s4, v26, 0
	v_fma_mixlo_f16 v8, s4, v27, 0
	v_lshlrev_b32_e32 v8, 16, v8
	v_and_b32_e32 v7, 0xffff, v7
	v_lshl_add_u32 v3, v36, 9, v2
	v_or3_b32 v4, 0, 0, v4
	v_or3_b32 v7, v8, v7, 0
	;; [unrolled: 1-line block ×3, first 2 shown]
	ds_write2_b64 v3, v[4:5], v[6:7] offset1:32
	s_waitcnt vmcnt(1)
	v_fma_mixlo_f16 v4, s4, v28, 0
	v_fma_mixlo_f16 v5, s4, v29, 0
	v_lshlrev_b32_e32 v5, 16, v5
	v_and_b32_e32 v4, 0xffff, v4
	v_or_b32_e32 v4, v5, v4
	v_fma_mixlo_f16 v5, s4, v30, 0
	v_fma_mixlo_f16 v6, s4, v31, 0
	v_lshlrev_b32_e32 v6, 16, v6
	v_and_b32_e32 v5, 0xffff, v5
	v_or3_b32 v5, v6, v5, 0
	s_waitcnt vmcnt(0)
	v_fma_mixlo_f16 v6, s4, v32, 0
	v_fma_mixlo_f16 v7, s4, v33, 0
	v_lshlrev_b32_e32 v7, 16, v7
	v_and_b32_e32 v6, 0xffff, v6
	v_or_b32_e32 v6, v7, v6
	v_fma_mixlo_f16 v7, s4, v34, 0
	v_fma_mixlo_f16 v8, s4, v35, 0
	v_lshlrev_b32_e32 v8, 16, v8
	v_and_b32_e32 v7, 0xffff, v7
	v_lshl_add_u32 v3, v37, 9, v2
	v_or3_b32 v4, 0, 0, v4
	v_or3_b32 v7, v8, v7, 0
	;; [unrolled: 1-line block ×3, first 2 shown]
	ds_write2_b64 v3, v[4:5], v[6:7] offset1:32
	s_waitcnt lgkmcnt(0)
	s_barrier
	s_cbranch_scc1 .LBB26_4
; %bb.3:
	s_load_dword s4, s[0:1], 0xd0
	s_mov_b32 s5, 0
	s_waitcnt lgkmcnt(0)
	s_mul_i32 s4, s4, s33
	s_add_i32 s4, s4, s2
	s_lshl_b64 s[4:5], s[4:5], 2
	s_add_u32 s4, s22, s4
	s_addc_u32 s5, s23, s5
	s_load_dword s36, s[4:5], 0x0
.LBB26_4:
	s_lshl_b32 s2, s3, 5
	v_lshlrev_b32_e32 v42, 2, v44
	s_waitcnt lgkmcnt(0)
	s_cmp_lt_i32 s2, s36
	v_mbcnt_lo_u32_b32 v3, -1, 0
	s_cbranch_scc1 .LBB26_7
; %bb.5:
	v_mbcnt_hi_u32_b32 v47, -1, v3
	v_and_b32_e32 v4, 0x60, v47
	v_add_u32_e32 v48, 32, v4
	v_xor_b32_e32 v51, 16, v47
	v_xor_b32_e32 v52, 8, v47
	;; [unrolled: 1-line block ×5, first 2 shown]
	s_cbranch_execz .LBB26_8
; %bb.6:
	v_mov_b32_e32 v17, 0
	v_mov_b32_e32 v77, 0
	;; [unrolled: 1-line block ×24, first 2 shown]
	s_branch .LBB26_10
.LBB26_7:
                                        ; implicit-def: $vgpr47
                                        ; implicit-def: $vgpr48
                                        ; implicit-def: $vgpr51
                                        ; implicit-def: $vgpr52
                                        ; implicit-def: $vgpr53
                                        ; implicit-def: $vgpr50
                                        ; implicit-def: $vgpr49
.LBB26_8:
	s_sub_i32 s4, 0, s35
	s_mul_i32 s4, s4, s41
	s_mul_hi_u32 s4, s41, s4
	s_add_i32 s41, s41, s4
	s_load_dwordx2 s[10:11], s[0:1], 0x8c
	s_load_dwordx4 s[4:7], s[0:1], 0x98
	s_abs_i32 s8, s34
	s_mul_hi_u32 s18, s8, s41
	s_ashr_i32 s19, s34, 31
	s_waitcnt lgkmcnt(0)
	s_ashr_i32 s23, s10, 2
	s_ashr_i32 s22, s6, 2
	;; [unrolled: 1-line block ×4, first 2 shown]
	s_mul_hi_u32 s10, s4, s33
	s_mul_i32 s41, s4, s9
	s_add_i32 s10, s10, s41
	s_mul_i32 s5, s5, s33
	s_ashr_i32 s40, s40, 31
	s_add_i32 s10, s10, s5
	s_mul_i32 s4, s4, s33
	s_add_u32 s4, s14, s4
	s_mul_i32 s14, s18, s35
	s_addc_u32 s5, s15, s10
	s_sub_i32 s8, s8, s14
	s_xor_b32 s10, s19, s40
	s_add_i32 s14, s18, 1
	s_sub_i32 s15, s8, s35
	s_cmp_ge_u32 s8, s35
	s_cselect_b32 s14, s14, s18
	s_cselect_b32 s8, s15, s8
	s_add_i32 s15, s14, 1
	s_cmp_ge_u32 s8, s35
	s_cselect_b32 s8, s15, s14
	s_load_dwordx2 s[12:13], s[0:1], 0xa8
	s_xor_b32 s8, s8, s10
	s_sub_i32 s8, s8, s10
	s_mul_i32 s10, s8, s11
	s_ashr_i32 s11, s10, 31
	s_add_u32 s35, s4, s10
	s_addc_u32 s40, s5, s11
	s_waitcnt lgkmcnt(0)
	s_mul_hi_u32 s4, s12, s33
	s_mul_i32 s5, s12, s9
	s_add_i32 s4, s4, s5
	s_mul_i32 s5, s13, s33
	s_add_i32 s4, s4, s5
	s_mul_i32 s5, s12, s33
	s_add_u32 s5, s16, s5
	s_mul_i32 s8, s8, s7
	s_addc_u32 s4, s17, s4
	s_ashr_i32 s7, s8, 31
	v_lshrrev_b32_e32 v4, 4, v44
	s_add_u32 s41, s5, s8
	v_add_u32_e32 v5, v4, v43
	v_and_b32_e32 v4, 60, v42
	s_addc_u32 s42, s4, s7
	v_lshlrev_b32_e32 v6, 2, v4
	s_movk_i32 s4, 0x110
	v_mad_u32_u24 v6, v5, s4, v6
	v_mul_lo_u32 v22, s23, v5
	v_mov_b32_e32 v5, 0x4000
	v_mul_lo_u32 v57, v0, s6
	v_add3_u32 v0, s37, v43, 1
	v_mad_u32_u24 v56, v44, s4, v5
	v_mul_hi_u32 v5, s28, v0
	v_add_u32_e32 v5, v0, v5
	v_lshrrev_b32_e32 v5, s29, v5
	v_mul_lo_u32 v5, v5, s30
	v_add_u32_e32 v54, 0x4000, v6
	v_add_u32_e32 v55, 0x5100, v6
	v_sub_u32_e32 v0, v0, v5
	v_mul_lo_u32 v6, s22, v1
	v_mul_lo_u32 v58, v0, s6
	v_mov_b32_e32 v0, 0x6200
	v_lshlrev_b32_e32 v26, 2, v42
	v_lshl_add_u32 v8, s22, 3, v6
	v_mbcnt_hi_u32_b32 v47, -1, v3
	v_mov_b32_e32 v21, 0
	v_lshl_add_u32 v24, s23, 4, v22
	v_lshl_add_u32 v59, v1, 8, v0
	;; [unrolled: 1-line block ×3, first 2 shown]
	v_ashrrev_i32_e32 v7, 31, v6
	v_ashrrev_i32_e32 v9, 31, v8
	s_add_u32 s18, s0, 0xd0
	v_and_b32_e32 v1, 0x60, v47
	v_ashrrev_i32_e32 v23, 31, v22
	v_ashrrev_i32_e32 v25, 31, v24
	v_add_u32_e32 v60, 0x4000, v0
	v_add_u32_e32 v61, 0x5000, v0
	s_addc_u32 s19, s1, 0
	v_mov_b32_e32 v0, 0xfeffffff
	v_lshlrev_b32_e32 v20, 2, v4
	v_add_u32_e32 v48, 32, v1
	v_xor_b32_e32 v51, 16, v47
	v_xor_b32_e32 v52, 8, v47
	;; [unrolled: 1-line block ×5, first 2 shown]
	s_mov_b32 s28, 0x3fb8aa3b
	s_mov_b32 s29, 0xc2ce8ed0
	;; [unrolled: 1-line block ×3, first 2 shown]
	v_mov_b32_e32 v62, 0x7f800000
	s_mov_b32 s44, 0x10001
	v_add_u32_e32 v63, v59, v2
	v_lshlrev_b64 v[28:29], 2, v[6:7]
	v_mov_b32_e32 v27, v21
	v_lshlrev_b64 v[30:31], 2, v[8:9]
	v_add_u32_e32 v64, 0x4000, v2
	v_add_u32_e32 v65, 0x4800, v2
	;; [unrolled: 1-line block ×4, first 2 shown]
	v_mov_b32_e32 v68, v21
	v_mov_b32_e32 v69, v21
	v_mov_b32_e32 v71, v21
	v_mov_b32_e32 v72, v21
	v_mov_b32_e32 v73, v21
	v_mov_b32_e32 v74, v21
	v_mov_b32_e32 v76, v21
	v_mov_b32_e32 v70, v21
	v_mov_b32_e32 v78, v21
	v_mov_b32_e32 v79, v21
	v_mov_b32_e32 v80, v21
	v_mov_b32_e32 v75, v21
	v_mov_b32_e32 v81, v21
	v_mov_b32_e32 v82, v21
	v_mov_b32_e32 v83, v21
	v_mov_b32_e32 v77, v21
	v_mov_b32_e32 v1, 0xfeffffff
	v_mov_b32_e32 v2, 0xfeffffff
	v_mov_b32_e32 v3, 0xfeffffff
	v_mov_b32_e32 v18, v21
	v_mov_b32_e32 v19, v21
	v_mov_b32_e32 v16, v21
	v_mov_b32_e32 v17, v21
.LBB26_9:                               ; =>This Inner Loop Header: Depth=1
	s_mul_hi_i32 s5, s2, s23
	s_mul_i32 s4, s2, s23
	s_lshl_b64 s[4:5], s[4:5], 2
	s_add_u32 s4, s35, s4
	s_addc_u32 s5, s40, s5
	v_mov_b32_e32 v90, v1
	v_mov_b32_e32 v91, v0
	v_lshl_add_u64 v[0:1], v[22:23], 2, s[4:5]
	v_mov_b32_e32 v88, v3
	v_mov_b32_e32 v89, v2
	v_lshl_add_u64 v[2:3], v[24:25], 2, s[4:5]
	v_lshl_add_u64 v[32:33], v[0:1], 0, v[20:21]
	;; [unrolled: 1-line block ×3, first 2 shown]
	global_load_dwordx4 v[0:3], v[32:33], off
	global_load_dwordx4 v[4:7], v[34:35], off
	v_mov_b32_e32 v84, 0
	v_mov_b32_e32 v85, 0
	v_mov_b32_e32 v86, 0
	v_mov_b32_e32 v87, 0
	v_cmp_lt_i32_e32 vcc, v51, v48
	v_add_u32_e32 v37, s2, v44
	s_mul_hi_i32 s5, s2, s22
	v_cndmask_b32_e32 v36, v47, v51, vcc
	s_mul_i32 s4, s2, s22
	v_cmp_lt_i32_e32 vcc, v52, v48
	s_lshl_b64 s[4:5], s[4:5], 2
	s_add_u32 s4, s41, s4
	v_cndmask_b32_e32 v92, v47, v52, vcc
	v_cmp_lt_i32_e32 vcc, v53, v48
	s_addc_u32 s5, s42, s5
	v_max_f32_e32 v100, v90, v90
	v_cndmask_b32_e32 v93, v47, v53, vcc
	v_cmp_lt_i32_e32 vcc, v50, v48
	v_lshlrev_b32_e32 v95, 2, v93
	v_max_f32_e32 v101, v89, v89
	v_cndmask_b32_e32 v94, v47, v50, vcc
	v_cmp_lt_i32_e32 vcc, v49, v48
	v_lshlrev_b32_e32 v93, 2, v94
	v_max_f32_e32 v94, v91, v91
	v_max_f32_e32 v102, v88, v88
	s_waitcnt vmcnt(1)
	ds_write_b128 v54, v[0:3]
	s_waitcnt vmcnt(0)
	ds_write_b128 v55, v[4:7]
	s_waitcnt lgkmcnt(0)
	s_barrier
	ds_read_b128 v[0:3], v56
	ds_read_b128 v[4:7], v46
	ds_read_b128 v[8:11], v46 offset:512
	ds_read_b128 v[12:15], v46 offset:1024
	;; [unrolled: 1-line block ×3, first 2 shown]
	s_waitcnt lgkmcnt(3)
	;;#ASMSTART
	v_dot2_f32_f16 v84, v0, v4, v84
	;;#ASMEND
	s_nop 0
	;;#ASMSTART
	v_dot2_f32_f16 v84, v1, v5, v84
	;;#ASMEND
	s_nop 0
	;;#ASMSTART
	v_dot2_f32_f16 v84, v2, v6, v84
	;;#ASMEND
	s_nop 0
	;;#ASMSTART
	v_dot2_f32_f16 v84, v3, v7, v84
	;;#ASMEND
	s_waitcnt lgkmcnt(2)
	;;#ASMSTART
	v_dot2_f32_f16 v85, v0, v8, v85
	;;#ASMEND
	s_nop 0
	;;#ASMSTART
	v_dot2_f32_f16 v85, v1, v9, v85
	;;#ASMEND
	s_nop 0
	;;#ASMSTART
	v_dot2_f32_f16 v85, v2, v10, v85
	;;#ASMEND
	s_nop 0
	;;#ASMSTART
	v_dot2_f32_f16 v85, v3, v11, v85
	;;#ASMEND
	;; [unrolled: 16-line block ×4, first 2 shown]
	ds_read_b128 v[0:3], v56 offset:16
	ds_read_b128 v[4:7], v46 offset:16
	;; [unrolled: 1-line block ×5, first 2 shown]
	s_waitcnt lgkmcnt(3)
	;;#ASMSTART
	v_dot2_f32_f16 v84, v0, v4, v84
	;;#ASMEND
	s_nop 0
	;;#ASMSTART
	v_dot2_f32_f16 v84, v1, v5, v84
	;;#ASMEND
	s_nop 0
	;;#ASMSTART
	v_dot2_f32_f16 v84, v2, v6, v84
	;;#ASMEND
	s_nop 0
	;;#ASMSTART
	v_dot2_f32_f16 v84, v3, v7, v84
	;;#ASMEND
	s_waitcnt lgkmcnt(2)
	;;#ASMSTART
	v_dot2_f32_f16 v85, v0, v8, v85
	;;#ASMEND
	s_nop 0
	;;#ASMSTART
	v_dot2_f32_f16 v85, v1, v9, v85
	;;#ASMEND
	s_nop 0
	;;#ASMSTART
	v_dot2_f32_f16 v85, v2, v10, v85
	;;#ASMEND
	s_nop 0
	;;#ASMSTART
	v_dot2_f32_f16 v85, v3, v11, v85
	;;#ASMEND
	;; [unrolled: 16-line block ×4, first 2 shown]
	ds_read_b128 v[0:3], v56 offset:32
	ds_read_b128 v[4:7], v46 offset:32
	;; [unrolled: 1-line block ×5, first 2 shown]
	s_waitcnt lgkmcnt(3)
	;;#ASMSTART
	v_dot2_f32_f16 v84, v0, v4, v84
	;;#ASMEND
	s_nop 0
	;;#ASMSTART
	v_dot2_f32_f16 v84, v1, v5, v84
	;;#ASMEND
	s_nop 0
	;;#ASMSTART
	v_dot2_f32_f16 v84, v2, v6, v84
	;;#ASMEND
	s_nop 0
	;;#ASMSTART
	v_dot2_f32_f16 v84, v3, v7, v84
	;;#ASMEND
	s_waitcnt lgkmcnt(2)
	;;#ASMSTART
	v_dot2_f32_f16 v85, v0, v8, v85
	;;#ASMEND
	s_nop 0
	;;#ASMSTART
	v_dot2_f32_f16 v85, v1, v9, v85
	;;#ASMEND
	s_nop 0
	;;#ASMSTART
	v_dot2_f32_f16 v85, v2, v10, v85
	;;#ASMEND
	s_nop 0
	;;#ASMSTART
	v_dot2_f32_f16 v85, v3, v11, v85
	;;#ASMEND
	;; [unrolled: 16-line block ×4, first 2 shown]
	ds_read_b128 v[0:3], v56 offset:48
	ds_read_b128 v[4:7], v46 offset:48
	;; [unrolled: 1-line block ×5, first 2 shown]
	s_waitcnt lgkmcnt(3)
	;;#ASMSTART
	v_dot2_f32_f16 v84, v0, v4, v84
	;;#ASMEND
	s_nop 0
	;;#ASMSTART
	v_dot2_f32_f16 v84, v1, v5, v84
	;;#ASMEND
	s_nop 0
	;;#ASMSTART
	v_dot2_f32_f16 v84, v2, v6, v84
	;;#ASMEND
	s_nop 0
	;;#ASMSTART
	v_dot2_f32_f16 v84, v3, v7, v84
	;;#ASMEND
	s_waitcnt lgkmcnt(2)
	;;#ASMSTART
	v_dot2_f32_f16 v85, v0, v8, v85
	;;#ASMEND
	s_nop 0
	;;#ASMSTART
	v_dot2_f32_f16 v85, v1, v9, v85
	;;#ASMEND
	s_nop 0
	;;#ASMSTART
	v_dot2_f32_f16 v85, v2, v10, v85
	;;#ASMEND
	s_nop 0
	;;#ASMSTART
	v_dot2_f32_f16 v85, v3, v11, v85
	;;#ASMEND
	;; [unrolled: 16-line block ×4, first 2 shown]
	ds_read_b128 v[0:3], v56 offset:64
	ds_read_b128 v[4:7], v46 offset:64
	ds_read_b128 v[8:11], v46 offset:576
	ds_read_b128 v[12:15], v46 offset:1088
	ds_read_b128 v[96:99], v46 offset:1600
	s_waitcnt lgkmcnt(3)
	;;#ASMSTART
	v_dot2_f32_f16 v84, v0, v4, v84
	;;#ASMEND
	s_nop 0
	;;#ASMSTART
	v_dot2_f32_f16 v84, v1, v5, v84
	;;#ASMEND
	s_nop 0
	;;#ASMSTART
	v_dot2_f32_f16 v84, v2, v6, v84
	;;#ASMEND
	s_nop 0
	;;#ASMSTART
	v_dot2_f32_f16 v84, v3, v7, v84
	;;#ASMEND
	s_waitcnt lgkmcnt(2)
	;;#ASMSTART
	v_dot2_f32_f16 v85, v0, v8, v85
	;;#ASMEND
	s_nop 0
	;;#ASMSTART
	v_dot2_f32_f16 v85, v1, v9, v85
	;;#ASMEND
	s_nop 0
	;;#ASMSTART
	v_dot2_f32_f16 v85, v2, v10, v85
	;;#ASMEND
	s_nop 0
	;;#ASMSTART
	v_dot2_f32_f16 v85, v3, v11, v85
	;;#ASMEND
	;; [unrolled: 16-line block ×4, first 2 shown]
	ds_read_b128 v[0:3], v56 offset:80
	ds_read_b128 v[4:7], v46 offset:80
	;; [unrolled: 1-line block ×5, first 2 shown]
	s_waitcnt lgkmcnt(3)
	;;#ASMSTART
	v_dot2_f32_f16 v84, v0, v4, v84
	;;#ASMEND
	s_nop 0
	;;#ASMSTART
	v_dot2_f32_f16 v84, v1, v5, v84
	;;#ASMEND
	s_nop 0
	;;#ASMSTART
	v_dot2_f32_f16 v84, v2, v6, v84
	;;#ASMEND
	s_nop 0
	;;#ASMSTART
	v_dot2_f32_f16 v84, v3, v7, v84
	;;#ASMEND
	s_waitcnt lgkmcnt(2)
	;;#ASMSTART
	v_dot2_f32_f16 v85, v0, v8, v85
	;;#ASMEND
	s_nop 0
	;;#ASMSTART
	v_dot2_f32_f16 v85, v1, v9, v85
	;;#ASMEND
	s_nop 0
	;;#ASMSTART
	v_dot2_f32_f16 v85, v2, v10, v85
	;;#ASMEND
	s_nop 0
	;;#ASMSTART
	v_dot2_f32_f16 v85, v3, v11, v85
	;;#ASMEND
	;; [unrolled: 16-line block ×4, first 2 shown]
	ds_read_b128 v[0:3], v56 offset:96
	ds_read_b128 v[4:7], v46 offset:96
	;; [unrolled: 1-line block ×5, first 2 shown]
	s_waitcnt lgkmcnt(3)
	;;#ASMSTART
	v_dot2_f32_f16 v84, v0, v4, v84
	;;#ASMEND
	s_nop 0
	;;#ASMSTART
	v_dot2_f32_f16 v84, v1, v5, v84
	;;#ASMEND
	s_nop 0
	;;#ASMSTART
	v_dot2_f32_f16 v84, v2, v6, v84
	;;#ASMEND
	s_nop 0
	;;#ASMSTART
	v_dot2_f32_f16 v84, v3, v7, v84
	;;#ASMEND
	s_waitcnt lgkmcnt(2)
	;;#ASMSTART
	v_dot2_f32_f16 v85, v0, v8, v85
	;;#ASMEND
	s_nop 0
	;;#ASMSTART
	v_dot2_f32_f16 v85, v1, v9, v85
	;;#ASMEND
	s_nop 0
	;;#ASMSTART
	v_dot2_f32_f16 v85, v2, v10, v85
	;;#ASMEND
	s_nop 0
	;;#ASMSTART
	v_dot2_f32_f16 v85, v3, v11, v85
	;;#ASMEND
	;; [unrolled: 16-line block ×4, first 2 shown]
	ds_read_b128 v[0:3], v56 offset:112
	ds_read_b128 v[4:7], v46 offset:112
	;; [unrolled: 1-line block ×5, first 2 shown]
	s_waitcnt lgkmcnt(3)
	;;#ASMSTART
	v_dot2_f32_f16 v84, v0, v4, v84
	;;#ASMEND
	s_nop 0
	;;#ASMSTART
	v_dot2_f32_f16 v84, v1, v5, v84
	;;#ASMEND
	s_nop 0
	;;#ASMSTART
	v_dot2_f32_f16 v84, v2, v6, v84
	;;#ASMEND
	s_nop 0
	;;#ASMSTART
	v_dot2_f32_f16 v84, v3, v7, v84
	;;#ASMEND
	s_waitcnt lgkmcnt(2)
	;;#ASMSTART
	v_dot2_f32_f16 v85, v0, v8, v85
	;;#ASMEND
	s_nop 0
	;;#ASMSTART
	v_dot2_f32_f16 v85, v1, v9, v85
	;;#ASMEND
	s_nop 0
	;;#ASMSTART
	v_dot2_f32_f16 v85, v2, v10, v85
	;;#ASMEND
	s_nop 0
	;;#ASMSTART
	v_dot2_f32_f16 v85, v3, v11, v85
	;;#ASMEND
	;; [unrolled: 16-line block ×4, first 2 shown]
	ds_read_b128 v[0:3], v56 offset:128
	ds_read_b128 v[4:7], v46 offset:128
	;; [unrolled: 1-line block ×5, first 2 shown]
	s_waitcnt lgkmcnt(3)
	;;#ASMSTART
	v_dot2_f32_f16 v84, v0, v4, v84
	;;#ASMEND
	s_nop 0
	;;#ASMSTART
	v_dot2_f32_f16 v84, v1, v5, v84
	;;#ASMEND
	s_nop 0
	;;#ASMSTART
	v_dot2_f32_f16 v84, v2, v6, v84
	;;#ASMEND
	s_nop 0
	;;#ASMSTART
	v_dot2_f32_f16 v84, v3, v7, v84
	;;#ASMEND
	s_waitcnt lgkmcnt(2)
	;;#ASMSTART
	v_dot2_f32_f16 v85, v0, v8, v85
	;;#ASMEND
	s_nop 0
	;;#ASMSTART
	v_dot2_f32_f16 v85, v1, v9, v85
	;;#ASMEND
	s_nop 0
	;;#ASMSTART
	v_dot2_f32_f16 v85, v2, v10, v85
	;;#ASMEND
	s_nop 0
	;;#ASMSTART
	v_dot2_f32_f16 v85, v3, v11, v85
	;;#ASMEND
	;; [unrolled: 16-line block ×4, first 2 shown]
	ds_read_b128 v[0:3], v56 offset:144
	ds_read_b128 v[4:7], v46 offset:144
	;; [unrolled: 1-line block ×5, first 2 shown]
	s_waitcnt lgkmcnt(3)
	;;#ASMSTART
	v_dot2_f32_f16 v84, v0, v4, v84
	;;#ASMEND
	s_nop 0
	;;#ASMSTART
	v_dot2_f32_f16 v84, v1, v5, v84
	;;#ASMEND
	s_nop 0
	;;#ASMSTART
	v_dot2_f32_f16 v84, v2, v6, v84
	;;#ASMEND
	s_nop 0
	;;#ASMSTART
	v_dot2_f32_f16 v84, v3, v7, v84
	;;#ASMEND
	s_waitcnt lgkmcnt(2)
	;;#ASMSTART
	v_dot2_f32_f16 v85, v0, v8, v85
	;;#ASMEND
	s_nop 0
	;;#ASMSTART
	v_dot2_f32_f16 v85, v1, v9, v85
	;;#ASMEND
	s_nop 0
	;;#ASMSTART
	v_dot2_f32_f16 v85, v2, v10, v85
	;;#ASMEND
	s_nop 0
	;;#ASMSTART
	v_dot2_f32_f16 v85, v3, v11, v85
	;;#ASMEND
	;; [unrolled: 16-line block ×4, first 2 shown]
	ds_read_b128 v[0:3], v56 offset:160
	ds_read_b128 v[4:7], v46 offset:160
	ds_read_b128 v[8:11], v46 offset:672
	ds_read_b128 v[12:15], v46 offset:1184
	ds_read_b128 v[96:99], v46 offset:1696
	s_waitcnt lgkmcnt(3)
	;;#ASMSTART
	v_dot2_f32_f16 v84, v0, v4, v84
	;;#ASMEND
	s_nop 0
	;;#ASMSTART
	v_dot2_f32_f16 v84, v1, v5, v84
	;;#ASMEND
	s_nop 0
	;;#ASMSTART
	v_dot2_f32_f16 v84, v2, v6, v84
	;;#ASMEND
	s_nop 0
	;;#ASMSTART
	v_dot2_f32_f16 v84, v3, v7, v84
	;;#ASMEND
	s_waitcnt lgkmcnt(2)
	;;#ASMSTART
	v_dot2_f32_f16 v85, v0, v8, v85
	;;#ASMEND
	s_nop 0
	;;#ASMSTART
	v_dot2_f32_f16 v85, v1, v9, v85
	;;#ASMEND
	s_nop 0
	;;#ASMSTART
	v_dot2_f32_f16 v85, v2, v10, v85
	;;#ASMEND
	s_nop 0
	;;#ASMSTART
	v_dot2_f32_f16 v85, v3, v11, v85
	;;#ASMEND
	s_waitcnt lgkmcnt(1)
	;;#ASMSTART
	v_dot2_f32_f16 v86, v0, v12, v86
	;;#ASMEND
	s_nop 0
	;;#ASMSTART
	v_dot2_f32_f16 v86, v1, v13, v86
	;;#ASMEND
	s_nop 0
	;;#ASMSTART
	v_dot2_f32_f16 v86, v2, v14, v86
	;;#ASMEND
	s_nop 0
	;;#ASMSTART
	v_dot2_f32_f16 v86, v3, v15, v86
	;;#ASMEND
	s_waitcnt lgkmcnt(0)
	;;#ASMSTART
	v_dot2_f32_f16 v87, v0, v96, v87
	;;#ASMEND
	s_nop 0
	;;#ASMSTART
	v_dot2_f32_f16 v87, v1, v97, v87
	;;#ASMEND
	s_nop 0
	;;#ASMSTART
	v_dot2_f32_f16 v87, v2, v98, v87
	;;#ASMEND
	s_nop 0
	;;#ASMSTART
	v_dot2_f32_f16 v87, v3, v99, v87
	;;#ASMEND
	ds_read_b128 v[0:3], v56 offset:176
	ds_read_b128 v[4:7], v46 offset:176
	;; [unrolled: 1-line block ×5, first 2 shown]
	s_waitcnt lgkmcnt(3)
	;;#ASMSTART
	v_dot2_f32_f16 v84, v0, v4, v84
	;;#ASMEND
	s_nop 0
	;;#ASMSTART
	v_dot2_f32_f16 v84, v1, v5, v84
	;;#ASMEND
	s_nop 0
	;;#ASMSTART
	v_dot2_f32_f16 v84, v2, v6, v84
	;;#ASMEND
	s_nop 0
	;;#ASMSTART
	v_dot2_f32_f16 v84, v3, v7, v84
	;;#ASMEND
	s_waitcnt lgkmcnt(2)
	;;#ASMSTART
	v_dot2_f32_f16 v85, v0, v8, v85
	;;#ASMEND
	s_nop 0
	;;#ASMSTART
	v_dot2_f32_f16 v85, v1, v9, v85
	;;#ASMEND
	s_nop 0
	;;#ASMSTART
	v_dot2_f32_f16 v85, v2, v10, v85
	;;#ASMEND
	s_nop 0
	;;#ASMSTART
	v_dot2_f32_f16 v85, v3, v11, v85
	;;#ASMEND
	;; [unrolled: 16-line block ×4, first 2 shown]
	ds_read_b128 v[0:3], v56 offset:192
	ds_read_b128 v[4:7], v46 offset:192
	;; [unrolled: 1-line block ×5, first 2 shown]
	s_waitcnt lgkmcnt(3)
	;;#ASMSTART
	v_dot2_f32_f16 v84, v0, v4, v84
	;;#ASMEND
	s_nop 0
	;;#ASMSTART
	v_dot2_f32_f16 v84, v1, v5, v84
	;;#ASMEND
	s_nop 0
	;;#ASMSTART
	v_dot2_f32_f16 v84, v2, v6, v84
	;;#ASMEND
	s_nop 0
	;;#ASMSTART
	v_dot2_f32_f16 v84, v3, v7, v84
	;;#ASMEND
	s_waitcnt lgkmcnt(2)
	;;#ASMSTART
	v_dot2_f32_f16 v85, v0, v8, v85
	;;#ASMEND
	s_nop 0
	;;#ASMSTART
	v_dot2_f32_f16 v85, v1, v9, v85
	;;#ASMEND
	s_nop 0
	;;#ASMSTART
	v_dot2_f32_f16 v85, v2, v10, v85
	;;#ASMEND
	s_nop 0
	;;#ASMSTART
	v_dot2_f32_f16 v85, v3, v11, v85
	;;#ASMEND
	;; [unrolled: 16-line block ×4, first 2 shown]
	ds_read_b128 v[0:3], v56 offset:208
	ds_read_b128 v[4:7], v46 offset:208
	;; [unrolled: 1-line block ×5, first 2 shown]
	s_waitcnt lgkmcnt(3)
	;;#ASMSTART
	v_dot2_f32_f16 v84, v0, v4, v84
	;;#ASMEND
	s_nop 0
	;;#ASMSTART
	v_dot2_f32_f16 v84, v1, v5, v84
	;;#ASMEND
	s_nop 0
	;;#ASMSTART
	v_dot2_f32_f16 v84, v2, v6, v84
	;;#ASMEND
	s_nop 0
	;;#ASMSTART
	v_dot2_f32_f16 v84, v3, v7, v84
	;;#ASMEND
	s_waitcnt lgkmcnt(2)
	;;#ASMSTART
	v_dot2_f32_f16 v85, v0, v8, v85
	;;#ASMEND
	s_nop 0
	;;#ASMSTART
	v_dot2_f32_f16 v85, v1, v9, v85
	;;#ASMEND
	s_nop 0
	;;#ASMSTART
	v_dot2_f32_f16 v85, v2, v10, v85
	;;#ASMEND
	s_nop 0
	;;#ASMSTART
	v_dot2_f32_f16 v85, v3, v11, v85
	;;#ASMEND
	;; [unrolled: 16-line block ×4, first 2 shown]
	ds_read_b128 v[0:3], v56 offset:224
	ds_read_b128 v[4:7], v46 offset:224
	;; [unrolled: 1-line block ×5, first 2 shown]
	s_waitcnt lgkmcnt(3)
	;;#ASMSTART
	v_dot2_f32_f16 v84, v0, v4, v84
	;;#ASMEND
	s_nop 0
	;;#ASMSTART
	v_dot2_f32_f16 v84, v1, v5, v84
	;;#ASMEND
	s_nop 0
	;;#ASMSTART
	v_dot2_f32_f16 v84, v2, v6, v84
	;;#ASMEND
	s_nop 0
	;;#ASMSTART
	v_dot2_f32_f16 v84, v3, v7, v84
	;;#ASMEND
	s_waitcnt lgkmcnt(2)
	;;#ASMSTART
	v_dot2_f32_f16 v85, v0, v8, v85
	;;#ASMEND
	s_nop 0
	;;#ASMSTART
	v_dot2_f32_f16 v85, v1, v9, v85
	;;#ASMEND
	s_nop 0
	;;#ASMSTART
	v_dot2_f32_f16 v85, v2, v10, v85
	;;#ASMEND
	s_nop 0
	;;#ASMSTART
	v_dot2_f32_f16 v85, v3, v11, v85
	;;#ASMEND
	;; [unrolled: 16-line block ×4, first 2 shown]
	ds_read_b128 v[0:3], v56 offset:240
	ds_read_b128 v[96:99], v46 offset:240
	;; [unrolled: 1-line block ×5, first 2 shown]
	s_waitcnt lgkmcnt(3)
	;;#ASMSTART
	v_dot2_f32_f16 v84, v0, v96, v84
	;;#ASMEND
	s_nop 0
	;;#ASMSTART
	v_dot2_f32_f16 v84, v1, v97, v84
	;;#ASMEND
	v_lshlrev_b32_e32 v97, 2, v36
	;;#ASMSTART
	v_dot2_f32_f16 v84, v2, v98, v84
	;;#ASMEND
	v_add_u32_e32 v36, v37, v57
	;;#ASMSTART
	v_dot2_f32_f16 v84, v3, v99, v84
	;;#ASMEND
	s_waitcnt lgkmcnt(2)
	;;#ASMSTART
	v_dot2_f32_f16 v85, v0, v12, v85
	;;#ASMEND
	v_cndmask_b32_e32 v98, v47, v49, vcc
	;;#ASMSTART
	v_dot2_f32_f16 v85, v1, v13, v85
	;;#ASMEND
	v_lshlrev_b32_e32 v96, 2, v92
	;;#ASMSTART
	v_dot2_f32_f16 v85, v2, v14, v85
	;;#ASMEND
	v_lshlrev_b32_e32 v92, 2, v98
	;;#ASMSTART
	v_dot2_f32_f16 v85, v3, v15, v85
	;;#ASMEND
	s_waitcnt lgkmcnt(1)
	;;#ASMSTART
	v_dot2_f32_f16 v86, v0, v8, v86
	;;#ASMEND
	s_nop 0
	;;#ASMSTART
	v_dot2_f32_f16 v86, v1, v9, v86
	;;#ASMEND
	s_nop 0
	;; [unrolled: 4-line block ×3, first 2 shown]
	;;#ASMSTART
	v_dot2_f32_f16 v86, v3, v11, v86
	;;#ASMEND
	s_waitcnt lgkmcnt(0)
	;;#ASMSTART
	v_dot2_f32_f16 v87, v0, v4, v87
	;;#ASMEND
	s_nop 0
	;;#ASMSTART
	v_dot2_f32_f16 v87, v1, v5, v87
	;;#ASMEND
	s_nop 0
	;; [unrolled: 4-line block ×3, first 2 shown]
	;;#ASMSTART
	v_dot2_f32_f16 v87, v3, v7, v87
	;;#ASMEND
	s_barrier
	global_load_dwordx4 v[0:3], v[32:33], off offset:256
	global_load_dwordx4 v[4:7], v[34:35], off offset:256
	s_waitcnt vmcnt(1)
	ds_write_b128 v54, v[0:3]
	s_waitcnt vmcnt(0)
	ds_write_b128 v55, v[4:7]
	s_waitcnt lgkmcnt(0)
	s_barrier
	ds_read_b128 v[0:3], v56
	ds_read_b128 v[4:7], v46 offset:256
	ds_read_b128 v[8:11], v46 offset:768
	;; [unrolled: 1-line block ×4, first 2 shown]
	s_waitcnt lgkmcnt(3)
	;;#ASMSTART
	v_dot2_f32_f16 v84, v0, v4, v84
	;;#ASMEND
	s_nop 0
	;;#ASMSTART
	v_dot2_f32_f16 v84, v1, v5, v84
	;;#ASMEND
	s_nop 0
	;;#ASMSTART
	v_dot2_f32_f16 v84, v2, v6, v84
	;;#ASMEND
	s_nop 0
	;;#ASMSTART
	v_dot2_f32_f16 v84, v3, v7, v84
	;;#ASMEND
	s_waitcnt lgkmcnt(2)
	;;#ASMSTART
	v_dot2_f32_f16 v85, v0, v8, v85
	;;#ASMEND
	s_nop 0
	;;#ASMSTART
	v_dot2_f32_f16 v85, v1, v9, v85
	;;#ASMEND
	s_nop 0
	;;#ASMSTART
	v_dot2_f32_f16 v85, v2, v10, v85
	;;#ASMEND
	s_nop 0
	;;#ASMSTART
	v_dot2_f32_f16 v85, v3, v11, v85
	;;#ASMEND
	;; [unrolled: 16-line block ×4, first 2 shown]
	ds_read_b128 v[0:3], v56 offset:16
	ds_read_b128 v[4:7], v46 offset:272
	;; [unrolled: 1-line block ×5, first 2 shown]
	s_waitcnt lgkmcnt(3)
	;;#ASMSTART
	v_dot2_f32_f16 v84, v0, v4, v84
	;;#ASMEND
	s_nop 0
	;;#ASMSTART
	v_dot2_f32_f16 v84, v1, v5, v84
	;;#ASMEND
	s_nop 0
	;;#ASMSTART
	v_dot2_f32_f16 v84, v2, v6, v84
	;;#ASMEND
	s_nop 0
	;;#ASMSTART
	v_dot2_f32_f16 v84, v3, v7, v84
	;;#ASMEND
	s_waitcnt lgkmcnt(2)
	;;#ASMSTART
	v_dot2_f32_f16 v85, v0, v8, v85
	;;#ASMEND
	s_nop 0
	;;#ASMSTART
	v_dot2_f32_f16 v85, v1, v9, v85
	;;#ASMEND
	s_nop 0
	;;#ASMSTART
	v_dot2_f32_f16 v85, v2, v10, v85
	;;#ASMEND
	s_nop 0
	;;#ASMSTART
	v_dot2_f32_f16 v85, v3, v11, v85
	;;#ASMEND
	;; [unrolled: 16-line block ×4, first 2 shown]
	ds_read_b128 v[0:3], v56 offset:32
	ds_read_b128 v[4:7], v46 offset:288
	;; [unrolled: 1-line block ×5, first 2 shown]
	s_waitcnt lgkmcnt(3)
	;;#ASMSTART
	v_dot2_f32_f16 v84, v0, v4, v84
	;;#ASMEND
	s_nop 0
	;;#ASMSTART
	v_dot2_f32_f16 v84, v1, v5, v84
	;;#ASMEND
	s_nop 0
	;;#ASMSTART
	v_dot2_f32_f16 v84, v2, v6, v84
	;;#ASMEND
	s_nop 0
	;;#ASMSTART
	v_dot2_f32_f16 v84, v3, v7, v84
	;;#ASMEND
	s_waitcnt lgkmcnt(2)
	;;#ASMSTART
	v_dot2_f32_f16 v85, v0, v8, v85
	;;#ASMEND
	s_nop 0
	;;#ASMSTART
	v_dot2_f32_f16 v85, v1, v9, v85
	;;#ASMEND
	s_nop 0
	;;#ASMSTART
	v_dot2_f32_f16 v85, v2, v10, v85
	;;#ASMEND
	s_nop 0
	;;#ASMSTART
	v_dot2_f32_f16 v85, v3, v11, v85
	;;#ASMEND
	;; [unrolled: 16-line block ×4, first 2 shown]
	ds_read_b128 v[0:3], v56 offset:48
	ds_read_b128 v[4:7], v46 offset:304
	;; [unrolled: 1-line block ×5, first 2 shown]
	s_waitcnt lgkmcnt(3)
	;;#ASMSTART
	v_dot2_f32_f16 v84, v0, v4, v84
	;;#ASMEND
	s_nop 0
	;;#ASMSTART
	v_dot2_f32_f16 v84, v1, v5, v84
	;;#ASMEND
	s_nop 0
	;;#ASMSTART
	v_dot2_f32_f16 v84, v2, v6, v84
	;;#ASMEND
	s_nop 0
	;;#ASMSTART
	v_dot2_f32_f16 v84, v3, v7, v84
	;;#ASMEND
	s_waitcnt lgkmcnt(2)
	;;#ASMSTART
	v_dot2_f32_f16 v85, v0, v8, v85
	;;#ASMEND
	s_nop 0
	;;#ASMSTART
	v_dot2_f32_f16 v85, v1, v9, v85
	;;#ASMEND
	s_nop 0
	;;#ASMSTART
	v_dot2_f32_f16 v85, v2, v10, v85
	;;#ASMEND
	s_nop 0
	;;#ASMSTART
	v_dot2_f32_f16 v85, v3, v11, v85
	;;#ASMEND
	;; [unrolled: 16-line block ×4, first 2 shown]
	ds_read_b128 v[0:3], v56 offset:64
	ds_read_b128 v[4:7], v46 offset:320
	;; [unrolled: 1-line block ×5, first 2 shown]
	s_waitcnt lgkmcnt(3)
	;;#ASMSTART
	v_dot2_f32_f16 v84, v0, v4, v84
	;;#ASMEND
	s_nop 0
	;;#ASMSTART
	v_dot2_f32_f16 v84, v1, v5, v84
	;;#ASMEND
	s_nop 0
	;;#ASMSTART
	v_dot2_f32_f16 v84, v2, v6, v84
	;;#ASMEND
	s_nop 0
	;;#ASMSTART
	v_dot2_f32_f16 v84, v3, v7, v84
	;;#ASMEND
	s_waitcnt lgkmcnt(2)
	;;#ASMSTART
	v_dot2_f32_f16 v85, v0, v8, v85
	;;#ASMEND
	s_nop 0
	;;#ASMSTART
	v_dot2_f32_f16 v85, v1, v9, v85
	;;#ASMEND
	s_nop 0
	;;#ASMSTART
	v_dot2_f32_f16 v85, v2, v10, v85
	;;#ASMEND
	s_nop 0
	;;#ASMSTART
	v_dot2_f32_f16 v85, v3, v11, v85
	;;#ASMEND
	;; [unrolled: 16-line block ×4, first 2 shown]
	ds_read_b128 v[0:3], v56 offset:80
	ds_read_b128 v[4:7], v46 offset:336
	;; [unrolled: 1-line block ×5, first 2 shown]
	s_waitcnt lgkmcnt(3)
	;;#ASMSTART
	v_dot2_f32_f16 v84, v0, v4, v84
	;;#ASMEND
	s_nop 0
	;;#ASMSTART
	v_dot2_f32_f16 v84, v1, v5, v84
	;;#ASMEND
	s_nop 0
	;;#ASMSTART
	v_dot2_f32_f16 v84, v2, v6, v84
	;;#ASMEND
	s_nop 0
	;;#ASMSTART
	v_dot2_f32_f16 v84, v3, v7, v84
	;;#ASMEND
	s_waitcnt lgkmcnt(2)
	;;#ASMSTART
	v_dot2_f32_f16 v85, v0, v8, v85
	;;#ASMEND
	s_nop 0
	;;#ASMSTART
	v_dot2_f32_f16 v85, v1, v9, v85
	;;#ASMEND
	s_nop 0
	;;#ASMSTART
	v_dot2_f32_f16 v85, v2, v10, v85
	;;#ASMEND
	s_nop 0
	;;#ASMSTART
	v_dot2_f32_f16 v85, v3, v11, v85
	;;#ASMEND
	;; [unrolled: 16-line block ×4, first 2 shown]
	ds_read_b128 v[0:3], v56 offset:96
	ds_read_b128 v[4:7], v46 offset:352
	;; [unrolled: 1-line block ×5, first 2 shown]
	s_waitcnt lgkmcnt(3)
	;;#ASMSTART
	v_dot2_f32_f16 v84, v0, v4, v84
	;;#ASMEND
	s_nop 0
	;;#ASMSTART
	v_dot2_f32_f16 v84, v1, v5, v84
	;;#ASMEND
	s_nop 0
	;;#ASMSTART
	v_dot2_f32_f16 v84, v2, v6, v84
	;;#ASMEND
	s_nop 0
	;;#ASMSTART
	v_dot2_f32_f16 v84, v3, v7, v84
	;;#ASMEND
	s_waitcnt lgkmcnt(2)
	;;#ASMSTART
	v_dot2_f32_f16 v85, v0, v8, v85
	;;#ASMEND
	s_nop 0
	;;#ASMSTART
	v_dot2_f32_f16 v85, v1, v9, v85
	;;#ASMEND
	s_nop 0
	;;#ASMSTART
	v_dot2_f32_f16 v85, v2, v10, v85
	;;#ASMEND
	s_nop 0
	;;#ASMSTART
	v_dot2_f32_f16 v85, v3, v11, v85
	;;#ASMEND
	;; [unrolled: 16-line block ×4, first 2 shown]
	ds_read_b128 v[0:3], v56 offset:112
	ds_read_b128 v[4:7], v46 offset:368
	;; [unrolled: 1-line block ×5, first 2 shown]
	s_waitcnt lgkmcnt(3)
	;;#ASMSTART
	v_dot2_f32_f16 v84, v0, v4, v84
	;;#ASMEND
	s_nop 0
	;;#ASMSTART
	v_dot2_f32_f16 v84, v1, v5, v84
	;;#ASMEND
	s_nop 0
	;;#ASMSTART
	v_dot2_f32_f16 v84, v2, v6, v84
	;;#ASMEND
	s_nop 0
	;;#ASMSTART
	v_dot2_f32_f16 v84, v3, v7, v84
	;;#ASMEND
	s_waitcnt lgkmcnt(2)
	;;#ASMSTART
	v_dot2_f32_f16 v85, v0, v8, v85
	;;#ASMEND
	s_nop 0
	;;#ASMSTART
	v_dot2_f32_f16 v85, v1, v9, v85
	;;#ASMEND
	s_nop 0
	;;#ASMSTART
	v_dot2_f32_f16 v85, v2, v10, v85
	;;#ASMEND
	s_nop 0
	;;#ASMSTART
	v_dot2_f32_f16 v85, v3, v11, v85
	;;#ASMEND
	;; [unrolled: 16-line block ×4, first 2 shown]
	ds_read_b128 v[0:3], v56 offset:128
	ds_read_b128 v[4:7], v46 offset:384
	;; [unrolled: 1-line block ×5, first 2 shown]
	s_waitcnt lgkmcnt(3)
	;;#ASMSTART
	v_dot2_f32_f16 v84, v0, v4, v84
	;;#ASMEND
	s_nop 0
	;;#ASMSTART
	v_dot2_f32_f16 v84, v1, v5, v84
	;;#ASMEND
	s_nop 0
	;;#ASMSTART
	v_dot2_f32_f16 v84, v2, v6, v84
	;;#ASMEND
	s_nop 0
	;;#ASMSTART
	v_dot2_f32_f16 v84, v3, v7, v84
	;;#ASMEND
	s_waitcnt lgkmcnt(2)
	;;#ASMSTART
	v_dot2_f32_f16 v85, v0, v8, v85
	;;#ASMEND
	s_nop 0
	;;#ASMSTART
	v_dot2_f32_f16 v85, v1, v9, v85
	;;#ASMEND
	s_nop 0
	;;#ASMSTART
	v_dot2_f32_f16 v85, v2, v10, v85
	;;#ASMEND
	s_nop 0
	;;#ASMSTART
	v_dot2_f32_f16 v85, v3, v11, v85
	;;#ASMEND
	s_waitcnt lgkmcnt(1)
	;;#ASMSTART
	v_dot2_f32_f16 v86, v0, v12, v86
	;;#ASMEND
	s_nop 0
	;;#ASMSTART
	v_dot2_f32_f16 v86, v1, v13, v86
	;;#ASMEND
	s_nop 0
	;;#ASMSTART
	v_dot2_f32_f16 v86, v2, v14, v86
	;;#ASMEND
	s_nop 0
	;;#ASMSTART
	v_dot2_f32_f16 v86, v3, v15, v86
	;;#ASMEND
	s_waitcnt lgkmcnt(0)
	;;#ASMSTART
	v_dot2_f32_f16 v87, v0, v32, v87
	;;#ASMEND
	s_nop 0
	;;#ASMSTART
	v_dot2_f32_f16 v87, v1, v33, v87
	;;#ASMEND
	s_nop 0
	;;#ASMSTART
	v_dot2_f32_f16 v87, v2, v34, v87
	;;#ASMEND
	s_nop 0
	;;#ASMSTART
	v_dot2_f32_f16 v87, v3, v35, v87
	;;#ASMEND
	ds_read_b128 v[0:3], v56 offset:144
	ds_read_b128 v[4:7], v46 offset:400
	;; [unrolled: 1-line block ×5, first 2 shown]
	s_waitcnt lgkmcnt(3)
	;;#ASMSTART
	v_dot2_f32_f16 v84, v0, v4, v84
	;;#ASMEND
	s_nop 0
	;;#ASMSTART
	v_dot2_f32_f16 v84, v1, v5, v84
	;;#ASMEND
	s_nop 0
	;;#ASMSTART
	v_dot2_f32_f16 v84, v2, v6, v84
	;;#ASMEND
	s_nop 0
	;;#ASMSTART
	v_dot2_f32_f16 v84, v3, v7, v84
	;;#ASMEND
	s_waitcnt lgkmcnt(2)
	;;#ASMSTART
	v_dot2_f32_f16 v85, v0, v8, v85
	;;#ASMEND
	s_nop 0
	;;#ASMSTART
	v_dot2_f32_f16 v85, v1, v9, v85
	;;#ASMEND
	s_nop 0
	;;#ASMSTART
	v_dot2_f32_f16 v85, v2, v10, v85
	;;#ASMEND
	s_nop 0
	;;#ASMSTART
	v_dot2_f32_f16 v85, v3, v11, v85
	;;#ASMEND
	;; [unrolled: 16-line block ×4, first 2 shown]
	ds_read_b128 v[0:3], v56 offset:160
	ds_read_b128 v[4:7], v46 offset:416
	;; [unrolled: 1-line block ×5, first 2 shown]
	s_waitcnt lgkmcnt(3)
	;;#ASMSTART
	v_dot2_f32_f16 v84, v0, v4, v84
	;;#ASMEND
	s_nop 0
	;;#ASMSTART
	v_dot2_f32_f16 v84, v1, v5, v84
	;;#ASMEND
	s_nop 0
	;;#ASMSTART
	v_dot2_f32_f16 v84, v2, v6, v84
	;;#ASMEND
	s_nop 0
	;;#ASMSTART
	v_dot2_f32_f16 v84, v3, v7, v84
	;;#ASMEND
	s_waitcnt lgkmcnt(2)
	;;#ASMSTART
	v_dot2_f32_f16 v85, v0, v8, v85
	;;#ASMEND
	s_nop 0
	;;#ASMSTART
	v_dot2_f32_f16 v85, v1, v9, v85
	;;#ASMEND
	s_nop 0
	;;#ASMSTART
	v_dot2_f32_f16 v85, v2, v10, v85
	;;#ASMEND
	s_nop 0
	;;#ASMSTART
	v_dot2_f32_f16 v85, v3, v11, v85
	;;#ASMEND
	s_waitcnt lgkmcnt(1)
	;;#ASMSTART
	v_dot2_f32_f16 v86, v0, v12, v86
	;;#ASMEND
	s_nop 0
	;;#ASMSTART
	v_dot2_f32_f16 v86, v1, v13, v86
	;;#ASMEND
	s_nop 0
	;;#ASMSTART
	v_dot2_f32_f16 v86, v2, v14, v86
	;;#ASMEND
	s_nop 0
	;;#ASMSTART
	v_dot2_f32_f16 v86, v3, v15, v86
	;;#ASMEND
	s_waitcnt lgkmcnt(0)
	;;#ASMSTART
	v_dot2_f32_f16 v87, v0, v32, v87
	;;#ASMEND
	s_nop 0
	;;#ASMSTART
	v_dot2_f32_f16 v87, v1, v33, v87
	;;#ASMEND
	s_nop 0
	;;#ASMSTART
	v_dot2_f32_f16 v87, v2, v34, v87
	;;#ASMEND
	s_nop 0
	;;#ASMSTART
	v_dot2_f32_f16 v87, v3, v35, v87
	;;#ASMEND
	ds_read_b128 v[0:3], v56 offset:176
	ds_read_b128 v[4:7], v46 offset:432
	;; [unrolled: 1-line block ×5, first 2 shown]
	s_waitcnt lgkmcnt(3)
	;;#ASMSTART
	v_dot2_f32_f16 v84, v0, v4, v84
	;;#ASMEND
	s_nop 0
	;;#ASMSTART
	v_dot2_f32_f16 v84, v1, v5, v84
	;;#ASMEND
	s_nop 0
	;;#ASMSTART
	v_dot2_f32_f16 v84, v2, v6, v84
	;;#ASMEND
	s_nop 0
	;;#ASMSTART
	v_dot2_f32_f16 v84, v3, v7, v84
	;;#ASMEND
	s_waitcnt lgkmcnt(2)
	;;#ASMSTART
	v_dot2_f32_f16 v85, v0, v8, v85
	;;#ASMEND
	s_nop 0
	;;#ASMSTART
	v_dot2_f32_f16 v85, v1, v9, v85
	;;#ASMEND
	s_nop 0
	;;#ASMSTART
	v_dot2_f32_f16 v85, v2, v10, v85
	;;#ASMEND
	s_nop 0
	;;#ASMSTART
	v_dot2_f32_f16 v85, v3, v11, v85
	;;#ASMEND
	;; [unrolled: 16-line block ×4, first 2 shown]
	ds_read_b128 v[0:3], v56 offset:192
	ds_read_b128 v[4:7], v46 offset:448
	;; [unrolled: 1-line block ×5, first 2 shown]
	s_waitcnt lgkmcnt(3)
	;;#ASMSTART
	v_dot2_f32_f16 v84, v0, v4, v84
	;;#ASMEND
	s_nop 0
	;;#ASMSTART
	v_dot2_f32_f16 v84, v1, v5, v84
	;;#ASMEND
	s_nop 0
	;;#ASMSTART
	v_dot2_f32_f16 v84, v2, v6, v84
	;;#ASMEND
	s_nop 0
	;;#ASMSTART
	v_dot2_f32_f16 v84, v3, v7, v84
	;;#ASMEND
	s_waitcnt lgkmcnt(2)
	;;#ASMSTART
	v_dot2_f32_f16 v85, v0, v8, v85
	;;#ASMEND
	s_nop 0
	;;#ASMSTART
	v_dot2_f32_f16 v85, v1, v9, v85
	;;#ASMEND
	s_nop 0
	;;#ASMSTART
	v_dot2_f32_f16 v85, v2, v10, v85
	;;#ASMEND
	s_nop 0
	;;#ASMSTART
	v_dot2_f32_f16 v85, v3, v11, v85
	;;#ASMEND
	;; [unrolled: 16-line block ×4, first 2 shown]
	ds_read_b128 v[0:3], v56 offset:208
	ds_read_b128 v[4:7], v46 offset:464
	;; [unrolled: 1-line block ×5, first 2 shown]
	s_waitcnt lgkmcnt(3)
	;;#ASMSTART
	v_dot2_f32_f16 v84, v0, v4, v84
	;;#ASMEND
	s_nop 0
	;;#ASMSTART
	v_dot2_f32_f16 v84, v1, v5, v84
	;;#ASMEND
	s_nop 0
	;;#ASMSTART
	v_dot2_f32_f16 v84, v2, v6, v84
	;;#ASMEND
	s_nop 0
	;;#ASMSTART
	v_dot2_f32_f16 v84, v3, v7, v84
	;;#ASMEND
	s_waitcnt lgkmcnt(2)
	;;#ASMSTART
	v_dot2_f32_f16 v85, v0, v8, v85
	;;#ASMEND
	s_nop 0
	;;#ASMSTART
	v_dot2_f32_f16 v85, v1, v9, v85
	;;#ASMEND
	s_nop 0
	;;#ASMSTART
	v_dot2_f32_f16 v85, v2, v10, v85
	;;#ASMEND
	s_nop 0
	;;#ASMSTART
	v_dot2_f32_f16 v85, v3, v11, v85
	;;#ASMEND
	;; [unrolled: 16-line block ×4, first 2 shown]
	ds_read_b128 v[0:3], v56 offset:224
	ds_read_b128 v[4:7], v46 offset:480
	;; [unrolled: 1-line block ×5, first 2 shown]
	s_waitcnt lgkmcnt(3)
	;;#ASMSTART
	v_dot2_f32_f16 v84, v0, v4, v84
	;;#ASMEND
	s_nop 0
	;;#ASMSTART
	v_dot2_f32_f16 v84, v1, v5, v84
	;;#ASMEND
	s_nop 0
	;;#ASMSTART
	v_dot2_f32_f16 v84, v2, v6, v84
	;;#ASMEND
	s_nop 0
	;;#ASMSTART
	v_dot2_f32_f16 v84, v3, v7, v84
	;;#ASMEND
	s_waitcnt lgkmcnt(2)
	;;#ASMSTART
	v_dot2_f32_f16 v85, v0, v8, v85
	;;#ASMEND
	s_nop 0
	;;#ASMSTART
	v_dot2_f32_f16 v85, v1, v9, v85
	;;#ASMEND
	s_nop 0
	;;#ASMSTART
	v_dot2_f32_f16 v85, v2, v10, v85
	;;#ASMEND
	s_nop 0
	;;#ASMSTART
	v_dot2_f32_f16 v85, v3, v11, v85
	;;#ASMEND
	;; [unrolled: 16-line block ×4, first 2 shown]
	ds_read_b128 v[0:3], v56 offset:240
	ds_read_b128 v[4:7], v46 offset:496
	;; [unrolled: 1-line block ×5, first 2 shown]
	s_waitcnt lgkmcnt(3)
	;;#ASMSTART
	v_dot2_f32_f16 v84, v0, v4, v84
	;;#ASMEND
	s_nop 0
	;;#ASMSTART
	v_dot2_f32_f16 v84, v1, v5, v84
	;;#ASMEND
	v_add_u32_e32 v4, v37, v58
	;;#ASMSTART
	v_dot2_f32_f16 v84, v2, v6, v84
	;;#ASMEND
	v_ashrrev_i32_e32 v37, 31, v36
	;;#ASMSTART
	v_dot2_f32_f16 v84, v3, v7, v84
	;;#ASMEND
	s_waitcnt lgkmcnt(2)
	;;#ASMSTART
	v_dot2_f32_f16 v85, v0, v8, v85
	;;#ASMEND
	v_ashrrev_i32_e32 v5, 31, v4
	;;#ASMSTART
	v_dot2_f32_f16 v85, v1, v9, v85
	;;#ASMEND
	v_lshl_add_u64 v[6:7], v[36:37], 1, s[38:39]
	;;#ASMSTART
	v_dot2_f32_f16 v85, v2, v10, v85
	;;#ASMEND
	v_lshl_add_u64 v[4:5], v[4:5], 1, s[38:39]
	;;#ASMSTART
	v_dot2_f32_f16 v85, v3, v11, v85
	;;#ASMEND
	s_waitcnt lgkmcnt(1)
	;;#ASMSTART
	v_dot2_f32_f16 v86, v0, v12, v86
	;;#ASMEND
	v_lshl_add_u64 v[8:9], s[4:5], 0, v[28:29]
	;;#ASMSTART
	v_dot2_f32_f16 v86, v1, v13, v86
	;;#ASMEND
	v_lshl_add_u64 v[10:11], s[4:5], 0, v[30:31]
	;;#ASMSTART
	v_dot2_f32_f16 v86, v2, v14, v86
	;;#ASMEND
	v_lshl_add_u64 v[36:37], v[8:9], 0, v[26:27]
	;;#ASMSTART
	v_dot2_f32_f16 v86, v3, v15, v86
	;;#ASMEND
	s_waitcnt lgkmcnt(0)
	;;#ASMSTART
	v_dot2_f32_f16 v87, v0, v32, v87
	;;#ASMEND
	v_lshl_add_u64 v[98:99], v[10:11], 0, v[26:27]
	;;#ASMSTART
	v_dot2_f32_f16 v87, v1, v33, v87
	;;#ASMEND
	s_nop 0
	;;#ASMSTART
	v_dot2_f32_f16 v87, v2, v34, v87
	;;#ASMEND
	s_nop 0
	;;#ASMSTART
	v_dot2_f32_f16 v87, v3, v35, v87
	;;#ASMEND
	global_load_ushort v0, v[6:7], off
	global_load_ushort v1, v[4:5], off
	s_barrier
	global_load_dwordx4 v[4:7], v[36:37], off
	global_load_dwordx4 v[8:11], v[98:99], off
	s_waitcnt vmcnt(3)
	v_cvt_f32_f16_e32 v0, v0
	s_waitcnt vmcnt(2)
	v_cvt_f32_f16_e32 v1, v1
	v_add_f32_e32 v12, v84, v0
	v_add_f32_e32 v13, v85, v0
	;; [unrolled: 1-line block ×4, first 2 shown]
	v_max_f32_e32 v0, v94, v0
	v_add_f32_e32 v15, v87, v1
	v_add_f32_e32 v1, 0x40051340, v13
	;; [unrolled: 1-line block ×3, first 2 shown]
	ds_bpermute_b32 v32, v97, v0
	v_max_f32_e32 v1, v100, v1
	v_max_f32_e32 v2, v101, v2
	v_add_f32_e32 v3, 0x40051340, v15
	ds_bpermute_b32 v33, v97, v1
	ds_bpermute_b32 v34, v97, v2
	v_max_f32_e32 v3, v102, v3
	ds_bpermute_b32 v35, v97, v3
	s_waitcnt lgkmcnt(3)
	v_max_f32_e32 v32, v32, v32
	v_max_f32_e32 v0, v0, v32
	s_waitcnt lgkmcnt(2)
	v_max_f32_e32 v33, v33, v33
	s_waitcnt lgkmcnt(1)
	v_max_f32_e32 v34, v34, v34
	ds_bpermute_b32 v32, v96, v0
	v_max_f32_e32 v1, v1, v33
	v_max_f32_e32 v2, v2, v34
	s_waitcnt lgkmcnt(1)
	v_max_f32_e32 v35, v35, v35
	ds_bpermute_b32 v33, v96, v1
	ds_bpermute_b32 v34, v96, v2
	v_max_f32_e32 v3, v3, v35
	ds_bpermute_b32 v35, v96, v3
	s_waitcnt lgkmcnt(3)
	v_max_f32_e32 v32, v32, v32
	v_max_f32_e32 v0, v0, v32
	s_waitcnt lgkmcnt(2)
	v_max_f32_e32 v33, v33, v33
	s_waitcnt lgkmcnt(1)
	v_max_f32_e32 v34, v34, v34
	ds_bpermute_b32 v32, v95, v0
	v_max_f32_e32 v1, v1, v33
	v_max_f32_e32 v2, v2, v34
	s_waitcnt lgkmcnt(1)
	v_max_f32_e32 v35, v35, v35
	;; [unrolled: 16-line block ×4, first 2 shown]
	ds_bpermute_b32 v33, v92, v1
	ds_bpermute_b32 v34, v92, v2
	v_max_f32_e32 v3, v3, v35
	ds_bpermute_b32 v35, v92, v3
	s_waitcnt lgkmcnt(3)
	v_max_f32_e32 v32, v32, v32
	v_max_f32_e32 v0, v0, v32
	s_waitcnt lgkmcnt(2)
	v_max_f32_e32 v33, v33, v33
	s_waitcnt lgkmcnt(1)
	v_max_f32_e32 v34, v34, v34
	v_sub_f32_e32 v32, v91, v0
	v_max_f32_e32 v1, v1, v33
	v_max_f32_e32 v2, v2, v34
	v_mul_f32_e32 v36, 0x3fb8aa3b, v32
	s_waitcnt lgkmcnt(0)
	v_max_f32_e32 v35, v35, v35
	v_sub_f32_e32 v12, v12, v0
	v_sub_f32_e32 v33, v90, v1
	;; [unrolled: 1-line block ×4, first 2 shown]
	v_fma_f32 v90, v32, s28, -v36
	v_rndne_f32_e32 v91, v36
	v_max_f32_e32 v3, v3, v35
	v_mul_f32_e32 v37, 0x3fb8aa3b, v12
	v_mul_f32_e32 v84, 0x3fb8aa3b, v33
	;; [unrolled: 1-line block ×4, first 2 shown]
	v_fmac_f32_e32 v90, 0x32a5705f, v32
	v_sub_f32_e32 v36, v36, v91
	v_sub_f32_e32 v14, v14, v2
	;; [unrolled: 1-line block ×3, first 2 shown]
	v_fma_f32 v92, v12, s28, -v37
	v_rndne_f32_e32 v93, v37
	v_fma_f32 v94, v33, s28, -v84
	v_rndne_f32_e32 v95, v84
	;; [unrolled: 2-line block ×3, first 2 shown]
	v_fma_f32 v98, v34, s28, -v86
	v_add_f32_e32 v36, v36, v90
	v_rndne_f32_e32 v90, v86
	v_mul_f32_e32 v87, 0x3fb8aa3b, v14
	v_mul_f32_e32 v88, 0x3fb8aa3b, v35
	v_fmac_f32_e32 v92, 0x32a5705f, v12
	v_sub_f32_e32 v37, v37, v93
	v_fmac_f32_e32 v94, 0x32a5705f, v33
	v_sub_f32_e32 v84, v84, v95
	;; [unrolled: 2-line block ×4, first 2 shown]
	v_sub_f32_e32 v15, v15, v3
	v_add_f32_e32 v37, v37, v92
	v_fma_f32 v92, v14, s28, -v87
	v_add_f32_e32 v84, v84, v94
	v_rndne_f32_e32 v94, v87
	v_add_f32_e32 v85, v85, v96
	v_fma_f32 v96, v35, s28, -v88
	v_add_f32_e32 v86, v86, v98
	v_rndne_f32_e32 v98, v88
	v_mul_f32_e32 v89, 0x3fb8aa3b, v15
	v_fmac_f32_e32 v92, 0x32a5705f, v14
	v_sub_f32_e32 v87, v87, v94
	v_fmac_f32_e32 v96, 0x32a5705f, v35
	v_sub_f32_e32 v88, v88, v98
	v_add_f32_e32 v87, v87, v92
	v_fma_f32 v92, v15, s28, -v89
	v_add_f32_e32 v88, v88, v96
	v_rndne_f32_e32 v96, v89
	v_fmac_f32_e32 v92, 0x32a5705f, v15
	v_sub_f32_e32 v89, v89, v96
	v_add_f32_e32 v89, v89, v92
	v_cvt_i32_f32_e32 v91, v91
	v_cvt_i32_f32_e32 v93, v93
	;; [unrolled: 1-line block ×8, first 2 shown]
	v_exp_f32_e32 v36, v36
	v_exp_f32_e32 v37, v37
	;; [unrolled: 1-line block ×8, first 2 shown]
	v_ldexp_f32 v36, v36, v91
	v_ldexp_f32 v37, v37, v93
	v_ldexp_f32 v84, v84, v95
	v_ldexp_f32 v85, v85, v97
	v_ldexp_f32 v86, v86, v90
	v_ldexp_f32 v87, v87, v94
	v_ldexp_f32 v88, v88, v98
	v_ldexp_f32 v89, v89, v96
	v_cmp_ngt_f32_e32 vcc, s29, v13
	v_cmp_ngt_f32_e64 s[4:5], s29, v33
	v_cmp_ngt_f32_e64 s[6:7], s29, v14
	;; [unrolled: 1-line block ×7, first 2 shown]
	v_cndmask_b32_e64 v84, 0, v84, s[4:5]
	v_cmp_nlt_f32_e64 s[4:5], s43, v33
	v_cndmask_b32_e64 v37, 0, v37, s[16:17]
	v_cmp_nlt_f32_e64 s[16:17], s43, v12
	v_cndmask_b32_e32 v33, 0, v85, vcc
	v_cmp_nlt_f32_e32 vcc, s43, v13
	v_cndmask_b32_e64 v85, 0, v86, s[8:9]
	v_cmp_nlt_f32_e64 s[8:9], s43, v34
	v_cndmask_b32_e64 v34, 0, v87, s[6:7]
	v_cmp_nlt_f32_e64 s[6:7], s43, v14
	;; [unrolled: 2-line block ×5, first 2 shown]
	v_cndmask_b32_e64 v13, v62, v84, s[4:5]
	v_cndmask_b32_e64 v14, v62, v37, s[16:17]
	;; [unrolled: 1-line block ×3, first 2 shown]
	v_cndmask_b32_e32 v15, v62, v33, vcc
	v_cndmask_b32_e64 v34, v62, v34, s[6:7]
	v_cndmask_b32_e64 v35, v62, v35, s[10:11]
	;; [unrolled: 1-line block ×4, first 2 shown]
	v_cvt_f16_f32_e32 v36, v12
	v_pk_fma_f32 v[18:19], v[18:19], v[12:13], v[14:15]
	v_cvt_f16_f32_e32 v37, v13
	v_cvt_pk_f16_f32 v13, v34, v35
	v_cvt_pk_f16_f32 v12, v14, v15
	v_cvt_f16_f32_e32 v84, v32
	v_pk_fma_f32 v[16:17], v[16:17], v[32:33], v[34:35]
	v_cvt_f16_f32_e32 v85, v33
	ds_write_b64 v63, v[12:13]
	s_waitcnt vmcnt(1)
	ds_write_b128 v60, v[4:7]
	s_waitcnt vmcnt(0)
	ds_write_b128 v61, v[8:11]
	s_waitcnt lgkmcnt(0)
	s_barrier
	ds_read_b128 v[8:11], v59
	ds_read2_b64 v[4:7], v64 offset1:32
	ds_read_b128 v[12:15], v59 offset:16
	ds_read_b128 v[32:35], v59 offset:32
	s_or_b32 s4, s2, 16
	s_waitcnt lgkmcnt(3)
	v_mul_u32_u24_sdwa v86, v8, s44 dst_sel:DWORD dst_unused:UNUSED_PAD src0_sel:WORD_0 src1_sel:DWORD
	v_mul_u32_u24_sdwa v87, v9, s44 dst_sel:DWORD dst_unused:UNUSED_PAD src0_sel:WORD_1 src1_sel:DWORD
	s_waitcnt lgkmcnt(1)
	v_mul_u32_u24_sdwa v96, v14, s44 dst_sel:DWORD dst_unused:UNUSED_PAD src0_sel:WORD_0 src1_sel:DWORD
	v_mul_u32_u24_sdwa v97, v14, s44 dst_sel:DWORD dst_unused:UNUSED_PAD src0_sel:WORD_1 src1_sel:DWORD
	v_mul_u32_u24_sdwa v98, v15, s44 dst_sel:DWORD dst_unused:UNUSED_PAD src0_sel:WORD_0 src1_sel:DWORD
	v_mul_u32_u24_sdwa v99, v15, s44 dst_sel:DWORD dst_unused:UNUSED_PAD src0_sel:WORD_1 src1_sel:DWORD
	v_mul_u32_u24_e32 v14, 0x10001, v36
	v_mul_u32_u24_e32 v15, 0x10001, v37
	;; [unrolled: 1-line block ×3, first 2 shown]
	v_mul_u32_u24_sdwa v8, v8, s44 dst_sel:DWORD dst_unused:UNUSED_PAD src0_sel:WORD_1 src1_sel:DWORD
	v_mul_u32_u24_sdwa v9, v9, s44 dst_sel:DWORD dst_unused:UNUSED_PAD src0_sel:WORD_0 src1_sel:DWORD
	v_mul_u32_u24_e32 v36, 0x10001, v84
	v_pk_mul_f16 v83, v83, v14
	v_pk_mul_f16 v82, v82, v14
	;; [unrolled: 1-line block ×4, first 2 shown]
	v_mul_u32_u24_sdwa v88, v10, s44 dst_sel:DWORD dst_unused:UNUSED_PAD src0_sel:WORD_0 src1_sel:DWORD
	v_mul_u32_u24_sdwa v89, v10, s44 dst_sel:DWORD dst_unused:UNUSED_PAD src0_sel:WORD_1 src1_sel:DWORD
	v_mul_u32_u24_sdwa v90, v11, s44 dst_sel:DWORD dst_unused:UNUSED_PAD src0_sel:WORD_0 src1_sel:DWORD
	v_mul_u32_u24_sdwa v91, v11, s44 dst_sel:DWORD dst_unused:UNUSED_PAD src0_sel:WORD_1 src1_sel:DWORD
	;; [unrolled: 2-line block ×4, first 2 shown]
	ds_read_b128 v[10:13], v59 offset:48
	v_pk_mul_f16 v80, v80, v15
	v_pk_mul_f16 v79, v79, v15
	;; [unrolled: 1-line block ×9, first 2 shown]
	s_waitcnt lgkmcnt(1)
	v_mul_u32_u24_sdwa v68, v32, s44 dst_sel:DWORD dst_unused:UNUSED_PAD src0_sel:WORD_0 src1_sel:DWORD
	v_mul_u32_u24_sdwa v84, v32, s44 dst_sel:DWORD dst_unused:UNUSED_PAD src0_sel:WORD_1 src1_sel:DWORD
	v_pk_fma_f16 v32, v4, v87, v72
	v_pk_fma_f16 v83, v5, v86, v83
	;; [unrolled: 1-line block ×4, first 2 shown]
	v_pk_mul_f16 v85, v4, v86
	v_pk_mul_f16 v86, v4, v8
	;; [unrolled: 1-line block ×3, first 2 shown]
	v_pk_fma_f16 v71, v5, v87, v71
	v_pk_fma_f16 v69, v6, v87, v69
	v_pk_fma_f16 v37, v7, v87, v37
	v_mul_u32_u24_sdwa v72, v33, s44 dst_sel:DWORD dst_unused:UNUSED_PAD src0_sel:WORD_0 src1_sel:DWORD
	v_pk_fma_f16 v80, v5, v8, v80
	v_pk_fma_f16 v79, v6, v8, v79
	;; [unrolled: 1-line block ×6, first 2 shown]
	v_mul_u32_u24_sdwa v87, v33, s44 dst_sel:DWORD dst_unused:UNUSED_PAD src0_sel:WORD_1 src1_sel:DWORD
	v_pk_fma_f16 v33, v70, v36, v4
	ds_read2_b64 v[4:7], v64 offset0:64 offset1:96
	s_waitcnt lgkmcnt(1)
	v_mul_u32_u24_sdwa v104, v10, s44 dst_sel:DWORD dst_unused:UNUSED_PAD src0_sel:WORD_0 src1_sel:DWORD
	v_mul_u32_u24_sdwa v105, v10, s44 dst_sel:DWORD dst_unused:UNUSED_PAD src0_sel:WORD_1 src1_sel:DWORD
	v_mul_u32_u24_sdwa v106, v11, s44 dst_sel:DWORD dst_unused:UNUSED_PAD src0_sel:WORD_0 src1_sel:DWORD
	v_mul_u32_u24_sdwa v107, v11, s44 dst_sel:DWORD dst_unused:UNUSED_PAD src0_sel:WORD_1 src1_sel:DWORD
	;; [unrolled: 2-line block ×4, first 2 shown]
	v_pk_fma_f16 v12, v77, v14, v85
	v_pk_fma_f16 v13, v75, v15, v86
	v_mul_u32_u24_sdwa v100, v34, s44 dst_sel:DWORD dst_unused:UNUSED_PAD src0_sel:WORD_0 src1_sel:DWORD
	v_mul_u32_u24_sdwa v101, v34, s44 dst_sel:DWORD dst_unused:UNUSED_PAD src0_sel:WORD_1 src1_sel:DWORD
	v_mul_u32_u24_sdwa v102, v35, s44 dst_sel:DWORD dst_unused:UNUSED_PAD src0_sel:WORD_0 src1_sel:DWORD
	v_mul_u32_u24_sdwa v103, v35, s44 dst_sel:DWORD dst_unused:UNUSED_PAD src0_sel:WORD_1 src1_sel:DWORD
	s_waitcnt lgkmcnt(0)
	v_pk_fma_f16 v32, v4, v91, v32
	v_pk_fma_f16 v34, v5, v88, v83
	;; [unrolled: 1-line block ×12, first 2 shown]
	ds_read2_b64 v[12:15], v64 offset0:128 offset1:160
	v_pk_fma_f16 v76, v5, v90, v76
	v_pk_fma_f16 v74, v6, v90, v74
	;; [unrolled: 1-line block ×4, first 2 shown]
	ds_read_b128 v[4:7], v59 offset:64
	s_waitcnt lgkmcnt(1)
	v_pk_fma_f16 v81, v12, v95, v32
	v_pk_fma_f16 v82, v13, v92, v34
	;; [unrolled: 1-line block ×12, first 2 shown]
	ds_read_b128 v[32:35], v59 offset:80
	v_pk_fma_f16 v13, v13, v94, v76
	v_pk_fma_f16 v14, v14, v94, v74
	;; [unrolled: 1-line block ×4, first 2 shown]
	s_waitcnt lgkmcnt(1)
	v_mul_u32_u24_sdwa v73, v4, s44 dst_sel:DWORD dst_unused:UNUSED_PAD src0_sel:WORD_0 src1_sel:DWORD
	v_mul_u32_u24_sdwa v74, v4, s44 dst_sel:DWORD dst_unused:UNUSED_PAD src0_sel:WORD_1 src1_sel:DWORD
	v_mul_u32_u24_sdwa v80, v5, s44 dst_sel:DWORD dst_unused:UNUSED_PAD src0_sel:WORD_0 src1_sel:DWORD
	v_mul_u32_u24_sdwa v76, v5, s44 dst_sel:DWORD dst_unused:UNUSED_PAD src0_sel:WORD_1 src1_sel:DWORD
	;; [unrolled: 2-line block ×4, first 2 shown]
	ds_read2_b64 v[4:7], v64 offset0:192 offset1:224
	s_waitcnt lgkmcnt(1)
	v_mul_u32_u24_sdwa v90, v32, s44 dst_sel:DWORD dst_unused:UNUSED_PAD src0_sel:WORD_0 src1_sel:DWORD
	v_mul_u32_u24_sdwa v91, v32, s44 dst_sel:DWORD dst_unused:UNUSED_PAD src0_sel:WORD_1 src1_sel:DWORD
	v_mul_u32_u24_sdwa v92, v33, s44 dst_sel:DWORD dst_unused:UNUSED_PAD src0_sel:WORD_0 src1_sel:DWORD
	v_mul_u32_u24_sdwa v93, v33, s44 dst_sel:DWORD dst_unused:UNUSED_PAD src0_sel:WORD_1 src1_sel:DWORD
	s_waitcnt lgkmcnt(0)
	v_pk_fma_f16 v81, v4, v99, v81
	v_pk_fma_f16 v36, v5, v99, v36
	;; [unrolled: 1-line block ×16, first 2 shown]
	ds_read2_b64 v[4:7], v65 offset1:32
	v_mul_u32_u24_sdwa v94, v34, s44 dst_sel:DWORD dst_unused:UNUSED_PAD src0_sel:WORD_0 src1_sel:DWORD
	v_mul_u32_u24_sdwa v95, v34, s44 dst_sel:DWORD dst_unused:UNUSED_PAD src0_sel:WORD_1 src1_sel:DWORD
	v_mul_u32_u24_sdwa v96, v35, s44 dst_sel:DWORD dst_unused:UNUSED_PAD src0_sel:WORD_0 src1_sel:DWORD
	v_mul_u32_u24_sdwa v97, v35, s44 dst_sel:DWORD dst_unused:UNUSED_PAD src0_sel:WORD_1 src1_sel:DWORD
	s_waitcnt lgkmcnt(0)
	v_pk_fma_f16 v32, v4, v87, v81
	v_pk_fma_f16 v33, v5, v87, v36
	;; [unrolled: 1-line block ×16, first 2 shown]
	ds_read2_b64 v[4:7], v65 offset0:64 offset1:96
	ds_read2_b64 v[12:15], v65 offset0:128 offset1:160
	s_mul_hi_i32 s5, s4, s22
	s_mul_i32 s4, s4, s22
	s_lshl_b64 s[4:5], s[4:5], 2
	s_waitcnt lgkmcnt(1)
	v_pk_fma_f16 v82, v4, v103, v32
	v_pk_fma_f16 v36, v5, v100, v36
	;; [unrolled: 1-line block ×16, first 2 shown]
	ds_read_b128 v[32:35], v59 offset:96
	ds_read_b128 v[4:7], v59 offset:112
	s_waitcnt lgkmcnt(2)
	v_pk_fma_f16 v82, v12, v107, v82
	v_pk_fma_f16 v36, v13, v104, v36
	;; [unrolled: 1-line block ×16, first 2 shown]
	ds_read2_b64 v[12:15], v65 offset0:192 offset1:224
	s_waitcnt lgkmcnt(2)
	v_mul_u32_u24_sdwa v98, v32, s44 dst_sel:DWORD dst_unused:UNUSED_PAD src0_sel:WORD_0 src1_sel:DWORD
	v_mul_u32_u24_sdwa v99, v32, s44 dst_sel:DWORD dst_unused:UNUSED_PAD src0_sel:WORD_1 src1_sel:DWORD
	v_mul_u32_u24_sdwa v100, v33, s44 dst_sel:DWORD dst_unused:UNUSED_PAD src0_sel:WORD_0 src1_sel:DWORD
	v_mul_u32_u24_sdwa v101, v33, s44 dst_sel:DWORD dst_unused:UNUSED_PAD src0_sel:WORD_1 src1_sel:DWORD
	;; [unrolled: 2-line block ×4, first 2 shown]
	s_waitcnt lgkmcnt(0)
	v_pk_fma_f16 v32, v12, v11, v82
	v_pk_fma_f16 v33, v13, v11, v83
	;; [unrolled: 1-line block ×16, first 2 shown]
	ds_read2_b64 v[8:11], v66 offset1:32
	s_add_u32 s4, s41, s4
	s_addc_u32 s5, s42, s5
	v_lshl_add_u64 v[12:13], s[4:5], 0, v[28:29]
	v_lshl_add_u64 v[14:15], s[4:5], 0, v[30:31]
	s_waitcnt lgkmcnt(0)
	v_pk_fma_f16 v32, v8, v76, v32
	v_pk_fma_f16 v33, v9, v76, v33
	v_pk_fma_f16 v34, v10, v76, v34
	v_pk_fma_f16 v35, v11, v76, v35
	v_pk_fma_f16 v82, v9, v73, v36
	v_pk_fma_f16 v83, v10, v73, v37
	v_pk_fma_f16 v69, v11, v73, v69
	v_pk_fma_f16 v70, v9, v74, v70
	v_pk_fma_f16 v71, v10, v74, v71
	v_pk_fma_f16 v75, v11, v74, v75
	v_pk_fma_f16 v68, v8, v73, v68
	v_pk_fma_f16 v73, v8, v74, v77
	v_pk_fma_f16 v74, v9, v80, v78
	v_pk_fma_f16 v78, v10, v80, v79
	v_pk_fma_f16 v79, v11, v80, v81
	v_pk_fma_f16 v72, v8, v80, v72
	ds_read2_b64 v[8:11], v66 offset0:64 offset1:96
	v_lshl_add_u64 v[36:37], v[12:13], 0, v[26:27]
	v_lshl_add_u64 v[76:77], v[14:15], 0, v[26:27]
	ds_read2_b64 v[12:15], v66 offset0:128 offset1:160
	s_waitcnt lgkmcnt(1)
	v_pk_fma_f16 v32, v8, v89, v32
	v_pk_fma_f16 v80, v9, v85, v82
	;; [unrolled: 1-line block ×16, first 2 shown]
	ds_read2_b64 v[8:11], v66 offset0:192 offset1:224
	s_waitcnt lgkmcnt(1)
	v_pk_fma_f16 v82, v12, v93, v32
	v_pk_fma_f16 v83, v13, v93, v33
	;; [unrolled: 1-line block ×4, first 2 shown]
	ds_read2_b64 v[32:35], v67 offset1:32
	v_pk_fma_f16 v80, v13, v90, v80
	v_pk_fma_f16 v70, v13, v91, v70
	;; [unrolled: 1-line block ×12, first 2 shown]
	ds_read2_b64 v[12:15], v67 offset0:64 offset1:96
	s_waitcnt lgkmcnt(2)
	v_pk_fma_f16 v82, v8, v97, v82
	v_pk_fma_f16 v83, v9, v97, v83
	;; [unrolled: 1-line block ×12, first 2 shown]
	ds_read2_b64 v[68:71], v67 offset0:128 offset1:160
	v_pk_fma_f16 v92, v9, v96, v74
	v_pk_fma_f16 v78, v10, v96, v78
	v_pk_fma_f16 v79, v11, v96, v79
	v_pk_fma_f16 v93, v8, v96, v72
	ds_read2_b64 v[8:11], v67 offset0:192 offset1:224
	s_waitcnt lgkmcnt(0)
	s_barrier
	global_load_dwordx4 v[72:75], v[36:37], off
	v_pk_fma_f16 v82, v32, v101, v82
	v_pk_fma_f16 v83, v33, v101, v83
	;; [unrolled: 1-line block ×8, first 2 shown]
	v_mul_u32_u24_sdwa v86, v5, s44 dst_sel:DWORD dst_unused:UNUSED_PAD src0_sel:WORD_1 src1_sel:DWORD
	v_pk_fma_f16 v87, v33, v99, v87
	v_pk_fma_f16 v88, v34, v99, v88
	;; [unrolled: 1-line block ×4, first 2 shown]
	v_mul_u32_u24_sdwa v91, v4, s44 dst_sel:DWORD dst_unused:UNUSED_PAD src0_sel:WORD_0 src1_sel:DWORD
	v_pk_fma_f16 v33, v33, v100, v92
	v_pk_fma_f16 v34, v34, v100, v78
	;; [unrolled: 1-line block ×4, first 2 shown]
	v_mul_u32_u24_sdwa v78, v4, s44 dst_sel:DWORD dst_unused:UNUSED_PAD src0_sel:WORD_1 src1_sel:DWORD
	v_mul_u32_u24_sdwa v79, v5, s44 dst_sel:DWORD dst_unused:UNUSED_PAD src0_sel:WORD_0 src1_sel:DWORD
	v_mul_u32_u24_sdwa v92, v6, s44 dst_sel:DWORD dst_unused:UNUSED_PAD src0_sel:WORD_0 src1_sel:DWORD
	v_mul_u32_u24_sdwa v93, v6, s44 dst_sel:DWORD dst_unused:UNUSED_PAD src0_sel:WORD_1 src1_sel:DWORD
	v_mul_u32_u24_sdwa v94, v7, s44 dst_sel:DWORD dst_unused:UNUSED_PAD src0_sel:WORD_0 src1_sel:DWORD
	v_mul_u32_u24_sdwa v95, v7, s44 dst_sel:DWORD dst_unused:UNUSED_PAD src0_sel:WORD_1 src1_sel:DWORD
	global_load_dwordx4 v[4:7], v[76:77], off
	v_pk_fma_f16 v76, v12, v105, v82
	v_pk_fma_f16 v36, v13, v102, v36
	;; [unrolled: 1-line block ×48, first 2 shown]
	s_waitcnt vmcnt(1)
	ds_write_b128 v60, v[72:75]
	s_waitcnt vmcnt(0)
	ds_write_b128 v61, v[4:7]
	s_waitcnt lgkmcnt(0)
	s_barrier
	ds_read_b128 v[4:7], v59 offset:128
	ds_read_b128 v[8:11], v59 offset:144
	;; [unrolled: 1-line block ×4, first 2 shown]
	s_waitcnt lgkmcnt(3)
	v_mul_u32_u24_sdwa v72, v4, s44 dst_sel:DWORD dst_unused:UNUSED_PAD src0_sel:WORD_0 src1_sel:DWORD
	s_waitcnt lgkmcnt(2)
	v_mul_u32_u24_sdwa v90, v8, s44 dst_sel:DWORD dst_unused:UNUSED_PAD src0_sel:WORD_0 src1_sel:DWORD
	v_mul_u32_u24_sdwa v91, v8, s44 dst_sel:DWORD dst_unused:UNUSED_PAD src0_sel:WORD_1 src1_sel:DWORD
	v_mul_u32_u24_sdwa v92, v9, s44 dst_sel:DWORD dst_unused:UNUSED_PAD src0_sel:WORD_0 src1_sel:DWORD
	v_mul_u32_u24_sdwa v93, v9, s44 dst_sel:DWORD dst_unused:UNUSED_PAD src0_sel:WORD_1 src1_sel:DWORD
	;; [unrolled: 2-line block ×4, first 2 shown]
	ds_read2_b64 v[8:11], v64 offset1:32
	v_mul_u32_u24_sdwa v73, v4, s44 dst_sel:DWORD dst_unused:UNUSED_PAD src0_sel:WORD_1 src1_sel:DWORD
	v_mul_u32_u24_sdwa v74, v5, s44 dst_sel:DWORD dst_unused:UNUSED_PAD src0_sel:WORD_0 src1_sel:DWORD
	v_mul_u32_u24_sdwa v75, v5, s44 dst_sel:DWORD dst_unused:UNUSED_PAD src0_sel:WORD_1 src1_sel:DWORD
	v_mul_u32_u24_sdwa v86, v6, s44 dst_sel:DWORD dst_unused:UNUSED_PAD src0_sel:WORD_0 src1_sel:DWORD
	;; [unrolled: 2-line block ×3, first 2 shown]
	v_mul_u32_u24_sdwa v89, v7, s44 dst_sel:DWORD dst_unused:UNUSED_PAD src0_sel:WORD_1 src1_sel:DWORD
	s_waitcnt lgkmcnt(2)
	v_mul_u32_u24_sdwa v98, v12, s44 dst_sel:DWORD dst_unused:UNUSED_PAD src0_sel:WORD_0 src1_sel:DWORD
	v_mul_u32_u24_sdwa v99, v12, s44 dst_sel:DWORD dst_unused:UNUSED_PAD src0_sel:WORD_1 src1_sel:DWORD
	v_mul_u32_u24_sdwa v100, v13, s44 dst_sel:DWORD dst_unused:UNUSED_PAD src0_sel:WORD_0 src1_sel:DWORD
	v_mul_u32_u24_sdwa v101, v13, s44 dst_sel:DWORD dst_unused:UNUSED_PAD src0_sel:WORD_1 src1_sel:DWORD
	;; [unrolled: 2-line block ×4, first 2 shown]
	s_waitcnt lgkmcnt(1)
	v_mul_u32_u24_sdwa v106, v32, s44 dst_sel:DWORD dst_unused:UNUSED_PAD src0_sel:WORD_0 src1_sel:DWORD
	v_mul_u32_u24_sdwa v107, v32, s44 dst_sel:DWORD dst_unused:UNUSED_PAD src0_sel:WORD_1 src1_sel:DWORD
	v_mul_u32_u24_sdwa v108, v33, s44 dst_sel:DWORD dst_unused:UNUSED_PAD src0_sel:WORD_0 src1_sel:DWORD
	v_mul_u32_u24_sdwa v109, v33, s44 dst_sel:DWORD dst_unused:UNUSED_PAD src0_sel:WORD_1 src1_sel:DWORD
	;; [unrolled: 2-line block ×4, first 2 shown]
	s_waitcnt lgkmcnt(0)
	v_pk_fma_f16 v12, v8, v72, v83
	v_pk_fma_f16 v13, v9, v72, v36
	;; [unrolled: 1-line block ×16, first 2 shown]
	ds_read2_b64 v[8:11], v64 offset0:64 offset1:96
	s_waitcnt lgkmcnt(0)
	v_pk_fma_f16 v74, v8, v86, v12
	v_pk_fma_f16 v32, v8, v87, v32
	;; [unrolled: 1-line block ×12, first 2 shown]
	ds_read2_b64 v[12:15], v64 offset0:128 offset1:160
	v_pk_fma_f16 v68, v8, v89, v68
	v_pk_fma_f16 v71, v9, v89, v71
	;; [unrolled: 1-line block ×4, first 2 shown]
	ds_read_b128 v[8:11], v59 offset:192
	s_waitcnt lgkmcnt(1)
	v_pk_fma_f16 v74, v12, v90, v74
	v_pk_fma_f16 v78, v12, v91, v32
	;; [unrolled: 1-line block ×12, first 2 shown]
	ds_read_b128 v[32:35], v59 offset:208
	v_pk_fma_f16 v12, v12, v93, v68
	v_pk_fma_f16 v13, v13, v93, v71
	;; [unrolled: 1-line block ×4, first 2 shown]
	s_waitcnt lgkmcnt(1)
	v_mul_u32_u24_sdwa v68, v8, s44 dst_sel:DWORD dst_unused:UNUSED_PAD src0_sel:WORD_0 src1_sel:DWORD
	v_mul_u32_u24_sdwa v71, v8, s44 dst_sel:DWORD dst_unused:UNUSED_PAD src0_sel:WORD_1 src1_sel:DWORD
	v_mul_u32_u24_sdwa v72, v9, s44 dst_sel:DWORD dst_unused:UNUSED_PAD src0_sel:WORD_0 src1_sel:DWORD
	v_mul_u32_u24_sdwa v73, v9, s44 dst_sel:DWORD dst_unused:UNUSED_PAD src0_sel:WORD_1 src1_sel:DWORD
	v_mul_u32_u24_sdwa v82, v10, s44 dst_sel:DWORD dst_unused:UNUSED_PAD src0_sel:WORD_0 src1_sel:DWORD
	v_mul_u32_u24_sdwa v83, v10, s44 dst_sel:DWORD dst_unused:UNUSED_PAD src0_sel:WORD_1 src1_sel:DWORD
	v_mul_u32_u24_sdwa v84, v11, s44 dst_sel:DWORD dst_unused:UNUSED_PAD src0_sel:WORD_0 src1_sel:DWORD
	v_mul_u32_u24_sdwa v85, v11, s44 dst_sel:DWORD dst_unused:UNUSED_PAD src0_sel:WORD_1 src1_sel:DWORD
	ds_read2_b64 v[8:11], v64 offset0:192 offset1:224
	s_waitcnt lgkmcnt(1)
	v_mul_u32_u24_sdwa v86, v32, s44 dst_sel:DWORD dst_unused:UNUSED_PAD src0_sel:WORD_0 src1_sel:DWORD
	v_mul_u32_u24_sdwa v87, v32, s44 dst_sel:DWORD dst_unused:UNUSED_PAD src0_sel:WORD_1 src1_sel:DWORD
	v_mul_u32_u24_sdwa v88, v33, s44 dst_sel:DWORD dst_unused:UNUSED_PAD src0_sel:WORD_0 src1_sel:DWORD
	v_mul_u32_u24_sdwa v89, v33, s44 dst_sel:DWORD dst_unused:UNUSED_PAD src0_sel:WORD_1 src1_sel:DWORD
	s_waitcnt lgkmcnt(0)
	v_pk_fma_f16 v74, v8, v94, v74
	v_pk_fma_f16 v75, v9, v94, v75
	;; [unrolled: 1-line block ×16, first 2 shown]
	ds_read2_b64 v[8:11], v65 offset1:32
	v_mul_u32_u24_sdwa v90, v34, s44 dst_sel:DWORD dst_unused:UNUSED_PAD src0_sel:WORD_0 src1_sel:DWORD
	v_mul_u32_u24_sdwa v91, v34, s44 dst_sel:DWORD dst_unused:UNUSED_PAD src0_sel:WORD_1 src1_sel:DWORD
	v_mul_u32_u24_sdwa v92, v35, s44 dst_sel:DWORD dst_unused:UNUSED_PAD src0_sel:WORD_0 src1_sel:DWORD
	v_mul_u32_u24_sdwa v93, v35, s44 dst_sel:DWORD dst_unused:UNUSED_PAD src0_sel:WORD_1 src1_sel:DWORD
	s_waitcnt lgkmcnt(0)
	v_pk_fma_f16 v32, v8, v98, v74
	v_pk_fma_f16 v33, v9, v98, v75
	;; [unrolled: 1-line block ×16, first 2 shown]
	ds_read2_b64 v[8:11], v65 offset0:64 offset1:96
	ds_read2_b64 v[12:15], v65 offset0:128 offset1:160
	s_waitcnt lgkmcnt(1)
	v_pk_fma_f16 v32, v8, v102, v32
	v_pk_fma_f16 v74, v8, v103, v74
	;; [unrolled: 1-line block ×16, first 2 shown]
	ds_read_b128 v[8:11], v59 offset:224
	s_waitcnt lgkmcnt(1)
	v_pk_fma_f16 v94, v12, v106, v32
	v_pk_fma_f16 v74, v12, v107, v74
	;; [unrolled: 1-line block ×12, first 2 shown]
	ds_read_b128 v[32:35], v59 offset:240
	v_pk_fma_f16 v12, v12, v109, v78
	v_pk_fma_f16 v13, v13, v109, v79
	;; [unrolled: 1-line block ×4, first 2 shown]
	s_waitcnt lgkmcnt(1)
	v_mul_u32_u24_sdwa v78, v8, s44 dst_sel:DWORD dst_unused:UNUSED_PAD src0_sel:WORD_0 src1_sel:DWORD
	v_mul_u32_u24_sdwa v79, v8, s44 dst_sel:DWORD dst_unused:UNUSED_PAD src0_sel:WORD_1 src1_sel:DWORD
	v_mul_u32_u24_sdwa v80, v9, s44 dst_sel:DWORD dst_unused:UNUSED_PAD src0_sel:WORD_0 src1_sel:DWORD
	v_mul_u32_u24_sdwa v81, v9, s44 dst_sel:DWORD dst_unused:UNUSED_PAD src0_sel:WORD_1 src1_sel:DWORD
	;; [unrolled: 2-line block ×4, first 2 shown]
	ds_read2_b64 v[8:11], v65 offset0:192 offset1:224
	s_waitcnt lgkmcnt(1)
	v_mul_u32_u24_sdwa v102, v32, s44 dst_sel:DWORD dst_unused:UNUSED_PAD src0_sel:WORD_0 src1_sel:DWORD
	v_mul_u32_u24_sdwa v103, v32, s44 dst_sel:DWORD dst_unused:UNUSED_PAD src0_sel:WORD_1 src1_sel:DWORD
	v_mul_u32_u24_sdwa v104, v33, s44 dst_sel:DWORD dst_unused:UNUSED_PAD src0_sel:WORD_0 src1_sel:DWORD
	v_mul_u32_u24_sdwa v105, v33, s44 dst_sel:DWORD dst_unused:UNUSED_PAD src0_sel:WORD_1 src1_sel:DWORD
	s_waitcnt lgkmcnt(0)
	v_pk_fma_f16 v94, v8, v7, v94
	v_pk_fma_f16 v95, v9, v7, v95
	;; [unrolled: 1-line block ×16, first 2 shown]
	ds_read2_b64 v[4:7], v66 offset1:32
	v_mul_u32_u24_sdwa v106, v34, s44 dst_sel:DWORD dst_unused:UNUSED_PAD src0_sel:WORD_0 src1_sel:DWORD
	v_mul_u32_u24_sdwa v107, v34, s44 dst_sel:DWORD dst_unused:UNUSED_PAD src0_sel:WORD_1 src1_sel:DWORD
	v_mul_u32_u24_sdwa v108, v35, s44 dst_sel:DWORD dst_unused:UNUSED_PAD src0_sel:WORD_0 src1_sel:DWORD
	v_mul_u32_u24_sdwa v109, v35, s44 dst_sel:DWORD dst_unused:UNUSED_PAD src0_sel:WORD_1 src1_sel:DWORD
	s_waitcnt lgkmcnt(0)
	v_pk_fma_f16 v12, v4, v68, v94
	v_pk_fma_f16 v13, v5, v68, v95
	;; [unrolled: 1-line block ×16, first 2 shown]
	ds_read2_b64 v[4:7], v66 offset0:64 offset1:96
	ds_read2_b64 v[8:11], v66 offset0:128 offset1:160
	s_waitcnt lgkmcnt(1)
	v_pk_fma_f16 v12, v4, v82, v12
	v_pk_fma_f16 v32, v4, v83, v32
	;; [unrolled: 1-line block ×16, first 2 shown]
	ds_read2_b64 v[4:7], v66 offset0:192 offset1:224
	s_waitcnt lgkmcnt(1)
	v_pk_fma_f16 v74, v8, v86, v12
	v_pk_fma_f16 v32, v8, v87, v32
	v_pk_fma_f16 v36, v8, v88, v36
	v_pk_fma_f16 v75, v9, v86, v13
	v_pk_fma_f16 v33, v9, v87, v33
	v_pk_fma_f16 v37, v9, v88, v37
	v_pk_fma_f16 v76, v10, v86, v14
	v_pk_fma_f16 v34, v10, v87, v34
	v_pk_fma_f16 v68, v10, v88, v68
	v_pk_fma_f16 v77, v11, v86, v15
	v_pk_fma_f16 v35, v11, v87, v35
	v_pk_fma_f16 v69, v11, v88, v69
	ds_read2_b64 v[12:15], v67 offset1:32
	v_pk_fma_f16 v70, v8, v89, v70
	v_pk_fma_f16 v71, v9, v89, v71
	;; [unrolled: 1-line block ×4, first 2 shown]
	ds_read2_b64 v[8:11], v67 offset0:64 offset1:96
	s_waitcnt lgkmcnt(2)
	v_pk_fma_f16 v74, v4, v90, v74
	v_pk_fma_f16 v75, v5, v90, v75
	;; [unrolled: 1-line block ×12, first 2 shown]
	ds_read2_b64 v[32:35], v67 offset0:128 offset1:160
	v_pk_fma_f16 v70, v4, v93, v70
	v_pk_fma_f16 v71, v5, v93, v71
	;; [unrolled: 1-line block ×4, first 2 shown]
	ds_read2_b64 v[4:7], v67 offset0:192 offset1:224
	s_waitcnt lgkmcnt(0)
	s_barrier
	s_load_dword s4, s[18:19], 0x4
	v_pk_fma_f16 v74, v12, v78, v74
	v_pk_fma_f16 v75, v13, v78, v75
	v_pk_fma_f16 v76, v14, v78, v76
	v_pk_fma_f16 v77, v15, v78, v77
	v_pk_fma_f16 v78, v12, v79, v82
	v_pk_fma_f16 v82, v13, v79, v83
	v_pk_fma_f16 v83, v14, v79, v84
	v_pk_fma_f16 v79, v15, v79, v85
	v_pk_fma_f16 v36, v12, v80, v36
	v_pk_fma_f16 v37, v13, v80, v37
	v_pk_fma_f16 v68, v14, v80, v68
	v_pk_fma_f16 v69, v15, v80, v69
	v_pk_fma_f16 v12, v12, v81, v70
	v_pk_fma_f16 v13, v13, v81, v71
	v_pk_fma_f16 v14, v14, v81, v72
	v_pk_fma_f16 v15, v15, v81, v73
	s_waitcnt lgkmcnt(0)
	s_lshl_b32 s4, s4, 5
	v_pk_fma_f16 v70, v8, v98, v74
	v_pk_fma_f16 v71, v8, v99, v78
	;; [unrolled: 1-line block ×16, first 2 shown]
	s_add_i32 s2, s4, s2
	v_pk_fma_f16 v12, v32, v102, v70
	v_pk_fma_f16 v13, v32, v103, v71
	;; [unrolled: 1-line block ×16, first 2 shown]
	s_cmp_ge_i32 s2, s36
	v_pk_fma_f16 v77, v4, v106, v12
	v_pk_fma_f16 v75, v4, v107, v13
	;; [unrolled: 1-line block ×16, first 2 shown]
	s_cbranch_scc0 .LBB26_9
.LBB26_10:
	v_cmp_lt_i32_e32 vcc, v51, v48
	s_cmp_lg_u64 s[20:21], 0
	s_cselect_b64 s[4:5], -1, 0
	v_cndmask_b32_e32 v4, v47, v51, vcc
	v_cmp_lt_i32_e32 vcc, v52, v48
	v_lshlrev_b32_e32 v7, 2, v4
	ds_bpermute_b32 v5, v7, v19
	v_cndmask_b32_e32 v4, v47, v52, vcc
	v_cmp_lt_i32_e32 vcc, v53, v48
	v_lshlrev_b32_e32 v11, 2, v4
	ds_bpermute_b32 v6, v7, v16
	v_cndmask_b32_e32 v4, v47, v53, vcc
	v_lshlrev_b32_e32 v12, 2, v4
	ds_bpermute_b32 v4, v7, v18
	ds_bpermute_b32 v7, v7, v17
	v_cmp_lt_i32_e32 vcc, v50, v48
	s_cmp_eq_u32 s3, 0
	s_cselect_b64 s[6:7], -1, 0
	s_waitcnt lgkmcnt(1)
	v_pk_add_f32 v[4:5], v[18:19], v[4:5]
	s_waitcnt lgkmcnt(0)
	v_pk_add_f32 v[6:7], v[16:17], v[6:7]
	ds_bpermute_b32 v8, v11, v4
	ds_bpermute_b32 v9, v11, v5
	;; [unrolled: 1-line block ×4, first 2 shown]
	v_cndmask_b32_e32 v13, v47, v50, vcc
	v_lshlrev_b32_e32 v13, 2, v13
	s_waitcnt lgkmcnt(2)
	v_pk_add_f32 v[4:5], v[4:5], v[8:9]
	ds_bpermute_b32 v8, v12, v4
	s_waitcnt lgkmcnt(1)
	v_pk_add_f32 v[6:7], v[6:7], v[10:11]
	ds_bpermute_b32 v9, v12, v5
	ds_bpermute_b32 v10, v12, v6
	;; [unrolled: 1-line block ×3, first 2 shown]
	v_cmp_lt_i32_e32 vcc, v49, v48
	s_and_b64 s[4:5], s[6:7], s[4:5]
	s_waitcnt lgkmcnt(2)
	v_pk_add_f32 v[4:5], v[4:5], v[8:9]
	ds_bpermute_b32 v8, v13, v4
	s_waitcnt lgkmcnt(1)
	v_pk_add_f32 v[6:7], v[6:7], v[10:11]
	ds_bpermute_b32 v9, v13, v5
	ds_bpermute_b32 v10, v13, v6
	;; [unrolled: 1-line block ×3, first 2 shown]
	v_cndmask_b32_e32 v12, v47, v49, vcc
	v_lshlrev_b32_e32 v13, 2, v12
	s_waitcnt lgkmcnt(2)
	v_pk_add_f32 v[4:5], v[4:5], v[8:9]
	ds_bpermute_b32 v8, v13, v4
	s_waitcnt lgkmcnt(1)
	v_pk_add_f32 v[10:11], v[6:7], v[10:11]
	ds_bpermute_b32 v9, v13, v5
	ds_bpermute_b32 v12, v13, v10
	;; [unrolled: 1-line block ×3, first 2 shown]
	s_and_b64 vcc, exec, s[4:5]
	s_waitcnt lgkmcnt(2)
	v_pk_add_f32 v[6:7], v[4:5], v[8:9]
	s_waitcnt lgkmcnt(0)
	v_pk_add_f32 v[4:5], v[10:11], v[12:13]
	s_cbranch_vccz .LBB26_12
; %bb.11:
	s_ashr_i32 s35, s34, 31
	s_lshl_b64 s[4:5], s[34:35], 2
	s_add_u32 s4, s20, s4
	s_addc_u32 s5, s21, s5
	v_mov_b32_e32 v8, 0
	global_load_dwordx2 v[12:13], v8, s[4:5]
	v_max_f32_e32 v8, v0, v0
	v_max_f32_e32 v9, v1, v1
	;; [unrolled: 1-line block ×3, first 2 shown]
	s_mov_b32 s5, 0x3fb8aa3b
	s_mov_b32 s2, 0xc2ce8ed0
	;; [unrolled: 1-line block ×3, first 2 shown]
	v_mov_b32_e32 v16, 0x7f800000
	s_waitcnt vmcnt(0)
	v_max_f32_e32 v11, v12, v12
	v_max_f32_e32 v8, v8, v11
	;; [unrolled: 1-line block ×3, first 2 shown]
	v_sub_f32_e32 v0, v0, v8
	v_max_f32_e32 v9, v9, v17
	v_max_f32_e32 v10, v10, v11
	v_sub_f32_e32 v11, v12, v8
	v_mul_f32_e32 v14, 0x3fb8aa3b, v0
	v_sub_f32_e32 v1, v1, v9
	v_mul_f32_e32 v18, 0x3fb8aa3b, v11
	v_fma_f32 v23, v0, s5, -v14
	v_rndne_f32_e32 v24, v14
	v_sub_f32_e32 v15, v13, v9
	v_mul_f32_e32 v19, 0x3fb8aa3b, v1
	v_fma_f32 v25, v11, s5, -v18
	v_rndne_f32_e32 v26, v18
	v_fmac_f32_e32 v23, 0x32a5705f, v0
	v_sub_f32_e32 v14, v14, v24
	v_mul_f32_e32 v20, 0x3fb8aa3b, v15
	v_fma_f32 v27, v1, s5, -v19
	v_rndne_f32_e32 v28, v19
	v_fmac_f32_e32 v25, 0x32a5705f, v11
	v_sub_f32_e32 v18, v18, v26
	v_add_f32_e32 v14, v14, v23
	v_fma_f32 v29, v15, s5, -v20
	v_rndne_f32_e32 v30, v20
	v_cvt_i32_f32_e32 v24, v24
	v_fmac_f32_e32 v27, 0x32a5705f, v1
	v_sub_f32_e32 v19, v19, v28
	v_add_f32_e32 v18, v18, v25
	v_exp_f32_e32 v14, v14
	v_cvt_i32_f32_e32 v26, v26
	v_fmac_f32_e32 v29, 0x32a5705f, v15
	v_sub_f32_e32 v20, v20, v30
	v_add_f32_e32 v19, v19, v27
	v_exp_f32_e32 v18, v18
	v_cvt_i32_f32_e32 v28, v28
	v_add_f32_e32 v20, v20, v29
	v_exp_f32_e32 v19, v19
	v_cvt_i32_f32_e32 v30, v30
	v_exp_f32_e32 v20, v20
	v_ldexp_f32 v14, v14, v24
	v_cmp_ngt_f32_e32 vcc, s2, v0
	v_ldexp_f32 v18, v18, v26
	v_ldexp_f32 v19, v19, v28
	v_cndmask_b32_e32 v14, 0, v14, vcc
	v_cmp_ngt_f32_e32 vcc, s2, v11
	v_ldexp_f32 v20, v20, v30
	v_sub_f32_e32 v2, v2, v10
	v_cndmask_b32_e32 v18, 0, v18, vcc
	v_cmp_ngt_f32_e32 vcc, s2, v1
	v_mul_f32_e32 v21, 0x3fb8aa3b, v2
	v_sub_f32_e32 v12, v12, v10
	v_cndmask_b32_e32 v19, 0, v19, vcc
	v_cmp_ngt_f32_e32 vcc, s2, v15
	v_fma_f32 v31, v2, s5, -v21
	v_rndne_f32_e32 v32, v21
	v_cndmask_b32_e32 v20, 0, v20, vcc
	v_cmp_nlt_f32_e32 vcc, s4, v0
	v_mul_f32_e32 v22, 0x3fb8aa3b, v12
	v_fmac_f32_e32 v31, 0x32a5705f, v2
	v_cndmask_b32_e32 v0, v16, v14, vcc
	v_cmp_nlt_f32_e32 vcc, s4, v11
	v_cvt_f16_f32_e32 v11, v0
	v_sub_f32_e32 v21, v21, v32
	v_cndmask_b32_e32 v14, v16, v18, vcc
	v_cmp_nlt_f32_e32 vcc, s4, v1
	v_fma_f32 v33, v12, s5, -v22
	v_rndne_f32_e32 v34, v22
	v_add_f32_e32 v21, v21, v31
	v_cndmask_b32_e32 v1, v16, v19, vcc
	v_cvt_i32_f32_e32 v32, v32
	v_fmac_f32_e32 v33, 0x32a5705f, v12
	v_sub_f32_e32 v22, v22, v34
	v_exp_f32_e32 v21, v21
	v_cvt_f16_f32_e32 v18, v1
	v_add_f32_e32 v22, v22, v33
	v_mul_u32_u24_e32 v11, 0x10001, v11
	v_exp_f32_e32 v22, v22
	v_pk_mul_f16 v77, v77, v11
	v_pk_mul_f16 v83, v83, v11
	;; [unrolled: 1-line block ×4, first 2 shown]
	v_cvt_i32_f32_e32 v11, v34
	v_cmp_nlt_f32_e32 vcc, s4, v15
	v_ldexp_f32 v21, v21, v32
	v_mul_u32_u24_e32 v18, 0x10001, v18
	v_cndmask_b32_e32 v15, v16, v20, vcc
	v_cmp_ngt_f32_e32 vcc, s2, v2
	v_pk_mul_f16 v75, v75, v18
	v_pk_mul_f16 v80, v80, v18
	;; [unrolled: 1-line block ×4, first 2 shown]
	v_cndmask_b32_e32 v18, 0, v21, vcc
	v_cmp_nlt_f32_e32 vcc, s4, v2
	v_ldexp_f32 v11, v22, v11
	v_pk_fma_f32 v[6:7], v[6:7], v[0:1], v[14:15]
	v_cndmask_b32_e32 v2, v16, v18, vcc
	v_cmp_ngt_f32_e32 vcc, s2, v12
	v_cvt_f16_f32_e32 v18, v2
	v_mul_u32_u24_e32 v18, 0x10001, v18
	v_cndmask_b32_e32 v11, 0, v11, vcc
	v_cmp_nlt_f32_e32 vcc, s4, v12
	v_pk_mul_f16 v70, v70, v18
	v_pk_mul_f16 v76, v76, v18
	v_cndmask_b32_e32 v12, v16, v11, vcc
	v_max_f32_e32 v11, v3, v3
	v_max_f32_e32 v11, v11, v17
	v_sub_f32_e32 v3, v3, v11
	v_mul_f32_e32 v17, 0x3fb8aa3b, v3
	v_fma_f32 v19, v3, s5, -v17
	v_rndne_f32_e32 v20, v17
	v_fmac_f32_e32 v19, 0x32a5705f, v3
	v_sub_f32_e32 v17, v17, v20
	v_add_f32_e32 v17, v17, v19
	v_exp_f32_e32 v17, v17
	v_cvt_i32_f32_e32 v19, v20
	v_sub_f32_e32 v13, v13, v11
	v_pk_mul_f16 v74, v74, v18
	v_pk_mul_f16 v73, v73, v18
	v_mul_f32_e32 v18, 0x3fb8aa3b, v13
	v_ldexp_f32 v17, v17, v19
	v_fma_f32 v19, v13, s5, -v18
	v_rndne_f32_e32 v20, v18
	v_fmac_f32_e32 v19, 0x32a5705f, v13
	v_sub_f32_e32 v18, v18, v20
	v_add_f32_e32 v18, v18, v19
	v_exp_f32_e32 v18, v18
	v_cvt_i32_f32_e32 v19, v20
	v_cmp_ngt_f32_e32 vcc, s2, v3
	s_nop 1
	v_cndmask_b32_e32 v17, 0, v17, vcc
	v_cmp_nlt_f32_e32 vcc, s4, v3
	s_nop 1
	v_cndmask_b32_e32 v3, v16, v17, vcc
	v_ldexp_f32 v17, v18, v19
	v_cvt_f16_f32_e32 v18, v3
	v_cmp_ngt_f32_e32 vcc, s2, v13
	s_nop 1
	v_cndmask_b32_e32 v17, 0, v17, vcc
	v_cmp_nlt_f32_e32 vcc, s4, v13
	s_nop 1
	v_cndmask_b32_e32 v13, v16, v17, vcc
	v_mul_u32_u24_e32 v16, 0x10001, v18
	v_pk_fma_f32 v[4:5], v[4:5], v[2:3], v[12:13]
	v_mov_b64_e32 v[0:1], v[8:9]
	v_pk_mul_f16 v72, v72, v16
	v_pk_mul_f16 v71, v71, v16
	v_pk_mul_f16 v69, v69, v16
	v_pk_mul_f16 v68, v68, v16
	v_mov_b64_e32 v[2:3], v[10:11]
.LBB26_12:
	v_cmp_gt_i32_e32 vcc, s30, v45
	s_and_saveexec_b64 s[4:5], vcc
	s_cbranch_execz .LBB26_31
; %bb.13:
	s_load_dword s2, s[0:1], 0xd4
	v_mov_b32_e32 v8, 1.0
	s_waitcnt lgkmcnt(0)
	s_cmp_lg_u32 s2, 1
	s_cselect_b64 s[0:1], -1, 0
	s_cmp_eq_u32 s2, 1
	s_cselect_b64 s[6:7], -1, 0
	s_and_b64 vcc, exec, s[0:1]
	s_cbranch_vccnz .LBB26_15
; %bb.14:
	v_div_scale_f32 v8, s[4:5], v6, v6, 1.0
	v_rcp_f32_e32 v9, v8
	v_div_scale_f32 v10, vcc, 1.0, v6, 1.0
	v_fma_f32 v11, -v8, v9, 1.0
	v_fmac_f32_e32 v9, v11, v9
	v_mul_f32_e32 v11, v10, v9
	v_fma_f32 v12, -v8, v11, v10
	v_fmac_f32_e32 v11, v12, v9
	v_fma_f32 v8, -v8, v11, v10
	v_div_fmas_f32 v8, v8, v9, v11
	v_div_fixup_f32 v8, v8, v6, 1.0
.LBB26_15:
	s_mul_i32 s8, s33, s30
	s_add_i32 s8, s8, s37
	v_add_u32_e32 v9, s8, v43
	v_mul_lo_u32 v9, v9, s31
	v_add_u32_e32 v10, s34, v9
	v_cvt_f32_f16_sdwa v13, v77 dst_sel:DWORD dst_unused:UNUSED_PAD src0_sel:WORD_1
	v_cvt_f32_f16_e32 v12, v77
	v_cvt_f32_f16_sdwa v15, v83 dst_sel:DWORD dst_unused:UNUSED_PAD src0_sel:WORD_1
	v_cvt_f32_f16_e32 v14, v83
	v_mul_lo_u32 v10, s2, v10
	v_add_u32_e32 v10, s3, v10
	v_lshl_add_u32 v16, v10, 8, v42
	v_mov_b32_e32 v17, 0
	v_lshl_add_u64 v[18:19], v[16:17], 2, s[24:25]
	v_pk_mul_f32 v[12:13], v[8:9], v[12:13] op_sel_hi:[0,1]
	v_pk_mul_f32 v[14:15], v[8:9], v[14:15] op_sel_hi:[0,1]
	global_store_dwordx4 v[18:19], v[12:15], off
	v_cmp_eq_u32_e32 vcc, 0, v44
	v_add_u32_e32 v16, 0x80, v16
	v_cvt_f32_f16_sdwa v13, v82 dst_sel:DWORD dst_unused:UNUSED_PAD src0_sel:WORD_1
	v_cvt_f32_f16_e32 v12, v82
	v_cvt_f32_f16_sdwa v15, v81 dst_sel:DWORD dst_unused:UNUSED_PAD src0_sel:WORD_1
	v_cvt_f32_f16_e32 v14, v81
	v_lshl_add_u64 v[16:17], v[16:17], 2, s[24:25]
	v_pk_mul_f32 v[12:13], v[8:9], v[12:13] op_sel_hi:[0,1]
	s_and_b64 s[4:5], vcc, s[0:1]
	v_pk_mul_f32 v[14:15], v[8:9], v[14:15] op_sel_hi:[0,1]
	global_store_dwordx4 v[16:17], v[12:15], off
	s_and_saveexec_b64 s[0:1], s[4:5]
	s_cbranch_execz .LBB26_17
; %bb.16:
	v_ashrrev_i32_e32 v11, 31, v10
	v_lshl_add_u64 v[10:11], v[10:11], 3, s[26:27]
	v_mov_b32_e32 v12, v0
	v_mov_b32_e32 v13, v6
	global_store_dwordx2 v[10:11], v[12:13], off
.LBB26_17:
	s_or_b64 exec, exec, s[0:1]
	v_cndmask_b32_e64 v0, 0, 1, s[6:7]
	v_cmp_ne_u32_e64 s[0:1], 1, v0
	s_andn2_b64 vcc, exec, s[6:7]
	v_mov_b32_e32 v0, 1.0
	s_cbranch_vccnz .LBB26_19
; %bb.18:
	v_div_scale_f32 v0, s[6:7], v7, v7, 1.0
	v_rcp_f32_e32 v6, v0
	v_div_scale_f32 v8, vcc, 1.0, v7, 1.0
	v_fma_f32 v10, -v0, v6, 1.0
	v_fmac_f32_e32 v6, v10, v6
	v_mul_f32_e32 v10, v8, v6
	v_fma_f32 v11, -v0, v10, v8
	v_fmac_f32_e32 v10, v11, v6
	v_fma_f32 v0, -v0, v10, v8
	v_div_fmas_f32 v0, v0, v6, v10
	v_div_fixup_f32 v0, v0, v7, 1.0
.LBB26_19:
	s_add_i32 s9, s34, 1
	v_add_u32_e32 v6, s9, v9
	v_cvt_f32_f16_sdwa v11, v75 dst_sel:DWORD dst_unused:UNUSED_PAD src0_sel:WORD_1
	v_cvt_f32_f16_e32 v10, v75
	v_cvt_f32_f16_sdwa v13, v80 dst_sel:DWORD dst_unused:UNUSED_PAD src0_sel:WORD_1
	v_cvt_f32_f16_e32 v12, v80
	v_mul_lo_u32 v6, s2, v6
	v_add_u32_e32 v8, s3, v6
	v_lshl_add_u32 v14, v8, 8, v42
	v_mov_b32_e32 v15, 0
	v_lshl_add_u64 v[16:17], v[14:15], 2, s[24:25]
	v_pk_mul_f32 v[10:11], v[0:1], v[10:11] op_sel_hi:[0,1]
	v_pk_mul_f32 v[12:13], v[0:1], v[12:13] op_sel_hi:[0,1]
	global_store_dwordx4 v[16:17], v[10:13], off
	v_add_u32_e32 v14, 0x80, v14
	v_lshl_add_u64 v[14:15], v[14:15], 2, s[24:25]
	v_cvt_f32_f16_sdwa v11, v79 dst_sel:DWORD dst_unused:UNUSED_PAD src0_sel:WORD_1
	v_cvt_f32_f16_e32 v10, v79
	v_cvt_f32_f16_sdwa v13, v78 dst_sel:DWORD dst_unused:UNUSED_PAD src0_sel:WORD_1
	v_cvt_f32_f16_e32 v12, v78
	v_pk_mul_f32 v[10:11], v[0:1], v[10:11] op_sel_hi:[0,1]
	v_pk_mul_f32 v[12:13], v[0:1], v[12:13] op_sel_hi:[0,1]
	global_store_dwordx4 v[14:15], v[10:13], off
	s_and_saveexec_b64 s[6:7], s[4:5]
	s_cbranch_execz .LBB26_21
; %bb.20:
	v_ashrrev_i32_e32 v9, 31, v8
	v_lshl_add_u64 v[8:9], v[8:9], 3, s[26:27]
	v_mov_b32_e32 v6, v1
	global_store_dwordx2 v[8:9], v[6:7], off
.LBB26_21:
	s_or_b64 exec, exec, s[6:7]
	v_cmp_gt_i32_e32 vcc, s30, v41
	s_and_b64 exec, exec, vcc
	s_cbranch_execz .LBB26_31
; %bb.22:
	s_and_b64 vcc, exec, s[0:1]
	v_mov_b32_e32 v6, 1.0
	s_cbranch_vccnz .LBB26_24
; %bb.23:
	v_div_scale_f32 v0, s[6:7], v4, v4, 1.0
	v_rcp_f32_e32 v1, v0
	v_div_scale_f32 v6, vcc, 1.0, v4, 1.0
	v_fma_f32 v7, -v0, v1, 1.0
	v_fmac_f32_e32 v1, v7, v1
	v_mul_f32_e32 v7, v6, v1
	v_fma_f32 v8, -v0, v7, v6
	v_fmac_f32_e32 v7, v8, v1
	v_fma_f32 v0, -v0, v7, v6
	v_div_fmas_f32 v0, v0, v1, v7
	v_div_fixup_f32 v6, v0, v4, 1.0
.LBB26_24:
	v_add_u32_e32 v0, s8, v40
	v_mul_lo_u32 v0, v0, s31
	v_add_u32_e32 v0, s34, v0
	v_cvt_f32_f16_sdwa v9, v70 dst_sel:DWORD dst_unused:UNUSED_PAD src0_sel:WORD_1
	v_cvt_f32_f16_e32 v8, v70
	v_cvt_f32_f16_sdwa v11, v76 dst_sel:DWORD dst_unused:UNUSED_PAD src0_sel:WORD_1
	v_cvt_f32_f16_e32 v10, v76
	v_mul_lo_u32 v0, s2, v0
	v_add_u32_e32 v0, s3, v0
	v_lshl_add_u32 v12, v0, 8, v42
	v_mov_b32_e32 v13, 0
	v_lshl_add_u64 v[14:15], v[12:13], 2, s[24:25]
	v_pk_mul_f32 v[8:9], v[6:7], v[8:9] op_sel_hi:[0,1]
	v_pk_mul_f32 v[10:11], v[6:7], v[10:11] op_sel_hi:[0,1]
	global_store_dwordx4 v[14:15], v[8:11], off
	v_add_u32_e32 v12, 0x80, v12
	v_lshl_add_u64 v[12:13], v[12:13], 2, s[24:25]
	v_cvt_f32_f16_sdwa v9, v74 dst_sel:DWORD dst_unused:UNUSED_PAD src0_sel:WORD_1
	v_cvt_f32_f16_e32 v8, v74
	v_cvt_f32_f16_sdwa v11, v73 dst_sel:DWORD dst_unused:UNUSED_PAD src0_sel:WORD_1
	v_cvt_f32_f16_e32 v10, v73
	v_pk_mul_f32 v[8:9], v[6:7], v[8:9] op_sel_hi:[0,1]
	v_pk_mul_f32 v[10:11], v[6:7], v[10:11] op_sel_hi:[0,1]
	global_store_dwordx4 v[12:13], v[8:11], off
	s_and_saveexec_b64 s[6:7], s[4:5]
	s_cbranch_execz .LBB26_26
; %bb.25:
	v_ashrrev_i32_e32 v1, 31, v0
	v_lshl_add_u64 v[0:1], v[0:1], 3, s[26:27]
	v_mov_b32_e32 v6, v2
	v_mov_b32_e32 v7, v4
	global_store_dwordx2 v[0:1], v[6:7], off
.LBB26_26:
	s_or_b64 exec, exec, s[6:7]
	v_cmp_gt_i32_e32 vcc, s30, v39
	s_and_b64 exec, exec, vcc
	s_cbranch_execz .LBB26_31
; %bb.27:
	s_and_b64 vcc, exec, s[0:1]
	v_mov_b32_e32 v2, 1.0
	s_cbranch_vccnz .LBB26_29
; %bb.28:
	v_div_scale_f32 v0, s[0:1], v5, v5, 1.0
	v_rcp_f32_e32 v1, v0
	v_div_scale_f32 v2, vcc, 1.0, v5, 1.0
	v_fma_f32 v4, -v0, v1, 1.0
	v_fmac_f32_e32 v1, v4, v1
	v_mul_f32_e32 v4, v2, v1
	v_fma_f32 v6, -v0, v4, v2
	v_fmac_f32_e32 v4, v6, v1
	v_fma_f32 v0, -v0, v4, v2
	v_div_fmas_f32 v0, v0, v1, v4
	v_div_fixup_f32 v2, v0, v5, 1.0
.LBB26_29:
	v_add_u32_e32 v0, s8, v38
	v_mul_lo_u32 v0, v0, s31
	v_add_u32_e32 v0, s9, v0
	v_cvt_f32_f16_sdwa v7, v72 dst_sel:DWORD dst_unused:UNUSED_PAD src0_sel:WORD_1
	v_cvt_f32_f16_e32 v6, v72
	v_cvt_f32_f16_sdwa v9, v71 dst_sel:DWORD dst_unused:UNUSED_PAD src0_sel:WORD_1
	v_cvt_f32_f16_e32 v8, v71
	v_mul_lo_u32 v0, s2, v0
	v_add_u32_e32 v0, s3, v0
	v_lshl_add_u32 v10, v0, 8, v42
	v_mov_b32_e32 v11, 0
	v_lshl_add_u64 v[12:13], v[10:11], 2, s[24:25]
	v_pk_mul_f32 v[6:7], v[2:3], v[6:7] op_sel_hi:[0,1]
	v_pk_mul_f32 v[8:9], v[2:3], v[8:9] op_sel_hi:[0,1]
	global_store_dwordx4 v[12:13], v[6:9], off
	v_add_u32_e32 v10, 0x80, v10
	v_lshl_add_u64 v[10:11], v[10:11], 2, s[24:25]
	v_cvt_f32_f16_sdwa v7, v69 dst_sel:DWORD dst_unused:UNUSED_PAD src0_sel:WORD_1
	v_cvt_f32_f16_e32 v6, v69
	v_cvt_f32_f16_sdwa v9, v68 dst_sel:DWORD dst_unused:UNUSED_PAD src0_sel:WORD_1
	v_cvt_f32_f16_e32 v8, v68
	v_pk_mul_f32 v[6:7], v[2:3], v[6:7] op_sel_hi:[0,1]
	v_pk_mul_f32 v[8:9], v[2:3], v[8:9] op_sel_hi:[0,1]
	global_store_dwordx4 v[10:11], v[6:9], off
	s_and_b64 exec, exec, s[4:5]
	s_cbranch_execz .LBB26_31
; %bb.30:
	v_ashrrev_i32_e32 v1, 31, v0
	v_lshl_add_u64 v[0:1], v[0:1], 3, s[26:27]
	v_mov_b32_e32 v4, v3
	global_store_dwordx2 v[0:1], v[4:5], off
.LBB26_31:
	s_endpgm
	.section	.rodata,"a",@progbits
	.p2align	6, 0x0
	.amdhsa_kernel _ZL15flash_attn_tileILi256ELi256ELi16ELi2ELb0EEvPKcS1_S1_S1_S1_PKiPfP15HIP_vector_typeIfLj2EEffffjfiS5_IjLj3EEiiiiiiiiiiiliiliiiiil
		.amdhsa_group_segment_fixed_size 27136
		.amdhsa_private_segment_fixed_size 0
		.amdhsa_kernarg_size 464
		.amdhsa_user_sgpr_count 2
		.amdhsa_user_sgpr_dispatch_ptr 0
		.amdhsa_user_sgpr_queue_ptr 0
		.amdhsa_user_sgpr_kernarg_segment_ptr 1
		.amdhsa_user_sgpr_dispatch_id 0
		.amdhsa_user_sgpr_kernarg_preload_length 0
		.amdhsa_user_sgpr_kernarg_preload_offset 0
		.amdhsa_user_sgpr_private_segment_size 0
		.amdhsa_uses_dynamic_stack 0
		.amdhsa_enable_private_segment 0
		.amdhsa_system_sgpr_workgroup_id_x 1
		.amdhsa_system_sgpr_workgroup_id_y 1
		.amdhsa_system_sgpr_workgroup_id_z 1
		.amdhsa_system_sgpr_workgroup_info 0
		.amdhsa_system_vgpr_workitem_id 1
		.amdhsa_next_free_vgpr 110
		.amdhsa_next_free_sgpr 91
		.amdhsa_accum_offset 112
		.amdhsa_reserve_vcc 1
		.amdhsa_float_round_mode_32 0
		.amdhsa_float_round_mode_16_64 0
		.amdhsa_float_denorm_mode_32 3
		.amdhsa_float_denorm_mode_16_64 3
		.amdhsa_dx10_clamp 1
		.amdhsa_ieee_mode 1
		.amdhsa_fp16_overflow 0
		.amdhsa_tg_split 0
		.amdhsa_exception_fp_ieee_invalid_op 0
		.amdhsa_exception_fp_denorm_src 0
		.amdhsa_exception_fp_ieee_div_zero 0
		.amdhsa_exception_fp_ieee_overflow 0
		.amdhsa_exception_fp_ieee_underflow 0
		.amdhsa_exception_fp_ieee_inexact 0
		.amdhsa_exception_int_div_zero 0
	.end_amdhsa_kernel
	.section	.text._ZL15flash_attn_tileILi256ELi256ELi16ELi2ELb0EEvPKcS1_S1_S1_S1_PKiPfP15HIP_vector_typeIfLj2EEffffjfiS5_IjLj3EEiiiiiiiiiiiliiliiiiil,"axG",@progbits,_ZL15flash_attn_tileILi256ELi256ELi16ELi2ELb0EEvPKcS1_S1_S1_S1_PKiPfP15HIP_vector_typeIfLj2EEffffjfiS5_IjLj3EEiiiiiiiiiiiliiliiiiil,comdat
.Lfunc_end26:
	.size	_ZL15flash_attn_tileILi256ELi256ELi16ELi2ELb0EEvPKcS1_S1_S1_S1_PKiPfP15HIP_vector_typeIfLj2EEffffjfiS5_IjLj3EEiiiiiiiiiiiliiliiiiil, .Lfunc_end26-_ZL15flash_attn_tileILi256ELi256ELi16ELi2ELb0EEvPKcS1_S1_S1_S1_PKiPfP15HIP_vector_typeIfLj2EEffffjfiS5_IjLj3EEiiiiiiiiiiiliiliiiiil
                                        ; -- End function
	.set _ZL15flash_attn_tileILi256ELi256ELi16ELi2ELb0EEvPKcS1_S1_S1_S1_PKiPfP15HIP_vector_typeIfLj2EEffffjfiS5_IjLj3EEiiiiiiiiiiiliiliiiiil.num_vgpr, 110
	.set _ZL15flash_attn_tileILi256ELi256ELi16ELi2ELb0EEvPKcS1_S1_S1_S1_PKiPfP15HIP_vector_typeIfLj2EEffffjfiS5_IjLj3EEiiiiiiiiiiiliiliiiiil.num_agpr, 0
	.set _ZL15flash_attn_tileILi256ELi256ELi16ELi2ELb0EEvPKcS1_S1_S1_S1_PKiPfP15HIP_vector_typeIfLj2EEffffjfiS5_IjLj3EEiiiiiiiiiiiliiliiiiil.numbered_sgpr, 45
	.set _ZL15flash_attn_tileILi256ELi256ELi16ELi2ELb0EEvPKcS1_S1_S1_S1_PKiPfP15HIP_vector_typeIfLj2EEffffjfiS5_IjLj3EEiiiiiiiiiiiliiliiiiil.num_named_barrier, 0
	.set _ZL15flash_attn_tileILi256ELi256ELi16ELi2ELb0EEvPKcS1_S1_S1_S1_PKiPfP15HIP_vector_typeIfLj2EEffffjfiS5_IjLj3EEiiiiiiiiiiiliiliiiiil.private_seg_size, 0
	.set _ZL15flash_attn_tileILi256ELi256ELi16ELi2ELb0EEvPKcS1_S1_S1_S1_PKiPfP15HIP_vector_typeIfLj2EEffffjfiS5_IjLj3EEiiiiiiiiiiiliiliiiiil.uses_vcc, 1
	.set _ZL15flash_attn_tileILi256ELi256ELi16ELi2ELb0EEvPKcS1_S1_S1_S1_PKiPfP15HIP_vector_typeIfLj2EEffffjfiS5_IjLj3EEiiiiiiiiiiiliiliiiiil.uses_flat_scratch, 0
	.set _ZL15flash_attn_tileILi256ELi256ELi16ELi2ELb0EEvPKcS1_S1_S1_S1_PKiPfP15HIP_vector_typeIfLj2EEffffjfiS5_IjLj3EEiiiiiiiiiiiliiliiiiil.has_dyn_sized_stack, 0
	.set _ZL15flash_attn_tileILi256ELi256ELi16ELi2ELb0EEvPKcS1_S1_S1_S1_PKiPfP15HIP_vector_typeIfLj2EEffffjfiS5_IjLj3EEiiiiiiiiiiiliiliiiiil.has_recursion, 0
	.set _ZL15flash_attn_tileILi256ELi256ELi16ELi2ELb0EEvPKcS1_S1_S1_S1_PKiPfP15HIP_vector_typeIfLj2EEffffjfiS5_IjLj3EEiiiiiiiiiiiliiliiiiil.has_indirect_call, 0
	.section	.AMDGPU.csdata,"",@progbits
; Kernel info:
; codeLenInByte = 24092
; TotalNumSgprs: 51
; NumVgprs: 110
; NumAgprs: 0
; TotalNumVgprs: 110
; ScratchSize: 0
; MemoryBound: 0
; FloatMode: 240
; IeeeMode: 1
; LDSByteSize: 27136 bytes/workgroup (compile time only)
; SGPRBlocks: 12
; VGPRBlocks: 13
; NumSGPRsForWavesPerEU: 97
; NumVGPRsForWavesPerEU: 110
; AccumOffset: 112
; Occupancy: 4
; WaveLimiterHint : 1
; COMPUTE_PGM_RSRC2:SCRATCH_EN: 0
; COMPUTE_PGM_RSRC2:USER_SGPR: 2
; COMPUTE_PGM_RSRC2:TRAP_HANDLER: 0
; COMPUTE_PGM_RSRC2:TGID_X_EN: 1
; COMPUTE_PGM_RSRC2:TGID_Y_EN: 1
; COMPUTE_PGM_RSRC2:TGID_Z_EN: 1
; COMPUTE_PGM_RSRC2:TIDIG_COMP_CNT: 1
; COMPUTE_PGM_RSRC3_GFX90A:ACCUM_OFFSET: 27
; COMPUTE_PGM_RSRC3_GFX90A:TG_SPLIT: 0
	.section	.text._ZL25flash_attn_mask_to_KV_maxILi16EEvPK7__half2Piiii,"axG",@progbits,_ZL25flash_attn_mask_to_KV_maxILi16EEvPK7__half2Piiii,comdat
	.globl	_ZL25flash_attn_mask_to_KV_maxILi16EEvPK7__half2Piiii ; -- Begin function _ZL25flash_attn_mask_to_KV_maxILi16EEvPK7__half2Piiii
	.p2align	8
	.type	_ZL25flash_attn_mask_to_KV_maxILi16EEvPK7__half2Piiii,@function
_ZL25flash_attn_mask_to_KV_maxILi16EEvPK7__half2Piiii: ; @_ZL25flash_attn_mask_to_KV_maxILi16EEvPK7__half2Piiii
; %bb.0:
	s_load_dwordx4 s[4:7], s[0:1], 0x0
	v_cmp_gt_u32_e32 vcc, 32, v0
	s_and_saveexec_b64 s[8:9], vcc
; %bb.1:
	v_lshlrev_b32_e32 v1, 2, v0
	v_mov_b32_e32 v2, 1
	ds_write_b32 v1, v2
; %bb.2:
	s_or_b64 exec, exec, s[8:9]
	s_load_dwordx4 s[8:11], s[0:1], 0x10
	s_load_dword s33, s[0:1], 0x20
	v_and_b32_e32 v2, 31, v0
	v_lshlrev_b32_e32 v6, 2, v2
	v_lshrrev_b32_e32 v1, 3, v0
	s_waitcnt lgkmcnt(0)
	s_mul_i32 s1, s2, s9
	s_mul_i32 s0, s10, s3
	s_lshl_b32 s1, s1, 4
	s_add_i32 s0, s0, s1
	s_ashr_i32 s1, s0, 31
	s_lshl_b64 s[0:1], s[0:1], 2
	s_add_u32 s10, s4, s0
	s_addc_u32 s11, s5, s1
	v_cmp_eq_u32_e64 s[0:1], 0, v2
	v_mbcnt_lo_u32_b32 v2, -1, 0
	s_lshl_b32 s8, s8, 8
	s_mov_b64 s[12:13], 0
	v_mov_b32_e32 v3, 0
	s_movk_i32 s74, 0x204
	v_mbcnt_hi_u32_b32 v7, -1, v2
	s_barrier
                                        ; implicit-def: $sgpr4_sgpr5
	s_branch .LBB27_5
.LBB27_3:                               ;   in Loop: Header=BB27_5 Depth=1
	s_or_b64 exec, exec, s[14:15]
	s_waitcnt lgkmcnt(0)
	s_barrier
	ds_read_b32 v10, v6
	s_waitcnt lgkmcnt(0)
	s_barrier
	ds_bpermute_b32 v2, v2, v10
	v_cmp_ne_u32_e32 vcc, 0, v10
	s_waitcnt lgkmcnt(0)
	v_cmp_ne_u32_e64 s[4:5], 0, v2
	s_and_b64 s[4:5], vcc, s[4:5]
	s_nop 0
	v_cndmask_b32_e64 v2, 0, 1, s[4:5]
	ds_bpermute_b32 v2, v4, v2
	s_waitcnt lgkmcnt(0)
	v_cmp_ne_u32_e32 vcc, 0, v2
	s_and_b64 s[4:5], vcc, s[4:5]
	v_cndmask_b32_e64 v2, 0, 1, s[4:5]
	ds_bpermute_b32 v2, v5, v2
	s_waitcnt lgkmcnt(0)
	v_cmp_ne_u32_e32 vcc, 0, v2
	s_and_b64 s[4:5], vcc, s[4:5]
	;; [unrolled: 5-line block ×3, first 2 shown]
	v_cndmask_b32_e64 v2, 0, 1, s[4:5]
	ds_bpermute_b32 v2, v9, v2
	s_xor_b64 s[4:5], s[4:5], -1
	s_waitcnt lgkmcnt(0)
	v_cmp_eq_u32_e32 vcc, 0, v2
	s_or_b64 s[4:5], vcc, s[4:5]
.LBB27_4:                               ;   in Loop: Header=BB27_5 Depth=1
	s_and_b64 s[14:15], exec, s[4:5]
	s_or_b64 s[12:13], s[14:15], s[12:13]
	v_mov_b32_e32 v2, s8
	s_mov_b32 s8, s75
	s_andn2_b64 exec, exec, s[12:13]
	s_cbranch_execz .LBB27_68
.LBB27_5:                               ; =>This Inner Loop Header: Depth=1
	s_add_i32 s75, s8, 0xffffff00
	s_or_b64 s[4:5], s[4:5], exec
	s_cmp_lt_i32 s75, 0
	s_cbranch_scc1 .LBB27_4
; %bb.6:                                ;   in Loop: Header=BB27_5 Depth=1
	s_lshr_b32 s4, s75, 1
	v_add_u32_e32 v2, s4, v0
	v_lshl_add_u64 v[4:5], v[2:3], 2, s[10:11]
	global_load_dword v4, v[4:5], off
	v_mov_b32_e32 v5, 0
	s_waitcnt vmcnt(0)
	v_cmp_class_f16_e64 s[4:5], v4, s74
	v_cmp_class_f16_sdwa s[14:15], v4, s74 src0_sel:WORD_1 src1_sel:DWORD
	s_and_b64 s[14:15], s[4:5], s[14:15]
	s_and_saveexec_b64 s[4:5], s[14:15]
	s_cbranch_execz .LBB27_66
; %bb.7:                                ;   in Loop: Header=BB27_5 Depth=1
	v_add_u32_e32 v4, s9, v2
	v_ashrrev_i32_e32 v5, 31, v4
	v_lshl_add_u64 v[8:9], v[4:5], 2, s[10:11]
	global_load_dword v2, v[8:9], off
	v_mov_b32_e32 v5, 0
	s_waitcnt vmcnt(0)
	v_cmp_class_f16_e64 s[16:17], v2, s74
	s_and_saveexec_b64 s[14:15], s[16:17]
	s_cbranch_execz .LBB27_65
; %bb.8:                                ;   in Loop: Header=BB27_5 Depth=1
	v_cmp_class_f16_sdwa s[18:19], v2, s74 src0_sel:WORD_1 src1_sel:DWORD
	v_mov_b32_e32 v5, 0
	s_and_saveexec_b64 s[16:17], s[18:19]
	s_cbranch_execz .LBB27_64
; %bb.9:                                ;   in Loop: Header=BB27_5 Depth=1
	v_add_u32_e32 v4, s9, v4
	v_ashrrev_i32_e32 v5, 31, v4
	v_lshl_add_u64 v[8:9], v[4:5], 2, s[10:11]
	global_load_dword v2, v[8:9], off
	v_mov_b32_e32 v5, 0
	s_waitcnt vmcnt(0)
	v_cmp_class_f16_e64 s[20:21], v2, s74
	s_and_saveexec_b64 s[18:19], s[20:21]
	s_cbranch_execz .LBB27_63
; %bb.10:                               ;   in Loop: Header=BB27_5 Depth=1
	v_cmp_class_f16_sdwa s[22:23], v2, s74 src0_sel:WORD_1 src1_sel:DWORD
	v_mov_b32_e32 v5, 0
	s_and_saveexec_b64 s[20:21], s[22:23]
	s_cbranch_execz .LBB27_62
; %bb.11:                               ;   in Loop: Header=BB27_5 Depth=1
	v_add_u32_e32 v4, s9, v4
	v_ashrrev_i32_e32 v5, 31, v4
	v_lshl_add_u64 v[8:9], v[4:5], 2, s[10:11]
	global_load_dword v2, v[8:9], off
	v_mov_b32_e32 v5, 0
	s_waitcnt vmcnt(0)
	v_cmp_class_f16_e64 s[24:25], v2, s74
	s_and_saveexec_b64 s[22:23], s[24:25]
	s_cbranch_execz .LBB27_61
; %bb.12:                               ;   in Loop: Header=BB27_5 Depth=1
	v_cmp_class_f16_sdwa s[26:27], v2, s74 src0_sel:WORD_1 src1_sel:DWORD
	v_mov_b32_e32 v5, 0
	s_and_saveexec_b64 s[24:25], s[26:27]
	s_cbranch_execz .LBB27_60
; %bb.13:                               ;   in Loop: Header=BB27_5 Depth=1
	;; [unrolled: 15-line block ×13, first 2 shown]
	v_add_u32_e32 v4, s9, v4
	v_ashrrev_i32_e32 v5, 31, v4
	v_lshl_add_u64 v[4:5], v[4:5], 2, s[10:11]
	global_load_dword v2, v[4:5], off
	v_mov_b32_e32 v5, 0
	s_waitcnt vmcnt(0)
	v_cmp_class_f16_e64 s[76:77], v2, s74
	s_and_saveexec_b64 s[72:73], s[76:77]
; %bb.36:                               ;   in Loop: Header=BB27_5 Depth=1
	v_cmp_class_f16_sdwa s[76:77], v2, s74 src0_sel:WORD_1 src1_sel:DWORD
	s_nop 1
	v_cndmask_b32_e64 v5, 0, 1, s[76:77]
; %bb.37:                               ;   in Loop: Header=BB27_5 Depth=1
	s_or_b64 exec, exec, s[72:73]
.LBB27_38:                              ;   in Loop: Header=BB27_5 Depth=1
	s_or_b64 exec, exec, s[70:71]
.LBB27_39:                              ;   in Loop: Header=BB27_5 Depth=1
	s_or_b64 exec, exec, s[68:69]
.LBB27_40:                              ;   in Loop: Header=BB27_5 Depth=1
	s_or_b64 exec, exec, s[66:67]
.LBB27_41:                              ;   in Loop: Header=BB27_5 Depth=1
	s_or_b64 exec, exec, s[64:65]
.LBB27_42:                              ;   in Loop: Header=BB27_5 Depth=1
	s_or_b64 exec, exec, s[62:63]
.LBB27_43:                              ;   in Loop: Header=BB27_5 Depth=1
	s_or_b64 exec, exec, s[60:61]
.LBB27_44:                              ;   in Loop: Header=BB27_5 Depth=1
	s_or_b64 exec, exec, s[58:59]
.LBB27_45:                              ;   in Loop: Header=BB27_5 Depth=1
	s_or_b64 exec, exec, s[56:57]
.LBB27_46:                              ;   in Loop: Header=BB27_5 Depth=1
	s_or_b64 exec, exec, s[54:55]
.LBB27_47:                              ;   in Loop: Header=BB27_5 Depth=1
	s_or_b64 exec, exec, s[52:53]
.LBB27_48:                              ;   in Loop: Header=BB27_5 Depth=1
	s_or_b64 exec, exec, s[50:51]
.LBB27_49:                              ;   in Loop: Header=BB27_5 Depth=1
	s_or_b64 exec, exec, s[48:49]
.LBB27_50:                              ;   in Loop: Header=BB27_5 Depth=1
	s_or_b64 exec, exec, s[46:47]
.LBB27_51:                              ;   in Loop: Header=BB27_5 Depth=1
	s_or_b64 exec, exec, s[44:45]
.LBB27_52:                              ;   in Loop: Header=BB27_5 Depth=1
	s_or_b64 exec, exec, s[42:43]
.LBB27_53:                              ;   in Loop: Header=BB27_5 Depth=1
	s_or_b64 exec, exec, s[40:41]
.LBB27_54:                              ;   in Loop: Header=BB27_5 Depth=1
	s_or_b64 exec, exec, s[38:39]
.LBB27_55:                              ;   in Loop: Header=BB27_5 Depth=1
	s_or_b64 exec, exec, s[36:37]
.LBB27_56:                              ;   in Loop: Header=BB27_5 Depth=1
	s_or_b64 exec, exec, s[34:35]
.LBB27_57:                              ;   in Loop: Header=BB27_5 Depth=1
	s_or_b64 exec, exec, s[30:31]
.LBB27_58:                              ;   in Loop: Header=BB27_5 Depth=1
	s_or_b64 exec, exec, s[28:29]
.LBB27_59:                              ;   in Loop: Header=BB27_5 Depth=1
	s_or_b64 exec, exec, s[26:27]
.LBB27_60:                              ;   in Loop: Header=BB27_5 Depth=1
	s_or_b64 exec, exec, s[24:25]
.LBB27_61:                              ;   in Loop: Header=BB27_5 Depth=1
	s_or_b64 exec, exec, s[22:23]
.LBB27_62:                              ;   in Loop: Header=BB27_5 Depth=1
	s_or_b64 exec, exec, s[20:21]
.LBB27_63:                              ;   in Loop: Header=BB27_5 Depth=1
	s_or_b64 exec, exec, s[18:19]
.LBB27_64:                              ;   in Loop: Header=BB27_5 Depth=1
	s_or_b64 exec, exec, s[16:17]
.LBB27_65:                              ;   in Loop: Header=BB27_5 Depth=1
	s_or_b64 exec, exec, s[14:15]
.LBB27_66:                              ;   in Loop: Header=BB27_5 Depth=1
	s_or_b64 exec, exec, s[4:5]
	v_and_b32_e32 v2, 0x60, v7
	v_add_u32_e32 v9, 32, v2
	v_xor_b32_e32 v2, 16, v7
	v_cmp_lt_i32_e32 vcc, v2, v9
	v_xor_b32_e32 v11, 1, v7
	s_nop 0
	v_cndmask_b32_e32 v2, v7, v2, vcc
	v_lshlrev_b32_e32 v2, 2, v2
	ds_bpermute_b32 v4, v2, v5
	v_cmp_ne_u32_e32 vcc, 0, v5
	s_waitcnt lgkmcnt(0)
	v_cmp_ne_u32_e64 s[4:5], 0, v4
	v_xor_b32_e32 v4, 8, v7
	s_and_b64 s[4:5], vcc, s[4:5]
	v_cmp_lt_i32_e32 vcc, v4, v9
	v_cndmask_b32_e64 v5, 0, 1, s[4:5]
	s_nop 0
	v_cndmask_b32_e32 v4, v7, v4, vcc
	v_lshlrev_b32_e32 v4, 2, v4
	ds_bpermute_b32 v5, v4, v5
	s_waitcnt lgkmcnt(0)
	v_cmp_ne_u32_e32 vcc, 0, v5
	v_xor_b32_e32 v5, 4, v7
	s_and_b64 s[4:5], vcc, s[4:5]
	v_cmp_lt_i32_e32 vcc, v5, v9
	v_cndmask_b32_e64 v8, 0, 1, s[4:5]
	s_nop 0
	v_cndmask_b32_e32 v5, v7, v5, vcc
	v_lshlrev_b32_e32 v5, 2, v5
	ds_bpermute_b32 v8, v5, v8
	s_waitcnt lgkmcnt(0)
	v_cmp_ne_u32_e32 vcc, 0, v8
	;; [unrolled: 10-line block ×3, first 2 shown]
	s_and_b64 s[4:5], vcc, s[4:5]
	v_cmp_lt_i32_e32 vcc, v11, v9
	v_cndmask_b32_e64 v10, 0, 1, s[4:5]
	s_nop 0
	v_cndmask_b32_e32 v9, v7, v11, vcc
	v_lshlrev_b32_e32 v9, 2, v9
	ds_bpermute_b32 v10, v9, v10
	s_and_saveexec_b64 s[14:15], s[0:1]
	s_cbranch_execz .LBB27_3
; %bb.67:                               ;   in Loop: Header=BB27_5 Depth=1
	s_waitcnt lgkmcnt(0)
	v_cmp_ne_u32_e32 vcc, 0, v10
	s_and_b64 s[4:5], vcc, s[4:5]
	v_cndmask_b32_e64 v10, 0, 1, s[4:5]
	ds_write_b32 v1, v10
	s_branch .LBB27_3
.LBB27_68:
	s_or_b64 exec, exec, s[12:13]
	v_cmp_eq_u32_e32 vcc, 0, v0
	s_and_saveexec_b64 s[0:1], vcc
	s_cbranch_execz .LBB27_70
; %bb.69:
	s_mul_i32 s0, s33, s3
	s_add_i32 s0, s0, s2
	s_ashr_i32 s1, s0, 31
	s_lshl_b64 s[0:1], s[0:1], 2
	s_add_u32 s0, s6, s0
	s_addc_u32 s1, s7, s1
	v_mov_b32_e32 v0, 0
	global_store_dword v0, v2, s[0:1]
.LBB27_70:
	s_endpgm
	.section	.rodata,"a",@progbits
	.p2align	6, 0x0
	.amdhsa_kernel _ZL25flash_attn_mask_to_KV_maxILi16EEvPK7__half2Piiii
		.amdhsa_group_segment_fixed_size 128
		.amdhsa_private_segment_fixed_size 0
		.amdhsa_kernarg_size 288
		.amdhsa_user_sgpr_count 2
		.amdhsa_user_sgpr_dispatch_ptr 0
		.amdhsa_user_sgpr_queue_ptr 0
		.amdhsa_user_sgpr_kernarg_segment_ptr 1
		.amdhsa_user_sgpr_dispatch_id 0
		.amdhsa_user_sgpr_kernarg_preload_length 0
		.amdhsa_user_sgpr_kernarg_preload_offset 0
		.amdhsa_user_sgpr_private_segment_size 0
		.amdhsa_uses_dynamic_stack 0
		.amdhsa_enable_private_segment 0
		.amdhsa_system_sgpr_workgroup_id_x 1
		.amdhsa_system_sgpr_workgroup_id_y 1
		.amdhsa_system_sgpr_workgroup_id_z 0
		.amdhsa_system_sgpr_workgroup_info 0
		.amdhsa_system_vgpr_workitem_id 0
		.amdhsa_next_free_vgpr 12
		.amdhsa_next_free_sgpr 78
		.amdhsa_accum_offset 12
		.amdhsa_reserve_vcc 1
		.amdhsa_float_round_mode_32 0
		.amdhsa_float_round_mode_16_64 0
		.amdhsa_float_denorm_mode_32 3
		.amdhsa_float_denorm_mode_16_64 3
		.amdhsa_dx10_clamp 1
		.amdhsa_ieee_mode 1
		.amdhsa_fp16_overflow 0
		.amdhsa_tg_split 0
		.amdhsa_exception_fp_ieee_invalid_op 0
		.amdhsa_exception_fp_denorm_src 0
		.amdhsa_exception_fp_ieee_div_zero 0
		.amdhsa_exception_fp_ieee_overflow 0
		.amdhsa_exception_fp_ieee_underflow 0
		.amdhsa_exception_fp_ieee_inexact 0
		.amdhsa_exception_int_div_zero 0
	.end_amdhsa_kernel
	.section	.text._ZL25flash_attn_mask_to_KV_maxILi16EEvPK7__half2Piiii,"axG",@progbits,_ZL25flash_attn_mask_to_KV_maxILi16EEvPK7__half2Piiii,comdat
.Lfunc_end27:
	.size	_ZL25flash_attn_mask_to_KV_maxILi16EEvPK7__half2Piiii, .Lfunc_end27-_ZL25flash_attn_mask_to_KV_maxILi16EEvPK7__half2Piiii
                                        ; -- End function
	.set _ZL25flash_attn_mask_to_KV_maxILi16EEvPK7__half2Piiii.num_vgpr, 12
	.set _ZL25flash_attn_mask_to_KV_maxILi16EEvPK7__half2Piiii.num_agpr, 0
	.set _ZL25flash_attn_mask_to_KV_maxILi16EEvPK7__half2Piiii.numbered_sgpr, 78
	.set _ZL25flash_attn_mask_to_KV_maxILi16EEvPK7__half2Piiii.num_named_barrier, 0
	.set _ZL25flash_attn_mask_to_KV_maxILi16EEvPK7__half2Piiii.private_seg_size, 0
	.set _ZL25flash_attn_mask_to_KV_maxILi16EEvPK7__half2Piiii.uses_vcc, 1
	.set _ZL25flash_attn_mask_to_KV_maxILi16EEvPK7__half2Piiii.uses_flat_scratch, 0
	.set _ZL25flash_attn_mask_to_KV_maxILi16EEvPK7__half2Piiii.has_dyn_sized_stack, 0
	.set _ZL25flash_attn_mask_to_KV_maxILi16EEvPK7__half2Piiii.has_recursion, 0
	.set _ZL25flash_attn_mask_to_KV_maxILi16EEvPK7__half2Piiii.has_indirect_call, 0
	.section	.AMDGPU.csdata,"",@progbits
; Kernel info:
; codeLenInByte = 1900
; TotalNumSgprs: 84
; NumVgprs: 12
; NumAgprs: 0
; TotalNumVgprs: 12
; ScratchSize: 0
; MemoryBound: 0
; FloatMode: 240
; IeeeMode: 1
; LDSByteSize: 128 bytes/workgroup (compile time only)
; SGPRBlocks: 10
; VGPRBlocks: 1
; NumSGPRsForWavesPerEU: 84
; NumVGPRsForWavesPerEU: 12
; AccumOffset: 12
; Occupancy: 8
; WaveLimiterHint : 0
; COMPUTE_PGM_RSRC2:SCRATCH_EN: 0
; COMPUTE_PGM_RSRC2:USER_SGPR: 2
; COMPUTE_PGM_RSRC2:TRAP_HANDLER: 0
; COMPUTE_PGM_RSRC2:TGID_X_EN: 1
; COMPUTE_PGM_RSRC2:TGID_Y_EN: 1
; COMPUTE_PGM_RSRC2:TGID_Z_EN: 0
; COMPUTE_PGM_RSRC2:TIDIG_COMP_CNT: 0
; COMPUTE_PGM_RSRC3_GFX90A:ACCUM_OFFSET: 2
; COMPUTE_PGM_RSRC3_GFX90A:TG_SPLIT: 0
	.section	.text._ZL33flash_attn_stream_k_fixup_uniformILi256ELi16ELi2EEvPfPK15HIP_vector_typeIfLj2EEiiiiiiS1_IjLj3EES5_S5_,"axG",@progbits,_ZL33flash_attn_stream_k_fixup_uniformILi256ELi16ELi2EEvPfPK15HIP_vector_typeIfLj2EEiiiiiiS1_IjLj3EES5_S5_,comdat
	.globl	_ZL33flash_attn_stream_k_fixup_uniformILi256ELi16ELi2EEvPfPK15HIP_vector_typeIfLj2EEiiiiiiS1_IjLj3EES5_S5_ ; -- Begin function _ZL33flash_attn_stream_k_fixup_uniformILi256ELi16ELi2EEvPfPK15HIP_vector_typeIfLj2EEiiiiiiS1_IjLj3EES5_S5_
	.p2align	8
	.type	_ZL33flash_attn_stream_k_fixup_uniformILi256ELi16ELi2EEvPfPK15HIP_vector_typeIfLj2EEiiiiiiS1_IjLj3EES5_S5_,@function
_ZL33flash_attn_stream_k_fixup_uniformILi256ELi16ELi2EEvPfPK15HIP_vector_typeIfLj2EEiiiiiiS1_IjLj3EES5_S5_: ; @_ZL33flash_attn_stream_k_fixup_uniformILi256ELi16ELi2EEvPfPK15HIP_vector_typeIfLj2EEiiiiiiS1_IjLj3EES5_S5_
; %bb.0:
	s_load_dwordx8 s[8:15], s[0:1], 0x1c
	s_load_dwordx2 s[6:7], s[0:1], 0x10
	s_load_dwordx4 s[20:23], s[0:1], 0x3c
	s_waitcnt lgkmcnt(0)
	s_mul_hi_u32 s5, s11, s2
	s_add_i32 s5, s2, s5
	s_lshr_b32 s5, s5, s12
	s_mul_i32 s11, s5, s13
	s_sub_i32 s11, s2, s11
	s_mul_hi_u32 s12, s11, s14
	s_add_i32 s12, s11, s12
	s_lshr_b32 s16, s12, s15
	s_mul_i32 s12, s16, s20
	s_sub_i32 s11, s11, s12
	;; [unrolled: 5-line block ×3, first 2 shown]
	s_lshl_b32 s11, s12, 1
	s_lshl_b32 s12, s17, 4
	s_add_i32 s12, s12, s3
	s_cmp_lt_i32 s12, s6
	s_cselect_b64 s[12:13], -1, 0
	s_add_i32 s14, s11, s4
	s_cmp_lt_i32 s14, s9
	s_cselect_b64 s[14:15], -1, 0
	s_and_b64 s[12:13], s[12:13], s[14:15]
	s_andn2_b64 vcc, exec, s[12:13]
	s_cbranch_vccnz .LBB28_6
; %bb.1:
	s_load_dwordx4 s[12:15], s[0:1], 0x0
	s_mul_i32 s0, s5, s6
	s_add_i32 s0, s0, s3
	s_mul_i32 s0, s0, s7
	s_mul_i32 s16, s16, s9
	s_add_i32 s0, s0, s4
	s_add_i32 s0, s0, s16
	s_mul_i32 s1, s7, s17
	s_add_i32 s0, s0, s11
	s_lshl_b32 s1, s1, 12
	s_lshl_b32 s0, s0, 8
	s_add_i32 s1, s1, s0
	v_or_b32_e32 v4, s1, v0
	s_waitcnt lgkmcnt(0)
	v_mov_b32_e32 v2, s12
	v_mov_b32_e32 v3, s13
	v_ashrrev_i32_e32 v5, 31, v4
	v_lshl_add_u64 v[2:3], v[4:5], 2, v[2:3]
	global_load_dword v5, v[2:3], off
	s_mul_i32 s5, s10, s2
	s_lshl_b32 s11, s3, 1
	s_add_i32 s9, s5, s10
	s_add_i32 s0, s11, s4
	s_lshl_b32 s1, s9, 5
	s_add_i32 s0, s0, s1
	s_sub_i32 s0, s0, 32
	s_ashr_i32 s1, s0, 31
	s_lshl_b64 s[0:1], s[0:1], 3
	s_add_u32 s0, s14, s0
	s_addc_u32 s1, s15, s1
	s_load_dword s12, s[0:1], 0x4
	s_add_i32 s6, s9, -2
	s_cmp_lt_i32 s6, s5
	s_cbranch_scc1 .LBB28_4
; %bb.2:
	s_lshl_b32 s6, s8, 7
	s_ashr_i32 s7, s6, 31
	s_lshl_b64 s[6:7], s[6:7], 2
	s_add_u32 s6, s14, s6
	s_addc_u32 s7, s15, s7
	s_add_i32 s2, s2, 1
	s_load_dword s0, s[0:1], 0x0
	s_mul_i32 s1, s10, s2
	s_lshl_b32 s3, s3, 9
	s_lshl_b32 s10, s4, 8
	s_lshl_b32 s2, s1, 13
	s_add_i32 s3, s10, s3
	s_lshl_b32 s1, s1, 5
	s_add_i32 s3, s3, s2
	s_add_i32 s1, s4, s1
	s_lshl_b32 s2, s8, 5
	s_add_i32 s1, s1, s2
	v_or_b32_e32 v0, s3, v0
	s_add_i32 s1, s1, s11
	s_add_i32 s9, s9, -1
	v_add_u32_e32 v0, 0xffffc000, v0
	s_sub_i32 s2, s1, 64
	s_waitcnt lgkmcnt(0)
	v_mov_b32_e32 v7, s0
	v_mov_b32_e32 v4, s12
	s_mov_b32 s4, 0x3fb8aa3b
	s_mov_b32 s8, 0xc2ce8ed0
	;; [unrolled: 1-line block ×3, first 2 shown]
	v_mov_b32_e32 v6, 0x7f800000
	s_mov_b32 s11, 0xc1a00000
.LBB28_3:                               ; =>This Inner Loop Header: Depth=1
	v_ashrrev_i32_e32 v1, 31, v0
	v_lshl_add_u64 v[8:9], v[0:1], 2, s[6:7]
	global_load_dword v9, v[8:9], off
	s_ashr_i32 s3, s2, 31
	s_lshl_b64 s[0:1], s[2:3], 3
	s_add_u32 s0, s14, s0
	s_addc_u32 s1, s15, s1
	s_load_dwordx2 s[0:1], s[0:1], 0x0
	v_max_f32_e32 v1, v7, v7
	s_add_i32 s9, s9, -1
	s_sub_i32 s2, s2, 32
	v_add_u32_e32 v0, 0xffffe000, v0
	s_waitcnt lgkmcnt(0)
	v_max_f32_e64 v10, s0, s0
	v_max_f32_e32 v1, v1, v10
	v_sub_f32_e32 v11, s0, v1
	v_sub_f32_e32 v10, v7, v1
	v_mul_f32_e32 v12, 0x3fb8aa3b, v11
	v_mov_b32_e32 v7, v1
	v_mul_f32_e32 v1, 0x3fb8aa3b, v10
	v_fma_f32 v15, v11, s4, -v12
	v_rndne_f32_e32 v16, v12
	v_fma_f32 v13, v10, s4, -v1
	v_rndne_f32_e32 v14, v1
	v_fmac_f32_e32 v15, 0x32a5705f, v11
	v_sub_f32_e32 v12, v12, v16
	v_fmac_f32_e32 v13, 0x32a5705f, v10
	v_sub_f32_e32 v1, v1, v14
	v_add_f32_e32 v12, v12, v15
	v_cvt_i32_f32_e32 v16, v16
	v_add_f32_e32 v1, v1, v13
	v_exp_f32_e32 v12, v12
	v_cvt_i32_f32_e32 v14, v14
	v_exp_f32_e32 v1, v1
	v_cmp_ngt_f32_e32 vcc, s8, v11
	v_ldexp_f32 v12, v12, v16
	v_mov_b32_e32 v8, s1
	v_ldexp_f32 v1, v1, v14
	v_cmp_ngt_f32_e64 s[0:1], s8, v10
	v_cndmask_b32_e32 v12, 0, v12, vcc
	v_cmp_nlt_f32_e32 vcc, s10, v11
	v_cndmask_b32_e64 v1, 0, v1, s[0:1]
	v_cmp_nlt_f32_e64 s[0:1], s10, v10
	v_cndmask_b32_e32 v12, v6, v12, vcc
	v_cmp_le_f32_e32 vcc, s11, v11
	v_cndmask_b32_e64 v1, v6, v1, s[0:1]
	v_cmp_le_f32_e64 s[0:1], s11, v10
	v_cndmask_b32_e32 v12, 0, v12, vcc
	s_cmp_le_i32 s9, s5
	v_cndmask_b32_e64 v10, 0, v1, s[0:1]
	s_waitcnt vmcnt(0)
	v_pk_mul_f32 v[8:9], v[8:9], v[12:13] op_sel_hi:[1,0]
	s_nop 0
	v_pk_fma_f32 v[4:5], v[4:5], v[10:11], v[8:9] op_sel_hi:[1,0,1]
	s_cbranch_scc0 .LBB28_3
	s_branch .LBB28_5
.LBB28_4:
	s_waitcnt lgkmcnt(0)
	v_mov_b32_e32 v4, s12
.LBB28_5:
	s_waitcnt vmcnt(0)
	v_div_scale_f32 v0, s[0:1], v4, v4, v5
	v_rcp_f32_e32 v1, v0
	v_div_scale_f32 v6, vcc, v5, v4, v5
	v_fma_f32 v7, -v0, v1, 1.0
	v_fmac_f32_e32 v1, v7, v1
	v_mul_f32_e32 v7, v6, v1
	v_fma_f32 v8, -v0, v7, v6
	v_fmac_f32_e32 v7, v8, v1
	v_fma_f32 v0, -v0, v7, v6
	v_div_fmas_f32 v0, v0, v1, v7
	v_div_fixup_f32 v0, v0, v4, v5
	global_store_dword v[2:3], v0, off
.LBB28_6:
	s_endpgm
	.section	.rodata,"a",@progbits
	.p2align	6, 0x0
	.amdhsa_kernel _ZL33flash_attn_stream_k_fixup_uniformILi256ELi16ELi2EEvPfPK15HIP_vector_typeIfLj2EEiiiiiiS1_IjLj3EES5_S5_
		.amdhsa_group_segment_fixed_size 0
		.amdhsa_private_segment_fixed_size 0
		.amdhsa_kernarg_size 76
		.amdhsa_user_sgpr_count 2
		.amdhsa_user_sgpr_dispatch_ptr 0
		.amdhsa_user_sgpr_queue_ptr 0
		.amdhsa_user_sgpr_kernarg_segment_ptr 1
		.amdhsa_user_sgpr_dispatch_id 0
		.amdhsa_user_sgpr_kernarg_preload_length 0
		.amdhsa_user_sgpr_kernarg_preload_offset 0
		.amdhsa_user_sgpr_private_segment_size 0
		.amdhsa_uses_dynamic_stack 0
		.amdhsa_enable_private_segment 0
		.amdhsa_system_sgpr_workgroup_id_x 1
		.amdhsa_system_sgpr_workgroup_id_y 1
		.amdhsa_system_sgpr_workgroup_id_z 1
		.amdhsa_system_sgpr_workgroup_info 0
		.amdhsa_system_vgpr_workitem_id 0
		.amdhsa_next_free_vgpr 17
		.amdhsa_next_free_sgpr 24
		.amdhsa_accum_offset 20
		.amdhsa_reserve_vcc 1
		.amdhsa_float_round_mode_32 0
		.amdhsa_float_round_mode_16_64 0
		.amdhsa_float_denorm_mode_32 3
		.amdhsa_float_denorm_mode_16_64 3
		.amdhsa_dx10_clamp 1
		.amdhsa_ieee_mode 1
		.amdhsa_fp16_overflow 0
		.amdhsa_tg_split 0
		.amdhsa_exception_fp_ieee_invalid_op 0
		.amdhsa_exception_fp_denorm_src 0
		.amdhsa_exception_fp_ieee_div_zero 0
		.amdhsa_exception_fp_ieee_overflow 0
		.amdhsa_exception_fp_ieee_underflow 0
		.amdhsa_exception_fp_ieee_inexact 0
		.amdhsa_exception_int_div_zero 0
	.end_amdhsa_kernel
	.section	.text._ZL33flash_attn_stream_k_fixup_uniformILi256ELi16ELi2EEvPfPK15HIP_vector_typeIfLj2EEiiiiiiS1_IjLj3EES5_S5_,"axG",@progbits,_ZL33flash_attn_stream_k_fixup_uniformILi256ELi16ELi2EEvPfPK15HIP_vector_typeIfLj2EEiiiiiiS1_IjLj3EES5_S5_,comdat
.Lfunc_end28:
	.size	_ZL33flash_attn_stream_k_fixup_uniformILi256ELi16ELi2EEvPfPK15HIP_vector_typeIfLj2EEiiiiiiS1_IjLj3EES5_S5_, .Lfunc_end28-_ZL33flash_attn_stream_k_fixup_uniformILi256ELi16ELi2EEvPfPK15HIP_vector_typeIfLj2EEiiiiiiS1_IjLj3EES5_S5_
                                        ; -- End function
	.set _ZL33flash_attn_stream_k_fixup_uniformILi256ELi16ELi2EEvPfPK15HIP_vector_typeIfLj2EEiiiiiiS1_IjLj3EES5_S5_.num_vgpr, 17
	.set _ZL33flash_attn_stream_k_fixup_uniformILi256ELi16ELi2EEvPfPK15HIP_vector_typeIfLj2EEiiiiiiS1_IjLj3EES5_S5_.num_agpr, 0
	.set _ZL33flash_attn_stream_k_fixup_uniformILi256ELi16ELi2EEvPfPK15HIP_vector_typeIfLj2EEiiiiiiS1_IjLj3EES5_S5_.numbered_sgpr, 24
	.set _ZL33flash_attn_stream_k_fixup_uniformILi256ELi16ELi2EEvPfPK15HIP_vector_typeIfLj2EEiiiiiiS1_IjLj3EES5_S5_.num_named_barrier, 0
	.set _ZL33flash_attn_stream_k_fixup_uniformILi256ELi16ELi2EEvPfPK15HIP_vector_typeIfLj2EEiiiiiiS1_IjLj3EES5_S5_.private_seg_size, 0
	.set _ZL33flash_attn_stream_k_fixup_uniformILi256ELi16ELi2EEvPfPK15HIP_vector_typeIfLj2EEiiiiiiS1_IjLj3EES5_S5_.uses_vcc, 1
	.set _ZL33flash_attn_stream_k_fixup_uniformILi256ELi16ELi2EEvPfPK15HIP_vector_typeIfLj2EEiiiiiiS1_IjLj3EES5_S5_.uses_flat_scratch, 0
	.set _ZL33flash_attn_stream_k_fixup_uniformILi256ELi16ELi2EEvPfPK15HIP_vector_typeIfLj2EEiiiiiiS1_IjLj3EES5_S5_.has_dyn_sized_stack, 0
	.set _ZL33flash_attn_stream_k_fixup_uniformILi256ELi16ELi2EEvPfPK15HIP_vector_typeIfLj2EEiiiiiiS1_IjLj3EES5_S5_.has_recursion, 0
	.set _ZL33flash_attn_stream_k_fixup_uniformILi256ELi16ELi2EEvPfPK15HIP_vector_typeIfLj2EEiiiiiiS1_IjLj3EES5_S5_.has_indirect_call, 0
	.section	.AMDGPU.csdata,"",@progbits
; Kernel info:
; codeLenInByte = 836
; TotalNumSgprs: 30
; NumVgprs: 17
; NumAgprs: 0
; TotalNumVgprs: 17
; ScratchSize: 0
; MemoryBound: 0
; FloatMode: 240
; IeeeMode: 1
; LDSByteSize: 0 bytes/workgroup (compile time only)
; SGPRBlocks: 3
; VGPRBlocks: 2
; NumSGPRsForWavesPerEU: 30
; NumVGPRsForWavesPerEU: 17
; AccumOffset: 20
; Occupancy: 8
; WaveLimiterHint : 0
; COMPUTE_PGM_RSRC2:SCRATCH_EN: 0
; COMPUTE_PGM_RSRC2:USER_SGPR: 2
; COMPUTE_PGM_RSRC2:TRAP_HANDLER: 0
; COMPUTE_PGM_RSRC2:TGID_X_EN: 1
; COMPUTE_PGM_RSRC2:TGID_Y_EN: 1
; COMPUTE_PGM_RSRC2:TGID_Z_EN: 1
; COMPUTE_PGM_RSRC2:TIDIG_COMP_CNT: 0
; COMPUTE_PGM_RSRC3_GFX90A:ACCUM_OFFSET: 4
; COMPUTE_PGM_RSRC3_GFX90A:TG_SPLIT: 0
	.section	.text._ZL33flash_attn_stream_k_fixup_generalILi256ELi16ELi2EEvPfPK15HIP_vector_typeIfLj2EEiiiiS1_IjLj3EES5_S5_S5_,"axG",@progbits,_ZL33flash_attn_stream_k_fixup_generalILi256ELi16ELi2EEvPfPK15HIP_vector_typeIfLj2EEiiiiS1_IjLj3EES5_S5_S5_,comdat
	.globl	_ZL33flash_attn_stream_k_fixup_generalILi256ELi16ELi2EEvPfPK15HIP_vector_typeIfLj2EEiiiiS1_IjLj3EES5_S5_S5_ ; -- Begin function _ZL33flash_attn_stream_k_fixup_generalILi256ELi16ELi2EEvPfPK15HIP_vector_typeIfLj2EEiiiiS1_IjLj3EES5_S5_S5_
	.p2align	8
	.type	_ZL33flash_attn_stream_k_fixup_generalILi256ELi16ELi2EEvPfPK15HIP_vector_typeIfLj2EEiiiiS1_IjLj3EES5_S5_S5_,@function
_ZL33flash_attn_stream_k_fixup_generalILi256ELi16ELi2EEvPfPK15HIP_vector_typeIfLj2EEiiiiS1_IjLj3EES5_S5_S5_: ; @_ZL33flash_attn_stream_k_fixup_generalILi256ELi16ELi2EEvPfPK15HIP_vector_typeIfLj2EEiiiiS1_IjLj3EES5_S5_S5_
; %bb.0:
	s_load_dwordx4 s[8:11], s[0:1], 0x10
	s_load_dword s22, s[0:1], 0x50
	s_mov_b32 s12, 0
	s_waitcnt lgkmcnt(0)
	s_mul_hi_i32 s13, s11, s2
	s_cmp_lg_u64 s[12:13], 0
	s_mul_i32 s5, s11, s2
	s_cbranch_scc0 .LBB29_20
; %bb.1:
	s_add_u32 s6, s22, 0
	s_addc_u32 s7, 0, 0
	s_xor_b64 s[6:7], s[6:7], 0
	v_cvt_f32_u32_e32 v1, s6
	v_cvt_f32_u32_e32 v2, s7
	s_sub_u32 s12, 0, s6
	s_subb_u32 s18, 0, s7
	v_fmamk_f32 v1, v2, 0x4f800000, v1
	v_rcp_f32_e32 v1, v1
	s_nop 0
	v_mul_f32_e32 v1, 0x5f7ffffc, v1
	v_mul_f32_e32 v2, 0x2f800000, v1
	v_trunc_f32_e32 v2, v2
	v_fmamk_f32 v1, v2, 0xcf800000, v1
	v_cvt_u32_f32_e32 v2, v2
	v_cvt_u32_f32_e32 v1, v1
	v_readfirstlane_b32 s19, v2
	v_readfirstlane_b32 s14, v1
	s_mul_i32 s15, s12, s19
	s_mul_hi_u32 s21, s12, s14
	s_mul_i32 s20, s18, s14
	s_add_i32 s15, s21, s15
	s_add_i32 s15, s15, s20
	s_mul_i32 s23, s12, s14
	s_mul_i32 s21, s14, s15
	s_mul_hi_u32 s24, s14, s23
	s_mul_hi_u32 s20, s14, s15
	s_add_u32 s21, s24, s21
	s_addc_u32 s20, 0, s20
	s_mul_hi_u32 s25, s19, s23
	s_mul_i32 s23, s19, s23
	s_add_u32 s21, s21, s23
	s_mul_hi_u32 s24, s19, s15
	s_addc_u32 s20, s20, s25
	s_addc_u32 s21, s24, 0
	s_mul_i32 s15, s19, s15
	s_add_u32 s15, s20, s15
	s_addc_u32 s20, 0, s21
	s_add_u32 s21, s14, s15
	s_cselect_b64 s[14:15], -1, 0
	s_cmp_lg_u64 s[14:15], 0
	s_addc_u32 s19, s19, s20
	s_mul_i32 s14, s12, s19
	s_mul_hi_u32 s15, s12, s21
	s_add_i32 s14, s15, s14
	s_mul_i32 s18, s18, s21
	s_add_i32 s14, s14, s18
	s_mul_i32 s12, s12, s21
	s_mul_hi_u32 s18, s19, s12
	s_mul_i32 s20, s19, s12
	s_mul_i32 s24, s21, s14
	s_mul_hi_u32 s12, s21, s12
	s_mul_hi_u32 s23, s21, s14
	s_add_u32 s12, s12, s24
	s_addc_u32 s23, 0, s23
	s_add_u32 s12, s12, s20
	s_mul_hi_u32 s15, s19, s14
	s_addc_u32 s12, s23, s18
	s_addc_u32 s15, s15, 0
	s_mul_i32 s14, s19, s14
	s_add_u32 s12, s12, s14
	s_addc_u32 s18, 0, s15
	s_add_u32 s20, s21, s12
	s_cselect_b64 s[14:15], -1, 0
	s_cmp_lg_u64 s[14:15], 0
	s_addc_u32 s18, s19, s18
	s_ashr_i32 s14, s13, 31
	s_add_u32 s12, s5, s14
	s_mov_b32 s15, s14
	s_addc_u32 s13, s13, s14
	s_xor_b64 s[12:13], s[12:13], s[14:15]
	s_mul_i32 s21, s12, s18
	s_mul_hi_u32 s23, s12, s20
	s_mul_hi_u32 s19, s12, s18
	s_add_u32 s21, s23, s21
	s_addc_u32 s19, 0, s19
	s_mul_hi_u32 s24, s13, s20
	s_mul_i32 s20, s13, s20
	s_add_u32 s20, s21, s20
	s_mul_hi_u32 s23, s13, s18
	s_addc_u32 s19, s19, s24
	s_addc_u32 s20, s23, 0
	s_mul_i32 s18, s13, s18
	s_add_u32 s23, s19, s18
	s_addc_u32 s24, 0, s20
	s_mul_i32 s18, s6, s24
	s_mul_hi_u32 s19, s6, s23
	s_add_i32 s18, s19, s18
	s_mul_i32 s19, s7, s23
	s_add_i32 s25, s18, s19
	s_sub_i32 s20, s13, s25
	s_mul_i32 s18, s6, s23
	s_sub_u32 s12, s12, s18
	s_cselect_b64 s[18:19], -1, 0
	s_cmp_lg_u64 s[18:19], 0
	s_subb_u32 s26, s20, s7
	s_sub_u32 s27, s12, s6
	s_cselect_b64 s[20:21], -1, 0
	s_cmp_lg_u64 s[20:21], 0
	s_subb_u32 s20, s26, 0
	s_cmp_ge_u32 s20, s7
	s_cselect_b32 s21, -1, 0
	s_cmp_ge_u32 s27, s6
	s_cselect_b32 s26, -1, 0
	s_cmp_eq_u32 s20, s7
	s_cselect_b32 s20, s26, s21
	s_add_u32 s21, s23, 1
	s_addc_u32 s26, s24, 0
	s_add_u32 s27, s23, 2
	s_addc_u32 s28, s24, 0
	s_cmp_lg_u32 s20, 0
	s_cselect_b32 s20, s27, s21
	s_cselect_b32 s21, s28, s26
	s_cmp_lg_u64 s[18:19], 0
	s_subb_u32 s13, s13, s25
	s_cmp_ge_u32 s13, s7
	s_cselect_b32 s18, -1, 0
	s_cmp_ge_u32 s12, s6
	s_cselect_b32 s6, -1, 0
	s_cmp_eq_u32 s13, s7
	s_cselect_b32 s6, s6, s18
	s_cmp_lg_u32 s6, 0
	s_cselect_b32 s7, s21, s24
	s_cselect_b32 s6, s20, s23
	s_xor_b64 s[12:13], s[14:15], 0
	s_xor_b64 s[6:7], s[6:7], s[12:13]
	s_sub_u32 s6, s6, s12
	s_load_dwordx4 s[12:15], s[0:1], 0x44
	s_cbranch_execnz .LBB29_3
.LBB29_2:
	v_cvt_f32_u32_e32 v1, s22
	s_sub_i32 s6, 0, s22
	v_rcp_iflag_f32_e32 v1, v1
	s_nop 0
	v_mul_f32_e32 v1, 0x4f7ffffe, v1
	v_cvt_u32_f32_e32 v1, v1
	s_nop 0
	v_readfirstlane_b32 s7, v1
	s_mul_i32 s6, s6, s7
	s_mul_hi_u32 s6, s7, s6
	s_add_i32 s7, s7, s6
	s_mul_hi_u32 s6, s5, s7
	s_waitcnt lgkmcnt(0)
	s_mul_i32 s15, s6, s22
	s_sub_i32 s5, s5, s15
	s_add_i32 s7, s6, 1
	s_sub_i32 s15, s5, s22
	s_cmp_ge_u32 s5, s22
	s_cselect_b32 s6, s7, s6
	s_cselect_b32 s5, s15, s5
	s_add_i32 s7, s6, 1
	s_cmp_ge_u32 s5, s22
	s_cselect_b32 s6, s7, s6
.LBB29_3:
	s_add_i32 s5, s2, 1
	s_mul_hi_i32 s21, s11, s5
	s_mov_b32 s20, 0
	s_cmp_lg_u64 s[20:21], 0
	s_mul_i32 s5, s11, s5
	s_cbranch_scc0 .LBB29_21
; %bb.4:
	s_add_u32 s16, s22, 0
	s_addc_u32 s17, 0, 0
	s_xor_b64 s[18:19], s[16:17], 0
	v_cvt_f32_u32_e32 v1, s18
	v_cvt_f32_u32_e32 v2, s19
	s_sub_u32 s7, 0, s18
	s_waitcnt lgkmcnt(0)
	s_subb_u32 s15, 0, s19
	v_fmamk_f32 v1, v2, 0x4f800000, v1
	v_rcp_f32_e32 v1, v1
	s_nop 0
	v_mul_f32_e32 v1, 0x5f7ffffc, v1
	v_mul_f32_e32 v2, 0x2f800000, v1
	v_trunc_f32_e32 v2, v2
	v_fmamk_f32 v1, v2, 0xcf800000, v1
	v_cvt_u32_f32_e32 v2, v2
	v_cvt_u32_f32_e32 v1, v1
	v_readfirstlane_b32 s20, v2
	v_readfirstlane_b32 s23, v1
	s_mul_i32 s24, s7, s20
	s_mul_hi_u32 s26, s7, s23
	s_mul_i32 s25, s15, s23
	s_add_i32 s24, s26, s24
	s_add_i32 s24, s24, s25
	s_mul_i32 s27, s7, s23
	s_mul_i32 s26, s23, s24
	s_mul_hi_u32 s28, s23, s27
	s_mul_hi_u32 s25, s23, s24
	s_add_u32 s26, s28, s26
	s_addc_u32 s25, 0, s25
	s_mul_hi_u32 s29, s20, s27
	s_mul_i32 s27, s20, s27
	s_add_u32 s26, s26, s27
	s_mul_hi_u32 s28, s20, s24
	s_addc_u32 s25, s25, s29
	s_addc_u32 s26, s28, 0
	s_mul_i32 s24, s20, s24
	s_add_u32 s24, s25, s24
	s_addc_u32 s26, 0, s26
	s_add_u32 s23, s23, s24
	s_cselect_b64 s[24:25], -1, 0
	s_cmp_lg_u64 s[24:25], 0
	s_addc_u32 s20, s20, s26
	s_mul_i32 s24, s7, s20
	s_mul_hi_u32 s25, s7, s23
	s_add_i32 s24, s25, s24
	s_mul_i32 s15, s15, s23
	s_add_i32 s24, s24, s15
	s_mul_i32 s7, s7, s23
	s_mul_hi_u32 s25, s20, s7
	s_mul_i32 s26, s20, s7
	s_mul_i32 s28, s23, s24
	s_mul_hi_u32 s7, s23, s7
	s_mul_hi_u32 s27, s23, s24
	s_add_u32 s7, s7, s28
	s_addc_u32 s27, 0, s27
	s_add_u32 s7, s7, s26
	s_mul_hi_u32 s15, s20, s24
	s_addc_u32 s7, s27, s25
	s_addc_u32 s15, s15, 0
	s_mul_i32 s24, s20, s24
	s_add_u32 s7, s7, s24
	s_addc_u32 s15, 0, s15
	s_add_u32 s7, s23, s7
	s_cselect_b64 s[24:25], -1, 0
	s_cmp_lg_u64 s[24:25], 0
	s_addc_u32 s15, s20, s15
	s_ashr_i32 s24, s21, 31
	s_add_u32 s20, s5, s24
	s_mov_b32 s25, s24
	s_addc_u32 s21, s21, s24
	s_xor_b64 s[20:21], s[20:21], s[24:25]
	s_mul_i32 s26, s20, s15
	s_mul_hi_u32 s27, s20, s7
	s_mul_hi_u32 s23, s20, s15
	s_add_u32 s26, s27, s26
	s_addc_u32 s23, 0, s23
	s_mul_hi_u32 s28, s21, s7
	s_mul_i32 s7, s21, s7
	s_add_u32 s7, s26, s7
	s_mul_hi_u32 s27, s21, s15
	s_addc_u32 s7, s23, s28
	s_addc_u32 s23, s27, 0
	s_mul_i32 s15, s21, s15
	s_add_u32 s7, s7, s15
	s_addc_u32 s15, 0, s23
	s_mul_i32 s23, s18, s15
	s_mul_hi_u32 s26, s18, s7
	s_add_i32 s23, s26, s23
	s_mul_i32 s26, s19, s7
	s_add_i32 s23, s23, s26
	s_sub_i32 s28, s21, s23
	s_mul_i32 s26, s18, s7
	s_sub_u32 s20, s20, s26
	s_cselect_b64 s[26:27], -1, 0
	s_cmp_lg_u64 s[26:27], 0
	s_subb_u32 s30, s28, s19
	s_sub_u32 s31, s20, s18
	s_cselect_b64 s[28:29], -1, 0
	s_cmp_lg_u64 s[28:29], 0
	s_subb_u32 s28, s30, 0
	s_cmp_ge_u32 s28, s19
	s_cselect_b32 s29, -1, 0
	s_cmp_ge_u32 s31, s18
	s_cselect_b32 s30, -1, 0
	s_cmp_eq_u32 s28, s19
	s_cselect_b32 s28, s30, s29
	s_add_u32 s29, s7, 1
	s_addc_u32 s30, s15, 0
	s_add_u32 s31, s7, 2
	s_addc_u32 s33, s15, 0
	s_cmp_lg_u32 s28, 0
	s_cselect_b32 s28, s31, s29
	s_cselect_b32 s29, s33, s30
	s_cmp_lg_u64 s[26:27], 0
	s_subb_u32 s21, s21, s23
	s_cmp_ge_u32 s21, s19
	s_cselect_b32 s23, -1, 0
	s_cmp_ge_u32 s20, s18
	s_cselect_b32 s18, -1, 0
	s_cmp_eq_u32 s21, s19
	s_cselect_b32 s18, s18, s23
	s_cmp_lg_u32 s18, 0
	s_cselect_b32 s19, s29, s15
	s_cselect_b32 s18, s28, s7
	s_xor_b64 s[20:21], s[24:25], 0
	s_xor_b64 s[18:19], s[18:19], s[20:21]
	s_sub_u32 s18, s18, s20
	s_cbranch_execnz .LBB29_6
.LBB29_5:
	v_cvt_f32_u32_e32 v1, s22
	s_sub_i32 s7, 0, s22
	v_rcp_iflag_f32_e32 v1, v1
	s_nop 0
	v_mul_f32_e32 v1, 0x4f7ffffe, v1
	v_cvt_u32_f32_e32 v1, v1
	s_waitcnt lgkmcnt(0)
	v_readfirstlane_b32 s15, v1
	s_mul_i32 s7, s7, s15
	s_mul_hi_u32 s7, s15, s7
	s_add_i32 s15, s15, s7
	s_mul_hi_u32 s7, s5, s15
	s_mul_i32 s16, s7, s22
	s_sub_i32 s5, s5, s16
	s_add_i32 s15, s7, 1
	s_sub_i32 s16, s5, s22
	s_cmp_ge_u32 s5, s22
	s_cselect_b32 s7, s15, s7
	s_cselect_b32 s5, s16, s5
	s_add_i32 s15, s7, 1
	s_cmp_ge_u32 s5, s22
	s_cselect_b32 s18, s15, s7
.LBB29_6:
	s_cmp_eq_u32 s6, s18
	s_waitcnt lgkmcnt(0)
	s_mul_hi_u32 s5, s6, s12
	s_cselect_b64 s[16:17], -1, 0
	s_add_i32 s5, s5, s6
	s_lshr_b32 s7, s5, s13
	s_mul_i32 s5, s7, s14
	s_cmp_eq_u32 s5, s6
	s_mul_hi_u32 s5, s18, s12
	s_cselect_b64 s[20:21], -1, 0
	s_add_i32 s5, s5, s18
	s_lshr_b32 s5, s5, s13
	s_cmp_eq_u32 s7, s5
	s_mul_i32 s5, s5, s14
	s_cselect_b64 s[24:25], -1, 0
	s_cmp_lg_u32 s5, s18
	s_cselect_b64 s[18:19], -1, 0
	s_and_b64 s[18:19], s[24:25], s[18:19]
	s_or_b64 s[16:17], s[16:17], s[20:21]
	s_or_b64 s[16:17], s[16:17], s[18:19]
	s_and_b64 vcc, exec, s[16:17]
	s_cbranch_vccnz .LBB29_23
; %bb.7:
	s_load_dwordx8 s[24:31], s[0:1], 0x20
	s_load_dword s15, s[0:1], 0x40
	s_waitcnt lgkmcnt(0)
	s_mul_hi_u32 s5, s6, s24
	s_add_i32 s5, s5, s6
	s_lshr_b32 s5, s5, s25
	s_mul_i32 s16, s5, s26
	s_sub_i32 s16, s6, s16
	s_mul_hi_u32 s17, s16, s27
	s_add_i32 s17, s16, s17
	s_lshr_b32 s20, s17, s28
	s_mul_i32 s17, s20, s29
	s_sub_i32 s16, s16, s17
	;; [unrolled: 5-line block ×3, first 2 shown]
	s_mul_hi_u32 s16, s15, s12
	s_add_i32 s15, s15, s16
	s_lshr_b32 s23, s15, s13
	s_lshl_b32 s15, s23, 4
	s_lshl_b32 s21, s17, 1
	s_add_i32 s15, s15, s3
	s_cmp_lt_i32 s15, s8
	s_cselect_b64 s[16:17], -1, 0
	s_add_i32 s15, s21, s4
	s_cmp_lt_i32 s15, s10
	s_cselect_b64 s[18:19], -1, 0
	s_and_b64 s[16:17], s[16:17], s[18:19]
	s_andn2_b64 vcc, exec, s[16:17]
	s_cbranch_vccnz .LBB29_23
; %bb.8:
	s_load_dwordx4 s[16:19], s[0:1], 0x0
	s_mov_b32 s0, 0
	s_lshl_b32 s15, s3, 1
	s_lshl_b32 s24, s22, 7
	s_mov_b32 s25, s0
	s_add_i32 s15, s15, s4
	s_waitcnt lgkmcnt(0)
	v_mov_b32_e32 v2, s16
	v_mov_b32_e32 v3, s17
	s_lshl_b64 s[16:17], s[24:25], 2
	s_add_u32 s16, s18, s16
	s_mul_i32 s1, s5, s8
	s_addc_u32 s17, s19, s17
	s_add_i32 s1, s1, s3
	s_mul_i32 s1, s1, s9
	s_mul_i32 s20, s20, s10
	s_add_i32 s1, s1, s4
	s_add_i32 s1, s1, s20
	s_mul_i32 s5, s9, s23
	s_add_i32 s1, s1, s21
	s_lshl_b32 s5, s5, 12
	s_lshl_b32 s1, s1, 8
	s_add_i32 s5, s5, s1
	v_or_b32_e32 v4, s5, v0
	v_ashrrev_i32_e32 v5, 31, v4
	v_lshl_add_u64 v[2:3], v[4:5], 2, v[2:3]
	global_load_dword v1, v[2:3], off
	v_cvt_f32_u32_e32 v4, s22
	s_lshl_b32 s1, s2, 5
	s_add_i32 s4, s15, s1
	s_ashr_i32 s5, s4, 31
	s_lshl_b64 s[4:5], s[4:5], 3
	v_rcp_iflag_f32_e32 v4, v4
	s_add_u32 s4, s18, s4
	s_addc_u32 s5, s19, s5
	s_load_dwordx2 s[4:5], s[4:5], 0x0
	v_mul_f32_e32 v4, 0x4f7ffffe, v4
	v_cvt_u32_f32_e32 v7, v4
	s_add_i32 s24, s2, -1
	v_lshl_or_b32 v6, s15, 8, v0
	s_waitcnt lgkmcnt(0)
	v_mov_b32_e32 v0, s5
	v_mov_b32_e32 v9, s4
	s_mov_b32 s10, 0x3fb8aa3b
	s_mov_b32 s20, 0xc2ce8ed0
	;; [unrolled: 1-line block ×4, first 2 shown]
	v_mov_b32_e32 v8, 0x7f800000
	s_mul_hi_i32 s1, s24, s11
	s_cmp_lg_u64 s[0:1], 0
	s_mul_i32 s8, s24, s11
	s_cbranch_scc0 .LBB29_19
.LBB29_9:
	s_add_u32 s2, s22, 0
	s_addc_u32 s3, 0, 0
	s_xor_b64 s[2:3], s[2:3], 0
	v_cvt_f32_u32_e32 v4, s2
	v_cvt_f32_u32_e32 v5, s3
	s_sub_u32 s9, 0, s2
	s_subb_u32 s25, 0, s3
	v_fmac_f32_e32 v4, 0x4f800000, v5
	v_rcp_f32_e32 v4, v4
	s_nop 0
	v_mul_f32_e32 v4, 0x5f7ffffc, v4
	v_mul_f32_e32 v5, 0x2f800000, v4
	v_trunc_f32_e32 v5, v5
	v_fmac_f32_e32 v4, 0xcf800000, v5
	v_cvt_u32_f32_e32 v5, v5
	v_cvt_u32_f32_e32 v4, v4
	v_readfirstlane_b32 s26, v5
	v_readfirstlane_b32 s4, v4
	s_mul_i32 s5, s9, s26
	s_mul_hi_u32 s28, s9, s4
	s_mul_i32 s27, s25, s4
	s_add_i32 s5, s28, s5
	s_mul_i32 s29, s9, s4
	s_add_i32 s5, s5, s27
	s_mul_i32 s28, s4, s5
	s_mul_hi_u32 s30, s4, s29
	s_mul_hi_u32 s27, s4, s5
	s_add_u32 s28, s30, s28
	s_addc_u32 s27, 0, s27
	s_mul_hi_u32 s31, s26, s29
	s_mul_i32 s29, s26, s29
	s_add_u32 s28, s28, s29
	s_mul_hi_u32 s30, s26, s5
	s_addc_u32 s27, s27, s31
	s_addc_u32 s28, s30, 0
	s_mul_i32 s5, s26, s5
	s_add_u32 s5, s27, s5
	s_addc_u32 s27, 0, s28
	s_add_u32 s28, s4, s5
	s_cselect_b64 s[4:5], -1, 0
	s_cmp_lg_u64 s[4:5], 0
	s_addc_u32 s26, s26, s27
	s_mul_i32 s4, s9, s26
	s_mul_hi_u32 s5, s9, s28
	s_add_i32 s4, s5, s4
	s_mul_i32 s25, s25, s28
	s_add_i32 s4, s4, s25
	s_mul_i32 s9, s9, s28
	s_mul_hi_u32 s25, s26, s9
	s_mul_i32 s27, s26, s9
	s_mul_i32 s30, s28, s4
	s_mul_hi_u32 s9, s28, s9
	s_mul_hi_u32 s29, s28, s4
	s_add_u32 s9, s9, s30
	s_addc_u32 s29, 0, s29
	s_add_u32 s9, s9, s27
	s_mul_hi_u32 s5, s26, s4
	s_addc_u32 s9, s29, s25
	s_addc_u32 s5, s5, 0
	s_mul_i32 s4, s26, s4
	s_add_u32 s4, s9, s4
	s_addc_u32 s9, 0, s5
	s_add_u32 s25, s28, s4
	s_cselect_b64 s[4:5], -1, 0
	s_cmp_lg_u64 s[4:5], 0
	s_addc_u32 s9, s26, s9
	s_ashr_i32 s4, s1, 31
	s_add_u32 s26, s8, s4
	s_mov_b32 s5, s4
	s_addc_u32 s27, s1, s4
	s_xor_b64 s[26:27], s[26:27], s[4:5]
	s_mul_i32 s28, s26, s9
	s_mul_hi_u32 s29, s26, s25
	s_mul_hi_u32 s1, s26, s9
	s_add_u32 s28, s29, s28
	s_addc_u32 s1, 0, s1
	s_mul_hi_u32 s30, s27, s25
	s_mul_i32 s25, s27, s25
	s_add_u32 s25, s28, s25
	s_mul_hi_u32 s29, s27, s9
	s_addc_u32 s1, s1, s30
	s_addc_u32 s25, s29, 0
	s_mul_i32 s9, s27, s9
	s_add_u32 s1, s1, s9
	s_addc_u32 s9, 0, s25
	s_mul_i32 s25, s2, s9
	s_mul_hi_u32 s28, s2, s1
	s_add_i32 s25, s28, s25
	s_mul_i32 s28, s3, s1
	s_add_i32 s25, s25, s28
	s_sub_i32 s30, s27, s25
	s_mul_i32 s28, s2, s1
	s_sub_u32 s26, s26, s28
	s_cselect_b64 s[28:29], -1, 0
	s_cmp_lg_u64 s[28:29], 0
	s_subb_u32 s33, s30, s3
	s_sub_u32 s34, s26, s2
	s_cselect_b64 s[30:31], -1, 0
	s_cmp_lg_u64 s[30:31], 0
	s_subb_u32 s30, s33, 0
	s_cmp_ge_u32 s30, s3
	s_cselect_b32 s31, -1, 0
	s_cmp_ge_u32 s34, s2
	s_cselect_b32 s33, -1, 0
	s_cmp_eq_u32 s30, s3
	s_cselect_b32 s30, s33, s31
	s_add_u32 s31, s1, 1
	s_addc_u32 s33, s9, 0
	s_add_u32 s34, s1, 2
	s_addc_u32 s35, s9, 0
	s_cmp_lg_u32 s30, 0
	s_cselect_b32 s30, s34, s31
	s_cselect_b32 s31, s35, s33
	s_cmp_lg_u64 s[28:29], 0
	s_subb_u32 s25, s27, s25
	s_cmp_ge_u32 s25, s3
	s_cselect_b32 s27, -1, 0
	s_cmp_ge_u32 s26, s2
	s_cselect_b32 s2, -1, 0
	s_cmp_eq_u32 s25, s3
	s_cselect_b32 s2, s2, s27
	s_cmp_lg_u32 s2, 0
	s_cselect_b32 s3, s31, s9
	s_cselect_b32 s2, s30, s1
	s_xor_b64 s[4:5], s[4:5], 0
	s_xor_b64 s[2:3], s[2:3], s[4:5]
	s_sub_u32 s4, s2, s4
	s_cbranch_execnz .LBB29_11
.LBB29_10:
	s_sub_i32 s1, 0, s22
	v_readfirstlane_b32 s2, v7
	s_mul_i32 s1, s1, s2
	s_mul_hi_u32 s1, s2, s1
	s_add_i32 s2, s2, s1
	s_mul_hi_u32 s1, s8, s2
	s_mul_i32 s3, s1, s22
	s_sub_i32 s3, s8, s3
	s_add_i32 s2, s1, 1
	s_sub_i32 s4, s3, s22
	s_cmp_ge_u32 s3, s22
	s_cselect_b32 s1, s2, s1
	s_cselect_b32 s3, s4, s3
	s_add_i32 s2, s1, 1
	s_cmp_ge_u32 s3, s22
	s_cselect_b32 s4, s2, s1
.LBB29_11:
	s_cmp_lg_u32 s6, s4
	s_cbranch_scc0 .LBB29_15
; %bb.12:
	s_add_i32 s1, s24, s22
	s_lshl_b32 s1, s1, 5
	s_add_i32 s2, s1, s15
	s_mov_b32 s3, s0
	s_lshl_b64 s[2:3], s[2:3], 3
	s_add_u32 s8, s18, s2
	s_mul_hi_u32 s1, s4, s12
	s_addc_u32 s9, s19, s3
	s_add_i32 s1, s1, s4
	s_lshr_b32 s1, s1, s13
	s_mul_i32 s2, s1, s14
	s_cmp_eq_u32 s2, s4
	s_cselect_b64 s[2:3], -1, 0
	s_cmp_lt_u32 s1, s7
	s_cselect_b64 s[26:27], -1, 0
	s_or_b64 s[26:27], s[26:27], s[2:3]
	s_mov_b64 s[2:3], -1
	s_and_b64 vcc, exec, s[26:27]
	s_mov_b32 s1, s24
	s_mov_b32 s25, s6
	s_cbranch_vccnz .LBB29_14
; %bb.13:
	s_add_i32 s1, s24, -1
	s_mov_b64 s[2:3], 0
	s_mov_b32 s25, s4
.LBB29_14:
	v_lshl_add_u32 v4, s24, 13, v6
	v_ashrrev_i32_e32 v5, 31, v4
	v_lshl_add_u64 v[4:5], v[4:5], 2, s[16:17]
	global_load_dword v5, v[4:5], off
	s_load_dwordx2 s[4:5], s[8:9], 0x0
	v_max_f32_e32 v4, v9, v9
	s_waitcnt lgkmcnt(0)
	v_max_f32_e64 v10, s4, s4
	v_max_f32_e32 v10, v4, v10
	v_sub_f32_e32 v11, v9, v10
	v_sub_f32_e32 v13, s4, v10
	v_mul_f32_e32 v4, 0x3fb8aa3b, v11
	v_mul_f32_e32 v12, 0x3fb8aa3b, v13
	v_fma_f32 v14, v11, s10, -v4
	v_rndne_f32_e32 v15, v4
	v_fma_f32 v16, v13, s10, -v12
	v_rndne_f32_e32 v17, v12
	v_fmac_f32_e32 v14, 0x32a5705f, v11
	v_sub_f32_e32 v4, v4, v15
	v_fmac_f32_e32 v16, 0x32a5705f, v13
	v_sub_f32_e32 v12, v12, v17
	v_add_f32_e32 v4, v4, v14
	v_cvt_i32_f32_e32 v15, v15
	v_add_f32_e32 v12, v12, v16
	v_exp_f32_e32 v14, v4
	v_cvt_i32_f32_e32 v17, v17
	v_exp_f32_e32 v12, v12
	v_cmp_ngt_f32_e32 vcc, s20, v11
	v_ldexp_f32 v14, v14, v15
	v_mov_b32_e32 v4, s5
	v_ldexp_f32 v12, v12, v17
	v_cndmask_b32_e32 v14, 0, v14, vcc
	v_cmp_ngt_f32_e32 vcc, s20, v13
	s_nop 1
	v_cndmask_b32_e32 v12, 0, v12, vcc
	v_cmp_nlt_f32_e32 vcc, s21, v11
	s_nop 1
	v_cndmask_b32_e32 v14, v8, v14, vcc
	v_cmp_nlt_f32_e32 vcc, s21, v13
	s_nop 1
	v_cndmask_b32_e32 v15, v8, v12, vcc
	v_cmp_le_f32_e32 vcc, s23, v11
	s_nop 1
	v_cndmask_b32_e32 v12, 0, v14, vcc
	v_cmp_le_f32_e32 vcc, s23, v13
	s_nop 1
	v_cndmask_b32_e32 v14, 0, v15, vcc
	s_waitcnt vmcnt(0)
	v_pk_mul_f32 v[4:5], v[4:5], v[14:15] op_sel_hi:[1,0]
	s_nop 0
	v_pk_fma_f32 v[4:5], v[0:1], v[12:13], v[4:5] op_sel_hi:[1,0,1]
	s_cbranch_execz .LBB29_16
	s_branch .LBB29_17
.LBB29_15:
                                        ; implicit-def: $vgpr4_vgpr5
                                        ; implicit-def: $sgpr2_sgpr3
                                        ; implicit-def: $vgpr10
                                        ; implicit-def: $sgpr1
                                        ; implicit-def: $sgpr25
.LBB29_16:
	s_add_i32 s1, s24, -1
	s_mov_b64 s[2:3], 0
	s_mov_b32 s25, s6
	v_mov_b32_e32 v10, v9
	s_waitcnt vmcnt(0)
	v_mov_b64_e32 v[4:5], v[0:1]
.LBB29_17:
	s_andn2_b64 vcc, exec, s[2:3]
	s_cbranch_vccz .LBB29_22
; %bb.18:
	s_mov_b32 s6, s25
	s_mov_b32 s24, s1
	v_mov_b32_e32 v9, v10
	s_waitcnt vmcnt(0)
	v_mov_b64_e32 v[0:1], v[4:5]
	s_mul_hi_i32 s1, s24, s11
	s_cmp_lg_u64 s[0:1], 0
	s_mul_i32 s8, s24, s11
	s_cbranch_scc1 .LBB29_9
.LBB29_19:
                                        ; implicit-def: $sgpr4_sgpr5
	s_branch .LBB29_10
.LBB29_20:
                                        ; implicit-def: $sgpr6_sgpr7
	s_load_dwordx4 s[12:15], s[0:1], 0x44
	s_branch .LBB29_2
.LBB29_21:
                                        ; implicit-def: $sgpr18_sgpr19
	s_branch .LBB29_5
.LBB29_22:
	v_div_scale_f32 v0, s[0:1], v4, v4, v5
	s_waitcnt vmcnt(0)
	v_rcp_f32_e32 v1, v0
	v_div_scale_f32 v6, vcc, v5, v4, v5
	v_fma_f32 v7, -v0, v1, 1.0
	v_fmac_f32_e32 v1, v7, v1
	v_mul_f32_e32 v7, v6, v1
	v_fma_f32 v8, -v0, v7, v6
	v_fmac_f32_e32 v7, v8, v1
	v_fma_f32 v0, -v0, v7, v6
	v_div_fmas_f32 v0, v0, v1, v7
	v_div_fixup_f32 v0, v0, v4, v5
	global_store_dword v[2:3], v0, off
.LBB29_23:
	s_endpgm
	.section	.rodata,"a",@progbits
	.p2align	6, 0x0
	.amdhsa_kernel _ZL33flash_attn_stream_k_fixup_generalILi256ELi16ELi2EEvPfPK15HIP_vector_typeIfLj2EEiiiiS1_IjLj3EES5_S5_S5_
		.amdhsa_group_segment_fixed_size 0
		.amdhsa_private_segment_fixed_size 0
		.amdhsa_kernarg_size 336
		.amdhsa_user_sgpr_count 2
		.amdhsa_user_sgpr_dispatch_ptr 0
		.amdhsa_user_sgpr_queue_ptr 0
		.amdhsa_user_sgpr_kernarg_segment_ptr 1
		.amdhsa_user_sgpr_dispatch_id 0
		.amdhsa_user_sgpr_kernarg_preload_length 0
		.amdhsa_user_sgpr_kernarg_preload_offset 0
		.amdhsa_user_sgpr_private_segment_size 0
		.amdhsa_uses_dynamic_stack 0
		.amdhsa_enable_private_segment 0
		.amdhsa_system_sgpr_workgroup_id_x 1
		.amdhsa_system_sgpr_workgroup_id_y 1
		.amdhsa_system_sgpr_workgroup_id_z 1
		.amdhsa_system_sgpr_workgroup_info 0
		.amdhsa_system_vgpr_workitem_id 0
		.amdhsa_next_free_vgpr 18
		.amdhsa_next_free_sgpr 36
		.amdhsa_accum_offset 20
		.amdhsa_reserve_vcc 1
		.amdhsa_float_round_mode_32 0
		.amdhsa_float_round_mode_16_64 0
		.amdhsa_float_denorm_mode_32 3
		.amdhsa_float_denorm_mode_16_64 3
		.amdhsa_dx10_clamp 1
		.amdhsa_ieee_mode 1
		.amdhsa_fp16_overflow 0
		.amdhsa_tg_split 0
		.amdhsa_exception_fp_ieee_invalid_op 0
		.amdhsa_exception_fp_denorm_src 0
		.amdhsa_exception_fp_ieee_div_zero 0
		.amdhsa_exception_fp_ieee_overflow 0
		.amdhsa_exception_fp_ieee_underflow 0
		.amdhsa_exception_fp_ieee_inexact 0
		.amdhsa_exception_int_div_zero 0
	.end_amdhsa_kernel
	.section	.text._ZL33flash_attn_stream_k_fixup_generalILi256ELi16ELi2EEvPfPK15HIP_vector_typeIfLj2EEiiiiS1_IjLj3EES5_S5_S5_,"axG",@progbits,_ZL33flash_attn_stream_k_fixup_generalILi256ELi16ELi2EEvPfPK15HIP_vector_typeIfLj2EEiiiiS1_IjLj3EES5_S5_S5_,comdat
.Lfunc_end29:
	.size	_ZL33flash_attn_stream_k_fixup_generalILi256ELi16ELi2EEvPfPK15HIP_vector_typeIfLj2EEiiiiS1_IjLj3EES5_S5_S5_, .Lfunc_end29-_ZL33flash_attn_stream_k_fixup_generalILi256ELi16ELi2EEvPfPK15HIP_vector_typeIfLj2EEiiiiS1_IjLj3EES5_S5_S5_
                                        ; -- End function
	.set _ZL33flash_attn_stream_k_fixup_generalILi256ELi16ELi2EEvPfPK15HIP_vector_typeIfLj2EEiiiiS1_IjLj3EES5_S5_S5_.num_vgpr, 18
	.set _ZL33flash_attn_stream_k_fixup_generalILi256ELi16ELi2EEvPfPK15HIP_vector_typeIfLj2EEiiiiS1_IjLj3EES5_S5_S5_.num_agpr, 0
	.set _ZL33flash_attn_stream_k_fixup_generalILi256ELi16ELi2EEvPfPK15HIP_vector_typeIfLj2EEiiiiS1_IjLj3EES5_S5_S5_.numbered_sgpr, 36
	.set _ZL33flash_attn_stream_k_fixup_generalILi256ELi16ELi2EEvPfPK15HIP_vector_typeIfLj2EEiiiiS1_IjLj3EES5_S5_S5_.num_named_barrier, 0
	.set _ZL33flash_attn_stream_k_fixup_generalILi256ELi16ELi2EEvPfPK15HIP_vector_typeIfLj2EEiiiiS1_IjLj3EES5_S5_S5_.private_seg_size, 0
	.set _ZL33flash_attn_stream_k_fixup_generalILi256ELi16ELi2EEvPfPK15HIP_vector_typeIfLj2EEiiiiS1_IjLj3EES5_S5_S5_.uses_vcc, 1
	.set _ZL33flash_attn_stream_k_fixup_generalILi256ELi16ELi2EEvPfPK15HIP_vector_typeIfLj2EEiiiiS1_IjLj3EES5_S5_S5_.uses_flat_scratch, 0
	.set _ZL33flash_attn_stream_k_fixup_generalILi256ELi16ELi2EEvPfPK15HIP_vector_typeIfLj2EEiiiiS1_IjLj3EES5_S5_S5_.has_dyn_sized_stack, 0
	.set _ZL33flash_attn_stream_k_fixup_generalILi256ELi16ELi2EEvPfPK15HIP_vector_typeIfLj2EEiiiiS1_IjLj3EES5_S5_S5_.has_recursion, 0
	.set _ZL33flash_attn_stream_k_fixup_generalILi256ELi16ELi2EEvPfPK15HIP_vector_typeIfLj2EEiiiiS1_IjLj3EES5_S5_S5_.has_indirect_call, 0
	.section	.AMDGPU.csdata,"",@progbits
; Kernel info:
; codeLenInByte = 2940
; TotalNumSgprs: 42
; NumVgprs: 18
; NumAgprs: 0
; TotalNumVgprs: 18
; ScratchSize: 0
; MemoryBound: 0
; FloatMode: 240
; IeeeMode: 1
; LDSByteSize: 0 bytes/workgroup (compile time only)
; SGPRBlocks: 5
; VGPRBlocks: 2
; NumSGPRsForWavesPerEU: 42
; NumVGPRsForWavesPerEU: 18
; AccumOffset: 20
; Occupancy: 8
; WaveLimiterHint : 0
; COMPUTE_PGM_RSRC2:SCRATCH_EN: 0
; COMPUTE_PGM_RSRC2:USER_SGPR: 2
; COMPUTE_PGM_RSRC2:TRAP_HANDLER: 0
; COMPUTE_PGM_RSRC2:TGID_X_EN: 1
; COMPUTE_PGM_RSRC2:TGID_Y_EN: 1
; COMPUTE_PGM_RSRC2:TGID_Z_EN: 1
; COMPUTE_PGM_RSRC2:TIDIG_COMP_CNT: 0
; COMPUTE_PGM_RSRC3_GFX90A:ACCUM_OFFSET: 4
; COMPUTE_PGM_RSRC3_GFX90A:TG_SPLIT: 0
	.section	.text._ZL15flash_attn_tileILi256ELi256ELi8ELi2ELb0EEvPKcS1_S1_S1_S1_PKiPfP15HIP_vector_typeIfLj2EEffffjfiS5_IjLj3EEiiiiiiiiiiiliiliiiiil,"axG",@progbits,_ZL15flash_attn_tileILi256ELi256ELi8ELi2ELb0EEvPKcS1_S1_S1_S1_PKiPfP15HIP_vector_typeIfLj2EEffffjfiS5_IjLj3EEiiiiiiiiiiiliiliiiiil,comdat
	.globl	_ZL15flash_attn_tileILi256ELi256ELi8ELi2ELb0EEvPKcS1_S1_S1_S1_PKiPfP15HIP_vector_typeIfLj2EEffffjfiS5_IjLj3EEiiiiiiiiiiiliiliiiiil ; -- Begin function _ZL15flash_attn_tileILi256ELi256ELi8ELi2ELb0EEvPKcS1_S1_S1_S1_PKiPfP15HIP_vector_typeIfLj2EEffffjfiS5_IjLj3EEiiiiiiiiiiiliiliiiiil
	.p2align	8
	.type	_ZL15flash_attn_tileILi256ELi256ELi8ELi2ELb0EEvPKcS1_S1_S1_S1_PKiPfP15HIP_vector_typeIfLj2EEffffjfiS5_IjLj3EEiiiiiiiiiiiliiliiiiil,@function
_ZL15flash_attn_tileILi256ELi256ELi8ELi2ELb0EEvPKcS1_S1_S1_S1_PKiPfP15HIP_vector_typeIfLj2EEffffjfiS5_IjLj3EEiiiiiiiiiiiliiliiiiil: ; @_ZL15flash_attn_tileILi256ELi256ELi8ELi2ELb0EEvPKcS1_S1_S1_S1_PKiPfP15HIP_vector_typeIfLj2EEffffjfiS5_IjLj3EEiiiiiiiiiiiliiliiiiil
; %bb.0:
	s_load_dwordx4 s[20:23], s[0:1], 0x5c
	s_load_dwordx2 s[30:31], s[0:1], 0x80
	s_load_dwordx2 s[36:37], s[0:1], 0xb8
	s_mov_b64 s[34:35], 0
	s_waitcnt lgkmcnt(0)
	s_lshr_b32 s5, s23, 31
	s_add_i32 s5, s23, s5
	s_ashr_i32 s5, s5, 1
	v_cvt_f32_u32_e32 v1, s5
	s_sub_i32 s6, 0, s5
	v_rcp_iflag_f32_e32 v1, v1
	s_nop 0
	v_mul_f32_e32 v1, 0x4f7ffffe, v1
	v_cvt_u32_f32_e32 v1, v1
	s_nop 0
	v_readfirstlane_b32 s7, v1
	s_mul_i32 s6, s6, s7
	s_mul_hi_u32 s6, s7, s6
	s_add_i32 s7, s7, s6
	s_mul_hi_u32 s6, s4, s7
	s_mul_i32 s7, s6, s5
	s_sub_i32 s7, s4, s7
	s_add_i32 s8, s6, 1
	s_sub_i32 s9, s7, s5
	s_cmp_ge_u32 s7, s5
	s_cselect_b32 s6, s8, s6
	s_cselect_b32 s7, s9, s7
	s_add_i32 s8, s6, 1
	s_cmp_ge_u32 s7, s5
	s_cselect_b32 s33, s8, s6
	s_abs_i32 s5, s31
	v_cvt_f32_u32_e32 v1, s5
	s_lshl_b32 s4, s4, 1
	s_mul_i32 s8, s33, s23
	s_sub_i32 s9, 0, s5
	v_rcp_iflag_f32_e32 v1, v1
	s_sub_i32 s28, s4, s8
	s_abs_i32 s7, s23
	s_xor_b32 s6, s23, s31
	v_mul_f32_e32 v1, 0x4f7ffffe, v1
	v_cvt_u32_f32_e32 v1, v1
	s_ashr_i32 s6, s6, 31
	v_readfirstlane_b32 s4, v1
	s_mul_i32 s9, s9, s4
	s_mul_hi_u32 s8, s4, s9
	s_add_i32 s4, s4, s8
	s_mul_hi_u32 s4, s7, s4
	s_mul_i32 s8, s4, s5
	s_sub_i32 s7, s7, s8
	s_add_i32 s9, s4, 1
	s_sub_i32 s8, s7, s5
	s_cmp_ge_u32 s7, s5
	s_cselect_b32 s4, s9, s4
	s_cselect_b32 s7, s8, s7
	s_add_i32 s8, s4, 1
	s_cmp_ge_u32 s7, s5
	s_cselect_b32 s4, s8, s4
	s_xor_b32 s4, s4, s6
	s_sub_i32 s31, s4, s6
	s_abs_i32 s29, s31
	v_cvt_f32_u32_e32 v1, s29
	s_load_dwordx16 s[4:19], s[0:1], 0x0
	v_rcp_iflag_f32_e32 v1, v1
	s_waitcnt lgkmcnt(0)
	s_cmp_eq_u64 s[10:11], 0
	v_mul_f32_e32 v1, 0x4f7ffffe, v1
	v_cvt_u32_f32_e32 v1, v1
	s_nop 0
	v_readfirstlane_b32 s38, v1
	s_cbranch_scc1 .LBB30_2
; %bb.1:
	s_abs_i32 s26, s36
	v_cvt_f32_u32_e32 v1, s26
	s_sub_i32 s35, 0, s26
	s_abs_i32 s34, s33
	s_ashr_i32 s27, s33, 31
	v_rcp_iflag_f32_e32 v1, v1
	s_load_dwordx2 s[24:25], s[0:1], 0xc8
	v_mul_f32_e32 v1, 0x4f7ffffe, v1
	v_cvt_u32_f32_e32 v1, v1
	s_nop 0
	v_readfirstlane_b32 s36, v1
	s_mul_i32 s35, s35, s36
	s_mul_hi_u32 s35, s36, s35
	s_add_i32 s36, s36, s35
	s_mul_hi_u32 s35, s34, s36
	s_mul_i32 s35, s35, s26
	s_sub_i32 s34, s34, s35
	s_sub_i32 s35, s34, s26
	s_cmp_ge_u32 s34, s26
	s_cselect_b32 s34, s35, s34
	s_sub_i32 s35, s34, s26
	s_cmp_ge_u32 s34, s26
	s_cselect_b32 s26, s35, s34
	s_xor_b32 s26, s26, s27
	s_sub_i32 s26, s26, s27
	s_ashr_i32 s27, s26, 31
	s_waitcnt lgkmcnt(0)
	s_mul_hi_u32 s34, s24, s26
	s_mul_i32 s27, s24, s27
	s_mul_i32 s25, s25, s26
	s_add_i32 s27, s34, s27
	s_add_i32 s27, s27, s25
	s_mul_i32 s24, s24, s26
	s_add_u32 s34, s10, s24
	s_addc_u32 s35, s11, s27
.LBB30_2:
	s_load_dwordx4 s[24:27], s[0:1], 0x70
	v_bfe_u32 v1, v0, 10, 10
	v_lshl_add_u32 v9, s2, 3, v1
	v_mul_hi_u32 v2, s20, v9
	v_add_u32_e32 v2, v9, v2
	s_waitcnt lgkmcnt(0)
	s_mul_i32 s10, s33, s26
	s_ashr_i32 s26, s10, 31
	s_mul_i32 s11, s28, s25
	s_add_u32 s4, s4, s10
	s_addc_u32 s5, s5, s26
	s_ashr_i32 s10, s11, 31
	s_add_u32 s4, s4, s11
	v_lshrrev_b32_e32 v2, s21, v2
	s_addc_u32 s5, s5, s10
	v_mul_lo_u32 v2, v2, s22
	s_ashr_i32 s11, s24, 31
	s_mov_b32 s10, s24
	v_sub_u32_e32 v2, v9, v2
	s_lshr_b64 s[20:21], s[10:11], 2
	v_mad_u64_u32 v[4:5], s[20:21], s20, v2, 0
	v_mov_b32_e32 v6, v5
	s_lshr_b32 s10, s11, 2
	v_mad_u64_u32 v[6:7], s[10:11], s10, v2, v[6:7]
	v_mov_b32_e32 v5, v6
	v_and_b32_e32 v8, 0x3ff, v0
	v_mov_b32_e32 v7, 0
	v_lshl_add_u64 v[4:5], v[4:5], 2, s[4:5]
	v_lshlrev_b32_e32 v6, 4, v8
	v_lshl_add_u64 v[14:15], v[4:5], 0, v[6:7]
	s_ashr_i32 s5, s25, 31
	s_and_b32 s4, s25, -4
	global_load_dwordx4 v[4:7], v[14:15], off
	global_load_dwordx4 v[10:13], v[14:15], off offset:512
	v_lshl_add_u64 v[22:23], v[14:15], 0, s[4:5]
	global_load_dwordx4 v[14:17], v[22:23], off
	global_load_dwordx4 v[18:21], v[22:23], off offset:512
	s_load_dword s4, s[0:1], 0x40
	v_mov_b32_e32 v0, 0x2200
	v_lshl_add_u32 v31, v1, 10, v0
	v_lshlrev_b32_e32 v32, 3, v8
	v_add_u32_e32 v0, v31, v32
	s_cmp_eq_u64 s[14:15], 0
	s_waitcnt vmcnt(3) lgkmcnt(0)
	v_fma_mixlo_f16 v3, s4, v4, 0
	v_fma_mixlo_f16 v4, s4, v5, 0
	;; [unrolled: 1-line block ×4, first 2 shown]
	s_waitcnt vmcnt(2)
	v_fma_mixlo_f16 v7, s4, v10, 0
	v_fma_mixlo_f16 v10, s4, v11, 0
	;; [unrolled: 1-line block ×4, first 2 shown]
	v_lshlrev_b32_e32 v4, 16, v4
	v_and_b32_e32 v3, 0xffff, v3
	v_lshlrev_b32_e32 v6, 16, v6
	v_and_b32_e32 v5, 0xffff, v5
	;; [unrolled: 2-line block ×4, first 2 shown]
	s_waitcnt vmcnt(1)
	v_fma_mixlo_f16 v13, s4, v14, 0
	v_fma_mixlo_f16 v14, s4, v15, 0
	;; [unrolled: 1-line block ×4, first 2 shown]
	s_waitcnt vmcnt(0)
	v_fma_mixlo_f16 v17, s4, v18, 0
	v_fma_mixlo_f16 v18, s4, v19, 0
	;; [unrolled: 1-line block ×4, first 2 shown]
	v_or_b32_e32 v3, v4, v3
	v_or3_b32 v5, v6, v5, 0
	v_or_b32_e32 v6, v10, v7
	v_or3_b32 v7, v12, v11, 0
	v_lshlrev_b32_e32 v10, 16, v14
	v_and_b32_e32 v11, 0xffff, v13
	v_lshlrev_b32_e32 v12, 16, v16
	v_and_b32_e32 v13, 0xffff, v15
	;; [unrolled: 2-line block ×4, first 2 shown]
	v_or3_b32 v4, 0, 0, v3
	v_or_b32_e32 v3, v10, v11
	v_or3_b32 v11, v12, v13, 0
	v_or_b32_e32 v12, v14, v15
	v_or3_b32 v6, 0, 0, v6
	v_or3_b32 v13, v16, v17, 0
	;; [unrolled: 1-line block ×4, first 2 shown]
	ds_write2_b64 v0, v[4:5], v[6:7] offset1:32
	ds_write2_b64 v0, v[10:11], v[12:13] offset0:64 offset1:96
	s_waitcnt lgkmcnt(0)
	s_barrier
	s_cbranch_scc1 .LBB30_4
; %bb.3:
	s_load_dword s4, s[0:1], 0xd0
	s_mov_b32 s5, 0
	s_waitcnt lgkmcnt(0)
	s_mul_i32 s4, s4, s33
	s_add_i32 s4, s4, s2
	s_lshl_b64 s[4:5], s[4:5], 2
	s_add_u32 s4, s14, s4
	s_addc_u32 s5, s15, s5
	s_load_dword s30, s[4:5], 0x0
.LBB30_4:
	s_lshl_b32 s2, s3, 5
	v_lshlrev_b32_e32 v30, 2, v8
	s_waitcnt lgkmcnt(0)
	s_cmp_lt_i32 s2, s30
	v_mbcnt_lo_u32_b32 v0, -1, 0
	s_cbranch_scc1 .LBB30_7
; %bb.5:
	v_mbcnt_hi_u32_b32 v19, -1, v0
	v_and_b32_e32 v3, 0x60, v19
	v_add_u32_e32 v33, 32, v3
	v_xor_b32_e32 v38, 16, v19
	v_xor_b32_e32 v37, 8, v19
	;; [unrolled: 1-line block ×5, first 2 shown]
	s_cbranch_execz .LBB30_8
; %bb.6:
	v_mov_b32_e32 v11, 0
	v_mov_b32_e32 v5, 0xfeffffff
	;; [unrolled: 1-line block ×12, first 2 shown]
	s_branch .LBB30_10
.LBB30_7:
                                        ; implicit-def: $vgpr19
                                        ; implicit-def: $vgpr33
                                        ; implicit-def: $vgpr38
                                        ; implicit-def: $vgpr37
                                        ; implicit-def: $vgpr36
                                        ; implicit-def: $vgpr35
                                        ; implicit-def: $vgpr34
.LBB30_8:
	s_sub_i32 s4, 0, s29
	s_mul_i32 s4, s4, s38
	s_mul_hi_u32 s4, s38, s4
	s_add_i32 s38, s38, s4
	s_load_dwordx2 s[4:5], s[0:1], 0x8c
	s_load_dwordx4 s[24:27], s[0:1], 0x98
	s_abs_i32 s20, s28
	s_mul_hi_u32 s21, s20, s38
	s_ashr_i32 s36, s28, 31
	s_waitcnt lgkmcnt(0)
	s_ashr_i32 s15, s4, 2
	s_ashr_i32 s4, s33, 31
	;; [unrolled: 1-line block ×4, first 2 shown]
	s_mul_hi_u32 s37, s24, s33
	s_mul_i32 s38, s24, s4
	s_add_i32 s37, s37, s38
	s_mul_i32 s25, s25, s33
	s_ashr_i32 s31, s31, 31
	s_add_i32 s37, s37, s25
	s_mul_i32 s24, s24, s33
	s_add_u32 s6, s6, s24
	s_mul_i32 s25, s21, s29
	s_addc_u32 s7, s7, s37
	s_sub_i32 s20, s20, s25
	s_xor_b32 s24, s36, s31
	s_add_i32 s25, s21, 1
	s_sub_i32 s31, s20, s29
	s_cmp_ge_u32 s20, s29
	s_cselect_b32 s21, s25, s21
	s_cselect_b32 s20, s31, s20
	s_add_i32 s25, s21, 1
	s_cmp_ge_u32 s20, s29
	s_load_dwordx2 s[10:11], s[0:1], 0xa8
	s_cselect_b32 s20, s25, s21
	s_xor_b32 s20, s20, s24
	s_sub_i32 s24, s20, s24
	s_mul_i32 s5, s24, s5
	s_ashr_i32 s21, s5, 31
	s_add_u32 s20, s6, s5
	s_waitcnt lgkmcnt(0)
	s_mul_hi_u32 s5, s10, s33
	s_mul_i32 s4, s10, s4
	s_addc_u32 s21, s7, s21
	s_add_i32 s4, s5, s4
	s_mul_i32 s5, s11, s33
	s_add_i32 s4, s4, s5
	s_mul_i32 s5, s10, s33
	s_add_u32 s5, s8, s5
	s_mul_i32 s24, s24, s27
	s_addc_u32 s4, s9, s4
	s_ashr_i32 s6, s24, 31
	s_add_u32 s24, s5, s24
	v_lshrrev_b32_e32 v3, 4, v8
	v_and_b32_e32 v6, 60, v30
	s_addc_u32 s25, s4, s6
	v_lshl_add_u32 v3, v1, 1, v3
	v_lshlrev_b32_e32 v4, 2, v6
	s_movk_i32 s4, 0x110
	v_mad_u32_u24 v39, v3, s4, v4
	v_mad_u64_u32 v[18:19], s[4:5], v2, s26, v[8:9]
	v_mov_b32_e32 v2, 0x4200
	v_lshl_add_u32 v42, v1, 7, v2
	v_mul_lo_u32 v2, s14, v1
	v_mul_lo_u32 v14, s15, v3
	v_lshlrev_b32_e32 v20, 2, v30
	v_lshl_add_u32 v10, s14, 3, v2
	v_mbcnt_hi_u32_b32 v19, -1, v0
	v_mov_b32_e32 v13, 0
	v_lshl_add_u32 v16, s15, 4, v14
	v_lshl_add_u32 v43, v1, 9, v20
	v_ashrrev_i32_e32 v3, 31, v2
	v_ashrrev_i32_e32 v11, 31, v10
	s_add_u32 s10, s0, 0xd0
	v_mov_b32_e32 v4, 0xfeffffff
	v_and_b32_e32 v0, 0x60, v19
	v_ashrrev_i32_e32 v15, 31, v14
	v_add_u32_e32 v40, 0x1100, v39
	v_ashrrev_i32_e32 v17, 31, v16
	v_mul_u32_u24_e32 v41, 0x110, v8
	v_add_u32_e32 v44, 0x1000, v43
	s_addc_u32 s11, s1, 0
	v_lshlrev_b32_e32 v12, 2, v6
	v_add_u32_e32 v33, 32, v0
	v_xor_b32_e32 v38, 16, v19
	v_xor_b32_e32 v37, 8, v19
	;; [unrolled: 1-line block ×5, first 2 shown]
	s_mov_b32 s26, 0x3fb8aa3b
	s_mov_b32 s27, 0xc2ce8ed0
	;; [unrolled: 1-line block ×3, first 2 shown]
	v_mov_b32_e32 v45, 0x7f800000
	s_mov_b32 s31, 0x10001
	v_add_u32_e32 v46, v42, v30
	v_lshlrev_b64 v[22:23], 2, v[2:3]
	v_mov_b32_e32 v21, v13
	v_lshlrev_b64 v[24:25], 2, v[10:11]
	v_add_u32_e32 v47, 0x800, v32
	v_add_u32_e32 v48, 0x1000, v32
	;; [unrolled: 1-line block ×3, first 2 shown]
	v_mov_b32_e32 v50, v13
	v_mov_b32_e32 v51, v13
	;; [unrolled: 1-line block ×11, first 2 shown]
.LBB30_9:                               ; =>This Inner Loop Header: Depth=1
	s_mul_hi_i32 s5, s2, s15
	s_mul_i32 s4, s2, s15
	s_lshl_b64 s[4:5], s[4:5], 2
	s_add_u32 s4, s20, s4
	s_addc_u32 s5, s21, s5
	v_lshl_add_u64 v[0:1], v[14:15], 2, s[4:5]
	v_lshl_add_u64 v[2:3], v[16:17], 2, s[4:5]
	;; [unrolled: 1-line block ×3, first 2 shown]
	v_mov_b32_e32 v60, v5
	v_mov_b32_e32 v61, v4
	v_lshl_add_u64 v[2:3], v[2:3], 0, v[12:13]
	global_load_dwordx4 v[4:7], v[0:1], off
	global_load_dwordx4 v[62:65], v[2:3], off
	v_mov_b32_e32 v58, 0
	v_mov_b32_e32 v59, 0
	s_mul_hi_i32 s5, s2, s14
	s_mul_i32 s4, s2, s14
	v_cmp_lt_i32_e32 vcc, v38, v33
	s_lshl_b64 s[4:5], s[4:5], 2
	s_add_u32 s4, s24, s4
	v_cndmask_b32_e32 v28, v19, v38, vcc
	v_cmp_lt_i32_e32 vcc, v37, v33
	s_addc_u32 s5, s25, s5
	s_or_b32 s6, s2, 16
	v_cndmask_b32_e32 v29, v19, v37, vcc
	v_add_u32_e32 v26, s2, v18
	v_ashrrev_i32_e32 v27, 31, v26
	v_lshl_add_u64 v[26:27], v[26:27], 1, s[34:35]
	v_cmp_lt_i32_e32 vcc, v36, v33
	s_waitcnt vmcnt(1)
	ds_write_b128 v39, v[4:7]
	s_waitcnt vmcnt(0)
	ds_write_b128 v40, v[62:65]
	s_waitcnt lgkmcnt(0)
	s_barrier
	ds_read_b128 v[4:7], v41
	ds_read_b128 v[62:65], v31
	ds_read_b128 v[66:69], v31 offset:512
	s_waitcnt lgkmcnt(1)
	;;#ASMSTART
	v_dot2_f32_f16 v58, v4, v62, v58
	;;#ASMEND
	s_nop 0
	;;#ASMSTART
	v_dot2_f32_f16 v58, v5, v63, v58
	;;#ASMEND
	s_nop 0
	;;#ASMSTART
	v_dot2_f32_f16 v58, v6, v64, v58
	;;#ASMEND
	s_nop 0
	;;#ASMSTART
	v_dot2_f32_f16 v58, v7, v65, v58
	;;#ASMEND
	s_waitcnt lgkmcnt(0)
	;;#ASMSTART
	v_dot2_f32_f16 v59, v4, v66, v59
	;;#ASMEND
	s_nop 0
	;;#ASMSTART
	v_dot2_f32_f16 v59, v5, v67, v59
	;;#ASMEND
	s_nop 0
	;;#ASMSTART
	v_dot2_f32_f16 v59, v6, v68, v59
	;;#ASMEND
	s_nop 0
	;;#ASMSTART
	v_dot2_f32_f16 v59, v7, v69, v59
	;;#ASMEND
	ds_read_b128 v[4:7], v41 offset:16
	ds_read_b128 v[62:65], v31 offset:16
	ds_read_b128 v[66:69], v31 offset:528
	s_waitcnt lgkmcnt(1)
	;;#ASMSTART
	v_dot2_f32_f16 v58, v4, v62, v58
	;;#ASMEND
	s_nop 0
	;;#ASMSTART
	v_dot2_f32_f16 v58, v5, v63, v58
	;;#ASMEND
	s_nop 0
	;;#ASMSTART
	v_dot2_f32_f16 v58, v6, v64, v58
	;;#ASMEND
	s_nop 0
	;;#ASMSTART
	v_dot2_f32_f16 v58, v7, v65, v58
	;;#ASMEND
	s_waitcnt lgkmcnt(0)
	;;#ASMSTART
	v_dot2_f32_f16 v59, v4, v66, v59
	;;#ASMEND
	s_nop 0
	;;#ASMSTART
	v_dot2_f32_f16 v59, v5, v67, v59
	;;#ASMEND
	s_nop 0
	;;#ASMSTART
	v_dot2_f32_f16 v59, v6, v68, v59
	;;#ASMEND
	s_nop 0
	;;#ASMSTART
	v_dot2_f32_f16 v59, v7, v69, v59
	;;#ASMEND
	ds_read_b128 v[4:7], v41 offset:32
	ds_read_b128 v[62:65], v31 offset:32
	;; [unrolled: 35-line block ×14, first 2 shown]
	ds_read_b128 v[66:69], v31 offset:736
	s_waitcnt lgkmcnt(1)
	;;#ASMSTART
	v_dot2_f32_f16 v58, v4, v62, v58
	;;#ASMEND
	s_nop 0
	;;#ASMSTART
	v_dot2_f32_f16 v58, v5, v63, v58
	;;#ASMEND
	s_nop 0
	;; [unrolled: 4-line block ×3, first 2 shown]
	;;#ASMSTART
	v_dot2_f32_f16 v58, v7, v65, v58
	;;#ASMEND
	s_waitcnt lgkmcnt(0)
	;;#ASMSTART
	v_dot2_f32_f16 v59, v4, v66, v59
	;;#ASMEND
	v_lshlrev_b32_e32 v66, 2, v28
	;;#ASMSTART
	v_dot2_f32_f16 v59, v5, v67, v59
	;;#ASMEND
	s_nop 0
	;;#ASMSTART
	v_dot2_f32_f16 v59, v6, v68, v59
	;;#ASMEND
	s_nop 0
	;;#ASMSTART
	v_dot2_f32_f16 v59, v7, v69, v59
	;;#ASMEND
	ds_read_b128 v[4:7], v41 offset:240
	ds_read_b128 v[62:65], v31 offset:240
	;; [unrolled: 1-line block ×3, first 2 shown]
	s_waitcnt lgkmcnt(1)
	;;#ASMSTART
	v_dot2_f32_f16 v58, v4, v62, v58
	;;#ASMEND
	s_nop 0
	;;#ASMSTART
	v_dot2_f32_f16 v58, v5, v63, v58
	;;#ASMEND
	v_cndmask_b32_e32 v62, v19, v36, vcc
	;;#ASMSTART
	v_dot2_f32_f16 v58, v6, v64, v58
	;;#ASMEND
	v_cmp_lt_i32_e32 vcc, v35, v33
	;;#ASMSTART
	v_dot2_f32_f16 v58, v7, v65, v58
	;;#ASMEND
	s_waitcnt lgkmcnt(0)
	;;#ASMSTART
	v_dot2_f32_f16 v59, v4, v68, v59
	;;#ASMEND
	v_lshlrev_b32_e32 v65, 2, v29
	;;#ASMSTART
	v_dot2_f32_f16 v59, v5, v69, v59
	;;#ASMEND
	v_lshl_add_u64 v[28:29], s[4:5], 0, v[22:23]
	;;#ASMSTART
	v_dot2_f32_f16 v59, v6, v70, v59
	;;#ASMEND
	v_cndmask_b32_e32 v63, v19, v35, vcc
	;;#ASMSTART
	v_dot2_f32_f16 v59, v7, v71, v59
	;;#ASMEND
	s_barrier
	global_load_dwordx4 v[4:7], v[0:1], off offset:256
	global_load_dwordx4 v[68:71], v[2:3], off offset:256
	s_waitcnt vmcnt(1)
	ds_write_b128 v39, v[4:7]
	s_waitcnt vmcnt(0)
	ds_write_b128 v40, v[68:71]
	s_waitcnt lgkmcnt(0)
	s_barrier
	ds_read_b128 v[0:3], v41
	ds_read_b128 v[4:7], v31 offset:256
	ds_read_b128 v[68:71], v31 offset:768
	s_waitcnt lgkmcnt(1)
	;;#ASMSTART
	v_dot2_f32_f16 v58, v0, v4, v58
	;;#ASMEND
	s_nop 0
	;;#ASMSTART
	v_dot2_f32_f16 v58, v1, v5, v58
	;;#ASMEND
	v_cmp_lt_i32_e32 vcc, v34, v33
	;;#ASMSTART
	v_dot2_f32_f16 v58, v2, v6, v58
	;;#ASMEND
	v_lshlrev_b32_e32 v64, 2, v62
	;;#ASMSTART
	v_dot2_f32_f16 v58, v3, v7, v58
	;;#ASMEND
	s_waitcnt lgkmcnt(0)
	;;#ASMSTART
	v_dot2_f32_f16 v59, v0, v68, v59
	;;#ASMEND
	v_lshlrev_b32_e32 v63, 2, v63
	;;#ASMSTART
	v_dot2_f32_f16 v59, v1, v69, v59
	;;#ASMEND
	v_cndmask_b32_e32 v67, v19, v34, vcc
	;;#ASMSTART
	v_dot2_f32_f16 v59, v2, v70, v59
	;;#ASMEND
	v_lshlrev_b32_e32 v62, 2, v67
	;;#ASMSTART
	v_dot2_f32_f16 v59, v3, v71, v59
	;;#ASMEND
	ds_read_b128 v[0:3], v41 offset:16
	ds_read_b128 v[4:7], v31 offset:272
	;; [unrolled: 1-line block ×3, first 2 shown]
	s_waitcnt lgkmcnt(1)
	;;#ASMSTART
	v_dot2_f32_f16 v58, v0, v4, v58
	;;#ASMEND
	s_nop 0
	;;#ASMSTART
	v_dot2_f32_f16 v58, v1, v5, v58
	;;#ASMEND
	v_max_f32_e32 v67, v61, v61
	;;#ASMSTART
	v_dot2_f32_f16 v58, v2, v6, v58
	;;#ASMEND
	s_nop 0
	;;#ASMSTART
	v_dot2_f32_f16 v58, v3, v7, v58
	;;#ASMEND
	s_waitcnt lgkmcnt(0)
	;;#ASMSTART
	v_dot2_f32_f16 v59, v0, v68, v59
	;;#ASMEND
	s_nop 0
	;;#ASMSTART
	v_dot2_f32_f16 v59, v1, v69, v59
	;;#ASMEND
	s_nop 0
	;;#ASMSTART
	v_dot2_f32_f16 v59, v2, v70, v59
	;;#ASMEND
	s_nop 0
	;;#ASMSTART
	v_dot2_f32_f16 v59, v3, v71, v59
	;;#ASMEND
	ds_read_b128 v[0:3], v41 offset:32
	ds_read_b128 v[4:7], v31 offset:288
	ds_read_b128 v[68:71], v31 offset:800
	s_waitcnt lgkmcnt(1)
	;;#ASMSTART
	v_dot2_f32_f16 v58, v0, v4, v58
	;;#ASMEND
	s_nop 0
	;;#ASMSTART
	v_dot2_f32_f16 v58, v1, v5, v58
	;;#ASMEND
	s_nop 0
	;;#ASMSTART
	v_dot2_f32_f16 v58, v2, v6, v58
	;;#ASMEND
	s_nop 0
	;;#ASMSTART
	v_dot2_f32_f16 v58, v3, v7, v58
	;;#ASMEND
	s_waitcnt lgkmcnt(0)
	;;#ASMSTART
	v_dot2_f32_f16 v59, v0, v68, v59
	;;#ASMEND
	s_nop 0
	;;#ASMSTART
	v_dot2_f32_f16 v59, v1, v69, v59
	;;#ASMEND
	s_nop 0
	;;#ASMSTART
	v_dot2_f32_f16 v59, v2, v70, v59
	;;#ASMEND
	s_nop 0
	;;#ASMSTART
	v_dot2_f32_f16 v59, v3, v71, v59
	;;#ASMEND
	ds_read_b128 v[0:3], v41 offset:48
	ds_read_b128 v[4:7], v31 offset:304
	ds_read_b128 v[68:71], v31 offset:816
	s_waitcnt lgkmcnt(1)
	;;#ASMSTART
	v_dot2_f32_f16 v58, v0, v4, v58
	;;#ASMEND
	s_nop 0
	;;#ASMSTART
	v_dot2_f32_f16 v58, v1, v5, v58
	;;#ASMEND
	s_nop 0
	;;#ASMSTART
	v_dot2_f32_f16 v58, v2, v6, v58
	;;#ASMEND
	s_nop 0
	;;#ASMSTART
	v_dot2_f32_f16 v58, v3, v7, v58
	;;#ASMEND
	s_waitcnt lgkmcnt(0)
	;;#ASMSTART
	v_dot2_f32_f16 v59, v0, v68, v59
	;;#ASMEND
	s_nop 0
	;;#ASMSTART
	v_dot2_f32_f16 v59, v1, v69, v59
	;;#ASMEND
	s_nop 0
	;;#ASMSTART
	v_dot2_f32_f16 v59, v2, v70, v59
	;;#ASMEND
	s_nop 0
	;;#ASMSTART
	v_dot2_f32_f16 v59, v3, v71, v59
	;;#ASMEND
	ds_read_b128 v[0:3], v41 offset:64
	ds_read_b128 v[4:7], v31 offset:320
	ds_read_b128 v[68:71], v31 offset:832
	s_waitcnt lgkmcnt(1)
	;;#ASMSTART
	v_dot2_f32_f16 v58, v0, v4, v58
	;;#ASMEND
	s_nop 0
	;;#ASMSTART
	v_dot2_f32_f16 v58, v1, v5, v58
	;;#ASMEND
	s_nop 0
	;;#ASMSTART
	v_dot2_f32_f16 v58, v2, v6, v58
	;;#ASMEND
	s_nop 0
	;;#ASMSTART
	v_dot2_f32_f16 v58, v3, v7, v58
	;;#ASMEND
	s_waitcnt lgkmcnt(0)
	;;#ASMSTART
	v_dot2_f32_f16 v59, v0, v68, v59
	;;#ASMEND
	s_nop 0
	;;#ASMSTART
	v_dot2_f32_f16 v59, v1, v69, v59
	;;#ASMEND
	s_nop 0
	;;#ASMSTART
	v_dot2_f32_f16 v59, v2, v70, v59
	;;#ASMEND
	s_nop 0
	;;#ASMSTART
	v_dot2_f32_f16 v59, v3, v71, v59
	;;#ASMEND
	ds_read_b128 v[0:3], v41 offset:80
	ds_read_b128 v[4:7], v31 offset:336
	ds_read_b128 v[68:71], v31 offset:848
	s_waitcnt lgkmcnt(1)
	;;#ASMSTART
	v_dot2_f32_f16 v58, v0, v4, v58
	;;#ASMEND
	s_nop 0
	;;#ASMSTART
	v_dot2_f32_f16 v58, v1, v5, v58
	;;#ASMEND
	s_nop 0
	;;#ASMSTART
	v_dot2_f32_f16 v58, v2, v6, v58
	;;#ASMEND
	s_nop 0
	;;#ASMSTART
	v_dot2_f32_f16 v58, v3, v7, v58
	;;#ASMEND
	s_waitcnt lgkmcnt(0)
	;;#ASMSTART
	v_dot2_f32_f16 v59, v0, v68, v59
	;;#ASMEND
	s_nop 0
	;;#ASMSTART
	v_dot2_f32_f16 v59, v1, v69, v59
	;;#ASMEND
	s_nop 0
	;;#ASMSTART
	v_dot2_f32_f16 v59, v2, v70, v59
	;;#ASMEND
	s_nop 0
	;;#ASMSTART
	v_dot2_f32_f16 v59, v3, v71, v59
	;;#ASMEND
	ds_read_b128 v[0:3], v41 offset:96
	ds_read_b128 v[4:7], v31 offset:352
	ds_read_b128 v[68:71], v31 offset:864
	s_waitcnt lgkmcnt(1)
	;;#ASMSTART
	v_dot2_f32_f16 v58, v0, v4, v58
	;;#ASMEND
	s_nop 0
	;;#ASMSTART
	v_dot2_f32_f16 v58, v1, v5, v58
	;;#ASMEND
	s_nop 0
	;;#ASMSTART
	v_dot2_f32_f16 v58, v2, v6, v58
	;;#ASMEND
	s_nop 0
	;;#ASMSTART
	v_dot2_f32_f16 v58, v3, v7, v58
	;;#ASMEND
	s_waitcnt lgkmcnt(0)
	;;#ASMSTART
	v_dot2_f32_f16 v59, v0, v68, v59
	;;#ASMEND
	s_nop 0
	;;#ASMSTART
	v_dot2_f32_f16 v59, v1, v69, v59
	;;#ASMEND
	s_nop 0
	;;#ASMSTART
	v_dot2_f32_f16 v59, v2, v70, v59
	;;#ASMEND
	s_nop 0
	;;#ASMSTART
	v_dot2_f32_f16 v59, v3, v71, v59
	;;#ASMEND
	ds_read_b128 v[0:3], v41 offset:112
	ds_read_b128 v[4:7], v31 offset:368
	ds_read_b128 v[68:71], v31 offset:880
	s_waitcnt lgkmcnt(1)
	;;#ASMSTART
	v_dot2_f32_f16 v58, v0, v4, v58
	;;#ASMEND
	s_nop 0
	;;#ASMSTART
	v_dot2_f32_f16 v58, v1, v5, v58
	;;#ASMEND
	s_nop 0
	;;#ASMSTART
	v_dot2_f32_f16 v58, v2, v6, v58
	;;#ASMEND
	s_nop 0
	;;#ASMSTART
	v_dot2_f32_f16 v58, v3, v7, v58
	;;#ASMEND
	s_waitcnt lgkmcnt(0)
	;;#ASMSTART
	v_dot2_f32_f16 v59, v0, v68, v59
	;;#ASMEND
	s_nop 0
	;;#ASMSTART
	v_dot2_f32_f16 v59, v1, v69, v59
	;;#ASMEND
	s_nop 0
	;;#ASMSTART
	v_dot2_f32_f16 v59, v2, v70, v59
	;;#ASMEND
	s_nop 0
	;;#ASMSTART
	v_dot2_f32_f16 v59, v3, v71, v59
	;;#ASMEND
	ds_read_b128 v[0:3], v41 offset:128
	ds_read_b128 v[4:7], v31 offset:384
	ds_read_b128 v[68:71], v31 offset:896
	s_waitcnt lgkmcnt(1)
	;;#ASMSTART
	v_dot2_f32_f16 v58, v0, v4, v58
	;;#ASMEND
	s_nop 0
	;;#ASMSTART
	v_dot2_f32_f16 v58, v1, v5, v58
	;;#ASMEND
	s_nop 0
	;;#ASMSTART
	v_dot2_f32_f16 v58, v2, v6, v58
	;;#ASMEND
	s_nop 0
	;;#ASMSTART
	v_dot2_f32_f16 v58, v3, v7, v58
	;;#ASMEND
	s_waitcnt lgkmcnt(0)
	;;#ASMSTART
	v_dot2_f32_f16 v59, v0, v68, v59
	;;#ASMEND
	s_nop 0
	;;#ASMSTART
	v_dot2_f32_f16 v59, v1, v69, v59
	;;#ASMEND
	s_nop 0
	;;#ASMSTART
	v_dot2_f32_f16 v59, v2, v70, v59
	;;#ASMEND
	s_nop 0
	;;#ASMSTART
	v_dot2_f32_f16 v59, v3, v71, v59
	;;#ASMEND
	ds_read_b128 v[0:3], v41 offset:144
	ds_read_b128 v[4:7], v31 offset:400
	ds_read_b128 v[68:71], v31 offset:912
	s_waitcnt lgkmcnt(1)
	;;#ASMSTART
	v_dot2_f32_f16 v58, v0, v4, v58
	;;#ASMEND
	s_nop 0
	;;#ASMSTART
	v_dot2_f32_f16 v58, v1, v5, v58
	;;#ASMEND
	s_nop 0
	;;#ASMSTART
	v_dot2_f32_f16 v58, v2, v6, v58
	;;#ASMEND
	s_nop 0
	;;#ASMSTART
	v_dot2_f32_f16 v58, v3, v7, v58
	;;#ASMEND
	s_waitcnt lgkmcnt(0)
	;;#ASMSTART
	v_dot2_f32_f16 v59, v0, v68, v59
	;;#ASMEND
	s_nop 0
	;;#ASMSTART
	v_dot2_f32_f16 v59, v1, v69, v59
	;;#ASMEND
	s_nop 0
	;;#ASMSTART
	v_dot2_f32_f16 v59, v2, v70, v59
	;;#ASMEND
	s_nop 0
	;;#ASMSTART
	v_dot2_f32_f16 v59, v3, v71, v59
	;;#ASMEND
	ds_read_b128 v[0:3], v41 offset:160
	ds_read_b128 v[4:7], v31 offset:416
	ds_read_b128 v[68:71], v31 offset:928
	s_waitcnt lgkmcnt(1)
	;;#ASMSTART
	v_dot2_f32_f16 v58, v0, v4, v58
	;;#ASMEND
	s_nop 0
	;;#ASMSTART
	v_dot2_f32_f16 v58, v1, v5, v58
	;;#ASMEND
	s_nop 0
	;;#ASMSTART
	v_dot2_f32_f16 v58, v2, v6, v58
	;;#ASMEND
	s_nop 0
	;;#ASMSTART
	v_dot2_f32_f16 v58, v3, v7, v58
	;;#ASMEND
	s_waitcnt lgkmcnt(0)
	;;#ASMSTART
	v_dot2_f32_f16 v59, v0, v68, v59
	;;#ASMEND
	s_nop 0
	;;#ASMSTART
	v_dot2_f32_f16 v59, v1, v69, v59
	;;#ASMEND
	s_nop 0
	;;#ASMSTART
	v_dot2_f32_f16 v59, v2, v70, v59
	;;#ASMEND
	s_nop 0
	;;#ASMSTART
	v_dot2_f32_f16 v59, v3, v71, v59
	;;#ASMEND
	ds_read_b128 v[0:3], v41 offset:176
	ds_read_b128 v[4:7], v31 offset:432
	ds_read_b128 v[68:71], v31 offset:944
	s_waitcnt lgkmcnt(1)
	;;#ASMSTART
	v_dot2_f32_f16 v58, v0, v4, v58
	;;#ASMEND
	s_nop 0
	;;#ASMSTART
	v_dot2_f32_f16 v58, v1, v5, v58
	;;#ASMEND
	s_nop 0
	;;#ASMSTART
	v_dot2_f32_f16 v58, v2, v6, v58
	;;#ASMEND
	s_nop 0
	;;#ASMSTART
	v_dot2_f32_f16 v58, v3, v7, v58
	;;#ASMEND
	s_waitcnt lgkmcnt(0)
	;;#ASMSTART
	v_dot2_f32_f16 v59, v0, v68, v59
	;;#ASMEND
	s_nop 0
	;;#ASMSTART
	v_dot2_f32_f16 v59, v1, v69, v59
	;;#ASMEND
	s_nop 0
	;;#ASMSTART
	v_dot2_f32_f16 v59, v2, v70, v59
	;;#ASMEND
	s_nop 0
	;;#ASMSTART
	v_dot2_f32_f16 v59, v3, v71, v59
	;;#ASMEND
	ds_read_b128 v[0:3], v41 offset:192
	ds_read_b128 v[4:7], v31 offset:448
	ds_read_b128 v[68:71], v31 offset:960
	s_waitcnt lgkmcnt(1)
	;;#ASMSTART
	v_dot2_f32_f16 v58, v0, v4, v58
	;;#ASMEND
	s_nop 0
	;;#ASMSTART
	v_dot2_f32_f16 v58, v1, v5, v58
	;;#ASMEND
	s_nop 0
	;;#ASMSTART
	v_dot2_f32_f16 v58, v2, v6, v58
	;;#ASMEND
	s_nop 0
	;;#ASMSTART
	v_dot2_f32_f16 v58, v3, v7, v58
	;;#ASMEND
	s_waitcnt lgkmcnt(0)
	;;#ASMSTART
	v_dot2_f32_f16 v59, v0, v68, v59
	;;#ASMEND
	s_nop 0
	;;#ASMSTART
	v_dot2_f32_f16 v59, v1, v69, v59
	;;#ASMEND
	s_nop 0
	;;#ASMSTART
	v_dot2_f32_f16 v59, v2, v70, v59
	;;#ASMEND
	s_nop 0
	;;#ASMSTART
	v_dot2_f32_f16 v59, v3, v71, v59
	;;#ASMEND
	ds_read_b128 v[0:3], v41 offset:208
	ds_read_b128 v[4:7], v31 offset:464
	ds_read_b128 v[68:71], v31 offset:976
	s_waitcnt lgkmcnt(1)
	;;#ASMSTART
	v_dot2_f32_f16 v58, v0, v4, v58
	;;#ASMEND
	s_nop 0
	;;#ASMSTART
	v_dot2_f32_f16 v58, v1, v5, v58
	;;#ASMEND
	s_nop 0
	;;#ASMSTART
	v_dot2_f32_f16 v58, v2, v6, v58
	;;#ASMEND
	s_nop 0
	;;#ASMSTART
	v_dot2_f32_f16 v58, v3, v7, v58
	;;#ASMEND
	s_waitcnt lgkmcnt(0)
	;;#ASMSTART
	v_dot2_f32_f16 v59, v0, v68, v59
	;;#ASMEND
	s_nop 0
	;;#ASMSTART
	v_dot2_f32_f16 v59, v1, v69, v59
	;;#ASMEND
	s_nop 0
	;;#ASMSTART
	v_dot2_f32_f16 v59, v2, v70, v59
	;;#ASMEND
	s_nop 0
	;;#ASMSTART
	v_dot2_f32_f16 v59, v3, v71, v59
	;;#ASMEND
	ds_read_b128 v[0:3], v41 offset:224
	ds_read_b128 v[4:7], v31 offset:480
	ds_read_b128 v[68:71], v31 offset:992
	s_waitcnt lgkmcnt(1)
	;;#ASMSTART
	v_dot2_f32_f16 v58, v0, v4, v58
	;;#ASMEND
	s_nop 0
	;;#ASMSTART
	v_dot2_f32_f16 v58, v1, v5, v58
	;;#ASMEND
	s_nop 0
	;;#ASMSTART
	v_dot2_f32_f16 v58, v2, v6, v58
	;;#ASMEND
	s_nop 0
	;;#ASMSTART
	v_dot2_f32_f16 v58, v3, v7, v58
	;;#ASMEND
	s_waitcnt lgkmcnt(0)
	;;#ASMSTART
	v_dot2_f32_f16 v59, v0, v68, v59
	;;#ASMEND
	s_nop 0
	;;#ASMSTART
	v_dot2_f32_f16 v59, v1, v69, v59
	;;#ASMEND
	s_nop 0
	;; [unrolled: 4-line block ×3, first 2 shown]
	;;#ASMSTART
	v_dot2_f32_f16 v59, v3, v71, v59
	;;#ASMEND
	ds_read_b128 v[0:3], v41 offset:240
	ds_read_b128 v[68:71], v31 offset:496
	;; [unrolled: 1-line block ×3, first 2 shown]
	s_waitcnt lgkmcnt(1)
	;;#ASMSTART
	v_dot2_f32_f16 v58, v0, v68, v58
	;;#ASMEND
	s_nop 0
	;;#ASMSTART
	v_dot2_f32_f16 v58, v1, v69, v58
	;;#ASMEND
	v_max_f32_e32 v68, v60, v60
	;;#ASMSTART
	v_dot2_f32_f16 v58, v2, v70, v58
	;;#ASMEND
	s_nop 0
	;;#ASMSTART
	v_dot2_f32_f16 v58, v3, v71, v58
	;;#ASMEND
	s_waitcnt lgkmcnt(0)
	;;#ASMSTART
	v_dot2_f32_f16 v59, v0, v4, v59
	;;#ASMEND
	s_nop 0
	;;#ASMSTART
	v_dot2_f32_f16 v59, v1, v5, v59
	;;#ASMEND
	v_lshl_add_u64 v[0:1], s[4:5], 0, v[24:25]
	s_mul_hi_i32 s5, s6, s14
	s_mul_i32 s4, s6, s14
	s_lshl_b64 s[4:5], s[4:5], 2
	s_add_u32 s4, s24, s4
	s_addc_u32 s5, s25, s5
	;;#ASMSTART
	v_dot2_f32_f16 v59, v2, v6, v59
	;;#ASMEND
	v_lshl_add_u64 v[70:71], v[0:1], 0, v[20:21]
	v_lshl_add_u64 v[0:1], s[4:5], 0, v[22:23]
	;;#ASMSTART
	v_dot2_f32_f16 v59, v3, v7, v59
	;;#ASMEND
	v_lshl_add_u64 v[2:3], v[28:29], 0, v[20:21]
	v_lshl_add_u64 v[28:29], v[0:1], 0, v[20:21]
	global_load_ushort v0, v[26:27], off
	v_lshl_add_u64 v[4:5], s[4:5], 0, v[24:25]
	v_lshl_add_u64 v[6:7], v[4:5], 0, v[20:21]
	s_barrier
	s_waitcnt vmcnt(0)
	v_cvt_f32_f16_e32 v0, v0
	v_add_f32_e32 v1, v58, v0
	v_add_f32_e32 v0, v59, v0
	v_add_f32_e32 v4, 0x40051340, v1
	v_add_f32_e32 v5, 0x40051340, v0
	v_max_f32_e32 v4, v67, v4
	v_max_f32_e32 v5, v68, v5
	ds_bpermute_b32 v26, v66, v4
	ds_bpermute_b32 v27, v66, v5
	s_waitcnt lgkmcnt(1)
	v_max_f32_e32 v26, v26, v26
	s_waitcnt lgkmcnt(0)
	v_max_f32_e32 v27, v27, v27
	v_max_f32_e32 v4, v4, v26
	v_max_f32_e32 v5, v5, v27
	ds_bpermute_b32 v26, v65, v4
	ds_bpermute_b32 v27, v65, v5
	s_waitcnt lgkmcnt(1)
	v_max_f32_e32 v26, v26, v26
	s_waitcnt lgkmcnt(0)
	v_max_f32_e32 v27, v27, v27
	;; [unrolled: 8-line block ×5, first 2 shown]
	v_max_f32_e32 v4, v4, v26
	v_max_f32_e32 v5, v5, v27
	v_sub_f32_e32 v26, v61, v4
	v_sub_f32_e32 v27, v1, v4
	;; [unrolled: 1-line block ×3, first 2 shown]
	v_mul_f32_e32 v0, 0x3fb8aa3b, v26
	v_sub_f32_e32 v62, v60, v5
	v_mul_f32_e32 v1, 0x3fb8aa3b, v27
	v_fma_f32 v60, v26, s26, -v0
	v_rndne_f32_e32 v61, v0
	v_mul_f32_e32 v58, 0x3fb8aa3b, v62
	v_mul_f32_e32 v59, 0x3fb8aa3b, v63
	v_fma_f32 v64, v27, s26, -v1
	v_rndne_f32_e32 v65, v1
	v_fmac_f32_e32 v60, 0x32a5705f, v26
	v_sub_f32_e32 v0, v0, v61
	v_rndne_f32_e32 v67, v58
	v_add_f32_e32 v60, v0, v60
	v_fma_f32 v0, v63, s26, -v59
	v_fmac_f32_e32 v64, 0x32a5705f, v27
	v_sub_f32_e32 v1, v1, v65
	v_rndne_f32_e32 v68, v59
	v_fma_f32 v66, v62, s26, -v58
	v_add_f32_e32 v64, v1, v64
	v_sub_f32_e32 v1, v58, v67
	v_fmac_f32_e32 v0, 0x32a5705f, v63
	v_sub_f32_e32 v58, v59, v68
	v_add_f32_e32 v69, v58, v0
	v_cvt_i32_f32_e32 v58, v61
	v_cvt_i32_f32_e32 v59, v65
	v_exp_f32_e32 v60, v60
	v_exp_f32_e32 v61, v64
	v_fmac_f32_e32 v66, 0x32a5705f, v62
	v_add_f32_e32 v66, v1, v66
	global_load_dwordx4 v[0:3], v[2:3], off
	v_ldexp_f32 v64, v60, v58
	v_ldexp_f32 v65, v61, v59
	global_load_dwordx4 v[58:61], v[70:71], off
	v_cvt_i32_f32_e32 v67, v67
	v_cvt_i32_f32_e32 v68, v68
	v_exp_f32_e32 v66, v66
	v_exp_f32_e32 v69, v69
	v_cmp_ngt_f32_e32 vcc, s27, v62
	v_cmp_ngt_f32_e64 s[4:5], s27, v63
	v_ldexp_f32 v66, v66, v67
	v_ldexp_f32 v67, v69, v68
	v_cmp_ngt_f32_e64 s[6:7], s27, v26
	v_cmp_ngt_f32_e64 s[8:9], s27, v27
	s_nop 1
	v_cndmask_b32_e64 v65, 0, v65, s[8:9]
	v_cmp_nlt_f32_e64 s[8:9], s29, v27
	v_cndmask_b32_e32 v27, 0, v66, vcc
	v_cmp_nlt_f32_e32 vcc, s29, v62
	v_cndmask_b32_e64 v62, 0, v64, s[6:7]
	v_cndmask_b32_e64 v64, 0, v67, s[4:5]
	v_cmp_nlt_f32_e64 s[4:5], s29, v63
	v_cmp_nlt_f32_e64 s[6:7], s29, v26
	v_cndmask_b32_e32 v27, v45, v27, vcc
	v_cndmask_b32_e64 v63, v45, v64, s[4:5]
	v_cndmask_b32_e64 v26, v45, v62, s[6:7]
	;; [unrolled: 1-line block ×3, first 2 shown]
	v_cvt_f16_f32_e32 v66, v26
	v_cvt_pk_f16_f32 v64, v62, v63
	v_cvt_f16_f32_e32 v67, v27
	v_pk_fma_f32 v[10:11], v[10:11], v[26:27], v[62:63]
	ds_write_b32 v46, v64
	s_waitcnt vmcnt(1)
	ds_write_b128 v43, v[0:3]
	s_waitcnt vmcnt(0)
	ds_write_b128 v44, v[58:61]
	s_waitcnt lgkmcnt(0)
	s_barrier
	ds_read_b128 v[0:3], v42
	ds_read_b128 v[58:61], v42 offset:16
	ds_read2_b64 v[62:65], v32 offset1:32
	v_mul_u32_u24_e32 v26, 0x10001, v66
	v_mul_u32_u24_e32 v27, 0x10001, v67
	v_pk_mul_f16 v57, v57, v26
	v_pk_mul_f16 v56, v56, v26
	;; [unrolled: 1-line block ×6, first 2 shown]
	s_waitcnt lgkmcnt(2)
	v_mul_u32_u24_sdwa v66, v0, s31 dst_sel:DWORD dst_unused:UNUSED_PAD src0_sel:WORD_0 src1_sel:DWORD
	v_mul_u32_u24_sdwa v0, v0, s31 dst_sel:DWORD dst_unused:UNUSED_PAD src0_sel:WORD_1 src1_sel:DWORD
	s_waitcnt lgkmcnt(0)
	v_pk_fma_f16 v67, v63, v66, v57
	v_pk_fma_f16 v68, v64, v66, v56
	;; [unrolled: 1-line block ×3, first 2 shown]
	v_pk_mul_f16 v54, v62, v66
	v_pk_fma_f16 v53, v63, v0, v53
	v_pk_fma_f16 v51, v64, v0, v51
	;; [unrolled: 1-line block ×3, first 2 shown]
	v_pk_mul_f16 v0, v62, v0
	ds_read2_b64 v[62:65], v32 offset0:64 offset1:96
	v_pk_fma_f16 v26, v55, v26, v54
	ds_read2_b64 v[54:57], v32 offset0:128 offset1:160
	v_pk_fma_f16 v0, v52, v27, v0
	v_mul_u32_u24_sdwa v27, v1, s31 dst_sel:DWORD dst_unused:UNUSED_PAD src0_sel:WORD_0 src1_sel:DWORD
	v_mul_u32_u24_sdwa v1, v1, s31 dst_sel:DWORD dst_unused:UNUSED_PAD src0_sel:WORD_1 src1_sel:DWORD
	s_waitcnt lgkmcnt(1)
	v_pk_fma_f16 v66, v63, v27, v67
	v_pk_fma_f16 v67, v64, v27, v68
	;; [unrolled: 1-line block ×6, first 2 shown]
	ds_read2_b64 v[50:53], v32 offset0:192 offset1:224
	v_pk_fma_f16 v26, v62, v27, v26
	v_pk_fma_f16 v0, v62, v1, v0
	v_mul_u32_u24_sdwa v1, v2, s31 dst_sel:DWORD dst_unused:UNUSED_PAD src0_sel:WORD_0 src1_sel:DWORD
	v_mul_u32_u24_sdwa v2, v2, s31 dst_sel:DWORD dst_unused:UNUSED_PAD src0_sel:WORD_1 src1_sel:DWORD
	s_waitcnt lgkmcnt(1)
	v_pk_fma_f16 v27, v55, v1, v66
	v_pk_fma_f16 v62, v56, v1, v67
	;; [unrolled: 1-line block ×8, first 2 shown]
	ds_read2_b64 v[54:57], v47 offset1:32
	v_mul_u32_u24_sdwa v68, v3, s31 dst_sel:DWORD dst_unused:UNUSED_PAD src0_sel:WORD_0 src1_sel:DWORD
	v_mul_u32_u24_sdwa v69, v3, s31 dst_sel:DWORD dst_unused:UNUSED_PAD src0_sel:WORD_1 src1_sel:DWORD
	ds_read2_b64 v[0:3], v47 offset0:64 offset1:96
	s_waitcnt lgkmcnt(2)
	v_pk_fma_f16 v27, v51, v68, v27
	v_pk_fma_f16 v63, v51, v69, v63
	;; [unrolled: 1-line block ×8, first 2 shown]
	ds_read2_b64 v[50:53], v47 offset0:128 offset1:160
	v_mul_u32_u24_sdwa v68, v58, s31 dst_sel:DWORD dst_unused:UNUSED_PAD src0_sel:WORD_0 src1_sel:DWORD
	v_mul_u32_u24_sdwa v58, v58, s31 dst_sel:DWORD dst_unused:UNUSED_PAD src0_sel:WORD_1 src1_sel:DWORD
	s_waitcnt lgkmcnt(2)
	v_pk_fma_f16 v27, v55, v68, v27
	v_pk_fma_f16 v63, v55, v58, v63
	;; [unrolled: 1-line block ×8, first 2 shown]
	v_mul_u32_u24_sdwa v67, v59, s31 dst_sel:DWORD dst_unused:UNUSED_PAD src0_sel:WORD_0 src1_sel:DWORD
	v_mul_u32_u24_sdwa v59, v59, s31 dst_sel:DWORD dst_unused:UNUSED_PAD src0_sel:WORD_1 src1_sel:DWORD
	ds_read2_b64 v[54:57], v47 offset0:192 offset1:224
	s_waitcnt lgkmcnt(2)
	v_pk_fma_f16 v27, v1, v67, v27
	v_pk_fma_f16 v1, v1, v59, v63
	;; [unrolled: 1-line block ×8, first 2 shown]
	ds_read_b128 v[62:65], v42 offset:32
	v_mul_u32_u24_sdwa v58, v60, s31 dst_sel:DWORD dst_unused:UNUSED_PAD src0_sel:WORD_0 src1_sel:DWORD
	v_mul_u32_u24_sdwa v59, v60, s31 dst_sel:DWORD dst_unused:UNUSED_PAD src0_sel:WORD_1 src1_sel:DWORD
	s_waitcnt lgkmcnt(2)
	v_pk_fma_f16 v27, v51, v58, v27
	v_pk_fma_f16 v60, v51, v59, v1
	;; [unrolled: 1-line block ×8, first 2 shown]
	ds_read2_b64 v[50:53], v48 offset1:32
	v_mul_u32_u24_sdwa v59, v61, s31 dst_sel:DWORD dst_unused:UNUSED_PAD src0_sel:WORD_0 src1_sel:DWORD
	v_mul_u32_u24_sdwa v61, v61, s31 dst_sel:DWORD dst_unused:UNUSED_PAD src0_sel:WORD_1 src1_sel:DWORD
	ds_read_b128 v[0:3], v42 offset:48
	s_waitcnt lgkmcnt(3)
	v_pk_fma_f16 v27, v55, v59, v27
	v_pk_fma_f16 v60, v55, v61, v60
	;; [unrolled: 1-line block ×8, first 2 shown]
	ds_read2_b64 v[54:57], v48 offset0:64 offset1:96
	s_waitcnt lgkmcnt(3)
	v_mul_u32_u24_sdwa v59, v62, s31 dst_sel:DWORD dst_unused:UNUSED_PAD src0_sel:WORD_0 src1_sel:DWORD
	v_mul_u32_u24_sdwa v61, v62, s31 dst_sel:DWORD dst_unused:UNUSED_PAD src0_sel:WORD_1 src1_sel:DWORD
	s_waitcnt lgkmcnt(2)
	v_pk_fma_f16 v27, v51, v59, v27
	v_pk_fma_f16 v62, v52, v59, v67
	;; [unrolled: 1-line block ×8, first 2 shown]
	ds_read2_b64 v[50:53], v48 offset0:128 offset1:160
	v_mul_u32_u24_sdwa v59, v63, s31 dst_sel:DWORD dst_unused:UNUSED_PAD src0_sel:WORD_0 src1_sel:DWORD
	v_mul_u32_u24_sdwa v61, v63, s31 dst_sel:DWORD dst_unused:UNUSED_PAD src0_sel:WORD_1 src1_sel:DWORD
	s_waitcnt lgkmcnt(1)
	v_pk_fma_f16 v27, v55, v59, v27
	v_pk_fma_f16 v62, v56, v59, v62
	;; [unrolled: 1-line block ×8, first 2 shown]
	ds_read2_b64 v[54:57], v48 offset0:192 offset1:224
	v_mul_u32_u24_sdwa v59, v64, s31 dst_sel:DWORD dst_unused:UNUSED_PAD src0_sel:WORD_0 src1_sel:DWORD
	v_mul_u32_u24_sdwa v61, v64, s31 dst_sel:DWORD dst_unused:UNUSED_PAD src0_sel:WORD_1 src1_sel:DWORD
	s_waitcnt lgkmcnt(1)
	v_pk_fma_f16 v27, v51, v59, v27
	v_pk_fma_f16 v62, v52, v59, v62
	;; [unrolled: 1-line block ×8, first 2 shown]
	ds_read2_b64 v[50:53], v49 offset1:32
	ds_read2_b64 v[58:61], v49 offset0:64 offset1:96
	v_mul_u32_u24_sdwa v69, v65, s31 dst_sel:DWORD dst_unused:UNUSED_PAD src0_sel:WORD_0 src1_sel:DWORD
	v_mul_u32_u24_sdwa v65, v65, s31 dst_sel:DWORD dst_unused:UNUSED_PAD src0_sel:WORD_1 src1_sel:DWORD
	s_waitcnt lgkmcnt(2)
	v_pk_fma_f16 v27, v55, v69, v27
	v_pk_fma_f16 v64, v55, v65, v64
	;; [unrolled: 1-line block ×6, first 2 shown]
	v_mul_u32_u24_sdwa v68, v0, s31 dst_sel:DWORD dst_unused:UNUSED_PAD src0_sel:WORD_0 src1_sel:DWORD
	v_mul_u32_u24_sdwa v0, v0, s31 dst_sel:DWORD dst_unused:UNUSED_PAD src0_sel:WORD_1 src1_sel:DWORD
	v_pk_fma_f16 v62, v56, v69, v62
	v_pk_fma_f16 v63, v57, v69, v63
	s_waitcnt lgkmcnt(1)
	v_pk_fma_f16 v27, v51, v68, v27
	v_pk_fma_f16 v64, v51, v0, v64
	;; [unrolled: 1-line block ×6, first 2 shown]
	v_mul_u32_u24_sdwa v65, v1, s31 dst_sel:DWORD dst_unused:UNUSED_PAD src0_sel:WORD_0 src1_sel:DWORD
	v_mul_u32_u24_sdwa v1, v1, s31 dst_sel:DWORD dst_unused:UNUSED_PAD src0_sel:WORD_1 src1_sel:DWORD
	ds_read2_b64 v[54:57], v49 offset0:128 offset1:160
	v_pk_fma_f16 v62, v52, v68, v62
	v_pk_fma_f16 v63, v53, v68, v63
	ds_read2_b64 v[50:53], v49 offset0:192 offset1:224
	s_waitcnt lgkmcnt(0)
	s_barrier
	v_pk_fma_f16 v68, v59, v65, v27
	v_pk_fma_f16 v59, v59, v1, v64
	;; [unrolled: 1-line block ×3, first 2 shown]
	global_load_dwordx4 v[26:29], v[28:29], off
	v_pk_fma_f16 v62, v60, v65, v62
	v_pk_fma_f16 v60, v60, v1, v66
	;; [unrolled: 1-line block ×5, first 2 shown]
	v_mul_u32_u24_sdwa v65, v2, s31 dst_sel:DWORD dst_unused:UNUSED_PAD src0_sel:WORD_0 src1_sel:DWORD
	v_mul_u32_u24_sdwa v66, v2, s31 dst_sel:DWORD dst_unused:UNUSED_PAD src0_sel:WORD_1 src1_sel:DWORD
	v_mul_u32_u24_sdwa v67, v3, s31 dst_sel:DWORD dst_unused:UNUSED_PAD src0_sel:WORD_0 src1_sel:DWORD
	v_mul_u32_u24_sdwa v69, v3, s31 dst_sel:DWORD dst_unused:UNUSED_PAD src0_sel:WORD_1 src1_sel:DWORD
	global_load_dwordx4 v[0:3], v[6:7], off
	v_pk_fma_f16 v6, v55, v65, v68
	v_pk_fma_f16 v7, v55, v66, v59
	;; [unrolled: 1-line block ×16, first 2 shown]
	s_waitcnt vmcnt(1)
	ds_write_b128 v43, v[26:29]
	s_waitcnt vmcnt(0)
	ds_write_b128 v44, v[0:3]
	s_waitcnt lgkmcnt(0)
	s_barrier
	ds_read_b128 v[26:29], v42 offset:64
	ds_read2_b64 v[50:53], v32 offset1:32
	ds_read_b128 v[0:3], v42 offset:80
	ds_read2_b64 v[54:57], v32 offset0:64 offset1:96
	ds_read2_b64 v[58:61], v32 offset0:128 offset1:160
	s_waitcnt lgkmcnt(4)
	v_mul_u32_u24_sdwa v68, v26, s31 dst_sel:DWORD dst_unused:UNUSED_PAD src0_sel:WORD_0 src1_sel:DWORD
	v_mul_u32_u24_sdwa v26, v26, s31 dst_sel:DWORD dst_unused:UNUSED_PAD src0_sel:WORD_1 src1_sel:DWORD
	s_waitcnt lgkmcnt(3)
	v_pk_fma_f16 v66, v50, v68, v66
	v_pk_fma_f16 v67, v50, v26, v67
	v_pk_fma_f16 v6, v51, v68, v6
	v_pk_fma_f16 v7, v51, v26, v7
	v_pk_fma_f16 v62, v52, v68, v62
	v_pk_fma_f16 v63, v52, v26, v63
	v_pk_fma_f16 v64, v53, v68, v64
	v_pk_fma_f16 v26, v53, v26, v65
	ds_read2_b64 v[50:53], v32 offset0:192 offset1:224
	v_mul_u32_u24_sdwa v65, v27, s31 dst_sel:DWORD dst_unused:UNUSED_PAD src0_sel:WORD_0 src1_sel:DWORD
	v_mul_u32_u24_sdwa v27, v27, s31 dst_sel:DWORD dst_unused:UNUSED_PAD src0_sel:WORD_1 src1_sel:DWORD
	s_waitcnt lgkmcnt(2)
	v_pk_fma_f16 v66, v54, v65, v66
	v_pk_fma_f16 v67, v54, v27, v67
	;; [unrolled: 1-line block ×8, first 2 shown]
	ds_read2_b64 v[54:57], v47 offset1:32
	v_mul_u32_u24_sdwa v27, v28, s31 dst_sel:DWORD dst_unused:UNUSED_PAD src0_sel:WORD_0 src1_sel:DWORD
	v_mul_u32_u24_sdwa v28, v28, s31 dst_sel:DWORD dst_unused:UNUSED_PAD src0_sel:WORD_1 src1_sel:DWORD
	s_waitcnt lgkmcnt(2)
	v_pk_fma_f16 v65, v58, v27, v66
	v_pk_fma_f16 v66, v58, v28, v67
	;; [unrolled: 1-line block ×8, first 2 shown]
	ds_read2_b64 v[58:61], v47 offset0:64 offset1:96
	v_mul_u32_u24_sdwa v68, v29, s31 dst_sel:DWORD dst_unused:UNUSED_PAD src0_sel:WORD_0 src1_sel:DWORD
	v_mul_u32_u24_sdwa v69, v29, s31 dst_sel:DWORD dst_unused:UNUSED_PAD src0_sel:WORD_1 src1_sel:DWORD
	ds_read2_b64 v[26:29], v47 offset0:128 offset1:160
	s_waitcnt lgkmcnt(3)
	v_pk_fma_f16 v65, v50, v68, v65
	v_pk_fma_f16 v66, v50, v69, v66
	v_pk_fma_f16 v6, v51, v68, v6
	v_pk_fma_f16 v7, v51, v69, v7
	v_pk_fma_f16 v62, v52, v68, v62
	v_pk_fma_f16 v63, v52, v69, v63
	v_pk_fma_f16 v64, v53, v68, v64
	v_pk_fma_f16 v67, v53, v69, v67
	v_mul_u32_u24_sdwa v68, v0, s31 dst_sel:DWORD dst_unused:UNUSED_PAD src0_sel:WORD_0 src1_sel:DWORD
	v_mul_u32_u24_sdwa v0, v0, s31 dst_sel:DWORD dst_unused:UNUSED_PAD src0_sel:WORD_1 src1_sel:DWORD
	ds_read2_b64 v[50:53], v47 offset0:192 offset1:224
	s_waitcnt lgkmcnt(3)
	v_pk_fma_f16 v65, v54, v68, v65
	v_pk_fma_f16 v66, v54, v0, v66
	;; [unrolled: 1-line block ×8, first 2 shown]
	ds_read_b128 v[54:57], v42 offset:96
	v_mul_u32_u24_sdwa v67, v1, s31 dst_sel:DWORD dst_unused:UNUSED_PAD src0_sel:WORD_0 src1_sel:DWORD
	v_mul_u32_u24_sdwa v1, v1, s31 dst_sel:DWORD dst_unused:UNUSED_PAD src0_sel:WORD_1 src1_sel:DWORD
	s_waitcnt lgkmcnt(3)
	v_pk_fma_f16 v65, v58, v67, v65
	v_pk_fma_f16 v66, v58, v1, v66
	;; [unrolled: 1-line block ×8, first 2 shown]
	ds_read2_b64 v[58:61], v48 offset1:32
	v_mul_u32_u24_sdwa v1, v2, s31 dst_sel:DWORD dst_unused:UNUSED_PAD src0_sel:WORD_0 src1_sel:DWORD
	v_mul_u32_u24_sdwa v2, v2, s31 dst_sel:DWORD dst_unused:UNUSED_PAD src0_sel:WORD_1 src1_sel:DWORD
	s_waitcnt lgkmcnt(3)
	v_pk_fma_f16 v65, v26, v1, v65
	v_pk_fma_f16 v66, v26, v2, v66
	;; [unrolled: 1-line block ×8, first 2 shown]
	v_mul_u32_u24_sdwa v68, v3, s31 dst_sel:DWORD dst_unused:UNUSED_PAD src0_sel:WORD_0 src1_sel:DWORD
	v_mul_u32_u24_sdwa v69, v3, s31 dst_sel:DWORD dst_unused:UNUSED_PAD src0_sel:WORD_1 src1_sel:DWORD
	ds_read2_b64 v[0:3], v48 offset0:64 offset1:96
	ds_read_b128 v[26:29], v42 offset:112
	s_waitcnt lgkmcnt(4)
	v_pk_fma_f16 v65, v50, v68, v65
	v_pk_fma_f16 v66, v50, v69, v66
	;; [unrolled: 1-line block ×8, first 2 shown]
	ds_read2_b64 v[50:53], v48 offset0:128 offset1:160
	s_waitcnt lgkmcnt(4)
	v_mul_u32_u24_sdwa v68, v54, s31 dst_sel:DWORD dst_unused:UNUSED_PAD src0_sel:WORD_0 src1_sel:DWORD
	v_mul_u32_u24_sdwa v54, v54, s31 dst_sel:DWORD dst_unused:UNUSED_PAD src0_sel:WORD_1 src1_sel:DWORD
	s_waitcnt lgkmcnt(3)
	v_pk_fma_f16 v65, v58, v68, v65
	v_pk_fma_f16 v66, v58, v54, v66
	;; [unrolled: 1-line block ×8, first 2 shown]
	ds_read2_b64 v[58:61], v48 offset0:192 offset1:224
	v_mul_u32_u24_sdwa v67, v55, s31 dst_sel:DWORD dst_unused:UNUSED_PAD src0_sel:WORD_0 src1_sel:DWORD
	v_mul_u32_u24_sdwa v55, v55, s31 dst_sel:DWORD dst_unused:UNUSED_PAD src0_sel:WORD_1 src1_sel:DWORD
	s_waitcnt lgkmcnt(3)
	v_pk_fma_f16 v65, v0, v67, v65
	v_pk_fma_f16 v66, v0, v55, v66
	v_pk_fma_f16 v6, v1, v67, v6
	v_pk_fma_f16 v7, v1, v55, v7
	v_pk_fma_f16 v62, v2, v67, v62
	v_pk_fma_f16 v63, v2, v55, v63
	v_pk_fma_f16 v64, v3, v67, v64
	v_pk_fma_f16 v54, v3, v55, v54
	v_mul_u32_u24_sdwa v55, v56, s31 dst_sel:DWORD dst_unused:UNUSED_PAD src0_sel:WORD_0 src1_sel:DWORD
	v_mul_u32_u24_sdwa v56, v56, s31 dst_sel:DWORD dst_unused:UNUSED_PAD src0_sel:WORD_1 src1_sel:DWORD
	ds_read2_b64 v[0:3], v49 offset1:32
	s_waitcnt lgkmcnt(2)
	v_pk_fma_f16 v65, v50, v55, v65
	v_pk_fma_f16 v66, v50, v56, v66
	;; [unrolled: 1-line block ×8, first 2 shown]
	v_mul_u32_u24_sdwa v68, v57, s31 dst_sel:DWORD dst_unused:UNUSED_PAD src0_sel:WORD_0 src1_sel:DWORD
	v_mul_u32_u24_sdwa v69, v57, s31 dst_sel:DWORD dst_unused:UNUSED_PAD src0_sel:WORD_1 src1_sel:DWORD
	ds_read2_b64 v[50:53], v49 offset0:64 offset1:96
	ds_read2_b64 v[54:57], v49 offset0:128 offset1:160
	s_waitcnt lgkmcnt(3)
	v_pk_fma_f16 v65, v58, v68, v65
	v_pk_fma_f16 v66, v58, v69, v66
	v_pk_fma_f16 v6, v59, v68, v6
	v_pk_fma_f16 v7, v59, v69, v7
	v_pk_fma_f16 v62, v60, v68, v62
	v_pk_fma_f16 v63, v60, v69, v63
	v_pk_fma_f16 v64, v61, v68, v64
	v_pk_fma_f16 v67, v61, v69, v67
	ds_read2_b64 v[58:61], v49 offset0:192 offset1:224
	s_waitcnt lgkmcnt(0)
	s_barrier
	s_load_dword s4, s[10:11], 0x4
	v_mul_u32_u24_sdwa v68, v26, s31 dst_sel:DWORD dst_unused:UNUSED_PAD src0_sel:WORD_0 src1_sel:DWORD
	v_mul_u32_u24_sdwa v26, v26, s31 dst_sel:DWORD dst_unused:UNUSED_PAD src0_sel:WORD_1 src1_sel:DWORD
	v_pk_fma_f16 v65, v0, v68, v65
	v_pk_fma_f16 v6, v1, v68, v6
	;; [unrolled: 1-line block ×4, first 2 shown]
	v_mul_u32_u24_sdwa v68, v27, s31 dst_sel:DWORD dst_unused:UNUSED_PAD src0_sel:WORD_0 src1_sel:DWORD
	v_pk_fma_f16 v0, v0, v26, v66
	v_pk_fma_f16 v1, v1, v26, v7
	;; [unrolled: 1-line block ×4, first 2 shown]
	v_mul_u32_u24_sdwa v7, v27, s31 dst_sel:DWORD dst_unused:UNUSED_PAD src0_sel:WORD_1 src1_sel:DWORD
	v_mul_u32_u24_sdwa v26, v28, s31 dst_sel:DWORD dst_unused:UNUSED_PAD src0_sel:WORD_0 src1_sel:DWORD
	v_mul_u32_u24_sdwa v27, v28, s31 dst_sel:DWORD dst_unused:UNUSED_PAD src0_sel:WORD_1 src1_sel:DWORD
	s_waitcnt lgkmcnt(0)
	s_lshl_b32 s4, s4, 5
	v_pk_fma_f16 v63, v50, v68, v65
	v_pk_fma_f16 v0, v50, v7, v0
	;; [unrolled: 1-line block ×8, first 2 shown]
	v_mul_u32_u24_sdwa v28, v29, s31 dst_sel:DWORD dst_unused:UNUSED_PAD src0_sel:WORD_0 src1_sel:DWORD
	v_mul_u32_u24_sdwa v29, v29, s31 dst_sel:DWORD dst_unused:UNUSED_PAD src0_sel:WORD_1 src1_sel:DWORD
	s_add_i32 s2, s4, s2
	v_pk_fma_f16 v7, v54, v26, v63
	v_pk_fma_f16 v0, v54, v27, v0
	;; [unrolled: 1-line block ×8, first 2 shown]
	s_cmp_ge_i32 s2, s30
	v_pk_fma_f16 v55, v58, v28, v7
	v_pk_fma_f16 v52, v58, v29, v0
	;; [unrolled: 1-line block ×8, first 2 shown]
	s_cbranch_scc0 .LBB30_9
.LBB30_10:
	v_cmp_lt_i32_e32 vcc, v38, v33
	s_cmp_lg_u64 s[12:13], 0
	s_cselect_b64 s[4:5], -1, 0
	v_cndmask_b32_e32 v0, v19, v38, vcc
	v_lshlrev_b32_e32 v1, 2, v0
	ds_bpermute_b32 v0, v1, v10
	ds_bpermute_b32 v1, v1, v11
	v_cmp_lt_i32_e32 vcc, v37, v33
	s_cmp_eq_u32 s3, 0
	s_cselect_b64 s[6:7], -1, 0
	v_cndmask_b32_e32 v2, v19, v37, vcc
	v_lshlrev_b32_e32 v3, 2, v2
	s_waitcnt lgkmcnt(0)
	v_pk_add_f32 v[0:1], v[10:11], v[0:1]
	ds_bpermute_b32 v2, v3, v0
	ds_bpermute_b32 v3, v3, v1
	v_cmp_lt_i32_e32 vcc, v36, v33
	s_and_b64 s[4:5], s[6:7], s[4:5]
	s_waitcnt lgkmcnt(0)
	v_pk_add_f32 v[0:1], v[0:1], v[2:3]
	v_cndmask_b32_e32 v6, v19, v36, vcc
	v_lshlrev_b32_e32 v6, 2, v6
	ds_bpermute_b32 v2, v6, v0
	ds_bpermute_b32 v3, v6, v1
	v_cmp_lt_i32_e32 vcc, v35, v33
	s_waitcnt lgkmcnt(0)
	v_pk_add_f32 v[0:1], v[0:1], v[2:3]
	v_cndmask_b32_e32 v6, v19, v35, vcc
	v_lshlrev_b32_e32 v6, 2, v6
	ds_bpermute_b32 v2, v6, v0
	ds_bpermute_b32 v3, v6, v1
	v_cmp_lt_i32_e32 vcc, v34, v33
	s_waitcnt lgkmcnt(0)
	v_pk_add_f32 v[0:1], v[0:1], v[2:3]
	v_cndmask_b32_e32 v6, v19, v34, vcc
	v_lshlrev_b32_e32 v6, 2, v6
	ds_bpermute_b32 v2, v6, v0
	ds_bpermute_b32 v3, v6, v1
	s_and_b64 vcc, exec, s[4:5]
	s_waitcnt lgkmcnt(0)
	v_pk_add_f32 v[0:1], v[0:1], v[2:3]
	s_cbranch_vccz .LBB30_12
; %bb.11:
	s_ashr_i32 s29, s28, 31
	s_lshl_b64 s[4:5], s[28:29], 2
	s_add_u32 s4, s12, s4
	s_addc_u32 s5, s13, s5
	v_mov_b32_e32 v2, 0
	global_load_dwordx2 v[2:3], v2, s[4:5]
	v_max_f32_e32 v6, v4, v4
	v_max_f32_e32 v7, v5, v5
	s_mov_b32 s2, 0x3fb8aa3b
	s_mov_b32 s4, 0xc2ce8ed0
	;; [unrolled: 1-line block ×3, first 2 shown]
	v_mov_b32_e32 v10, 0x7f800000
	s_waitcnt vmcnt(0)
	v_max_f32_e32 v11, v2, v2
	v_max_f32_e32 v6, v6, v11
	;; [unrolled: 1-line block ×3, first 2 shown]
	v_sub_f32_e32 v4, v4, v6
	v_max_f32_e32 v7, v7, v12
	v_sub_f32_e32 v11, v2, v6
	v_mul_f32_e32 v2, 0x3fb8aa3b, v4
	v_sub_f32_e32 v5, v5, v7
	v_sub_f32_e32 v12, v3, v7
	v_mul_f32_e32 v3, 0x3fb8aa3b, v11
	v_fma_f32 v15, v4, s2, -v2
	v_rndne_f32_e32 v16, v2
	v_mul_f32_e32 v13, 0x3fb8aa3b, v5
	v_fma_f32 v17, v11, s2, -v3
	v_rndne_f32_e32 v18, v3
	v_fmac_f32_e32 v15, 0x32a5705f, v4
	v_sub_f32_e32 v2, v2, v16
	v_mul_f32_e32 v14, 0x3fb8aa3b, v12
	v_fma_f32 v19, v5, s2, -v13
	v_rndne_f32_e32 v20, v13
	v_fmac_f32_e32 v17, 0x32a5705f, v11
	v_sub_f32_e32 v3, v3, v18
	v_add_f32_e32 v2, v2, v15
	v_fma_f32 v21, v12, s2, -v14
	v_rndne_f32_e32 v22, v14
	v_cvt_i32_f32_e32 v16, v16
	v_fmac_f32_e32 v19, 0x32a5705f, v5
	v_sub_f32_e32 v13, v13, v20
	v_add_f32_e32 v3, v3, v17
	v_exp_f32_e32 v2, v2
	v_cvt_i32_f32_e32 v18, v18
	v_fmac_f32_e32 v21, 0x32a5705f, v12
	v_sub_f32_e32 v14, v14, v22
	v_add_f32_e32 v13, v13, v19
	v_exp_f32_e32 v3, v3
	v_cvt_i32_f32_e32 v20, v20
	v_add_f32_e32 v14, v14, v21
	v_exp_f32_e32 v13, v13
	v_cvt_i32_f32_e32 v22, v22
	v_exp_f32_e32 v14, v14
	v_ldexp_f32 v2, v2, v16
	v_cmp_ngt_f32_e32 vcc, s4, v4
	v_ldexp_f32 v3, v3, v18
	v_ldexp_f32 v13, v13, v20
	v_cndmask_b32_e32 v2, 0, v2, vcc
	v_cmp_ngt_f32_e32 vcc, s4, v11
	v_ldexp_f32 v14, v14, v22
	s_nop 0
	v_cndmask_b32_e32 v3, 0, v3, vcc
	v_cmp_ngt_f32_e32 vcc, s4, v5
	s_nop 1
	v_cndmask_b32_e32 v13, 0, v13, vcc
	v_cmp_ngt_f32_e32 vcc, s4, v12
	s_nop 1
	v_cndmask_b32_e32 v14, 0, v14, vcc
	v_cmp_nlt_f32_e32 vcc, s5, v4
	s_nop 1
	v_cndmask_b32_e32 v2, v10, v2, vcc
	v_cmp_nlt_f32_e32 vcc, s5, v11
	v_cvt_f16_f32_e32 v11, v2
	s_nop 0
	v_cndmask_b32_e32 v4, v10, v3, vcc
	v_cmp_nlt_f32_e32 vcc, s5, v5
	s_nop 1
	v_cndmask_b32_e32 v3, v10, v13, vcc
	v_cvt_f16_f32_e32 v13, v3
	v_cmp_nlt_f32_e32 vcc, s5, v12
	s_nop 1
	v_cndmask_b32_e32 v5, v10, v14, vcc
	v_pk_fma_f32 v[0:1], v[0:1], v[2:3], v[4:5]
	v_mul_u32_u24_e32 v2, 0x10001, v11
	v_mul_u32_u24_e32 v3, 0x10001, v13
	v_pk_mul_f16 v55, v55, v2
	v_pk_mul_f16 v57, v57, v2
	;; [unrolled: 1-line block ×8, first 2 shown]
	v_mov_b64_e32 v[4:5], v[6:7]
.LBB30_12:
	v_cmp_gt_i32_e32 vcc, s22, v9
	s_and_saveexec_b64 s[4:5], vcc
	s_cbranch_execz .LBB30_21
; %bb.13:
	s_load_dword s6, s[0:1], 0xd4
	v_mov_b32_e32 v6, 1.0
	s_waitcnt lgkmcnt(0)
	s_cmp_lg_u32 s6, 1
	s_cselect_b64 s[0:1], -1, 0
	s_cmp_eq_u32 s6, 1
	s_cselect_b64 s[4:5], -1, 0
	s_and_b64 vcc, exec, s[0:1]
	s_cbranch_vccnz .LBB30_15
; %bb.14:
	v_div_scale_f32 v2, s[8:9], v0, v0, 1.0
	v_rcp_f32_e32 v3, v2
	v_div_scale_f32 v6, vcc, 1.0, v0, 1.0
	v_fma_f32 v7, -v2, v3, 1.0
	v_fmac_f32_e32 v3, v7, v3
	v_mul_f32_e32 v7, v6, v3
	v_fma_f32 v10, -v2, v7, v6
	v_fmac_f32_e32 v7, v10, v3
	v_fma_f32 v2, -v2, v7, v6
	v_div_fmas_f32 v2, v2, v3, v7
	v_div_fixup_f32 v6, v2, v0, 1.0
.LBB30_15:
	s_mul_i32 s33, s33, s22
	v_add_u32_e32 v2, s33, v9
	v_mul_lo_u32 v2, v2, s23
	v_add_u32_e32 v2, s28, v2
	v_cmp_eq_u32_e32 vcc, 0, v8
	v_cvt_f32_f16_sdwa v9, v55 dst_sel:DWORD dst_unused:UNUSED_PAD src0_sel:WORD_1
	v_cvt_f32_f16_e32 v8, v55
	v_cvt_f32_f16_sdwa v11, v57 dst_sel:DWORD dst_unused:UNUSED_PAD src0_sel:WORD_1
	v_cvt_f32_f16_e32 v10, v57
	v_mul_lo_u32 v2, s6, v2
	v_add_u32_e32 v2, s3, v2
	v_lshl_add_u32 v12, v2, 8, v30
	v_mov_b32_e32 v13, 0
	v_lshl_add_u64 v[14:15], v[12:13], 2, s[16:17]
	v_pk_mul_f32 v[8:9], v[6:7], v[8:9] op_sel_hi:[0,1]
	v_pk_mul_f32 v[10:11], v[6:7], v[10:11] op_sel_hi:[0,1]
	global_store_dwordx4 v[14:15], v[8:11], off
	v_add_u32_e32 v12, 0x80, v12
	s_and_b64 s[0:1], vcc, s[0:1]
	v_cvt_f32_f16_sdwa v9, v56 dst_sel:DWORD dst_unused:UNUSED_PAD src0_sel:WORD_1
	v_cvt_f32_f16_e32 v8, v56
	v_cvt_f32_f16_sdwa v11, v54 dst_sel:DWORD dst_unused:UNUSED_PAD src0_sel:WORD_1
	v_cvt_f32_f16_e32 v10, v54
	v_lshl_add_u64 v[12:13], v[12:13], 2, s[16:17]
	v_pk_mul_f32 v[8:9], v[6:7], v[8:9] op_sel_hi:[0,1]
	v_pk_mul_f32 v[10:11], v[6:7], v[10:11] op_sel_hi:[0,1]
	global_store_dwordx4 v[12:13], v[8:11], off
	s_and_saveexec_b64 s[2:3], s[0:1]
	s_cbranch_execz .LBB30_17
; %bb.16:
	v_ashrrev_i32_e32 v3, 31, v2
	v_lshl_add_u64 v[6:7], v[2:3], 3, s[18:19]
	v_mov_b32_e32 v8, v4
	v_mov_b32_e32 v9, v0
	global_store_dwordx2 v[6:7], v[8:9], off
.LBB30_17:
	s_or_b64 exec, exec, s[2:3]
	s_andn2_b64 vcc, exec, s[4:5]
	v_mov_b32_e32 v0, 1.0
	s_cbranch_vccnz .LBB30_19
; %bb.18:
	v_div_scale_f32 v0, s[2:3], v1, v1, 1.0
	v_rcp_f32_e32 v3, v0
	v_div_scale_f32 v4, vcc, 1.0, v1, 1.0
	v_fma_f32 v6, -v0, v3, 1.0
	v_fmac_f32_e32 v3, v6, v3
	v_mul_f32_e32 v6, v4, v3
	v_fma_f32 v7, -v0, v6, v4
	v_fmac_f32_e32 v6, v7, v3
	v_fma_f32 v0, -v0, v6, v4
	v_div_fmas_f32 v0, v0, v3, v6
	v_div_fixup_f32 v0, v0, v1, 1.0
.LBB30_19:
	v_cvt_f32_f16_sdwa v7, v52 dst_sel:DWORD dst_unused:UNUSED_PAD src0_sel:WORD_1
	v_cvt_f32_f16_e32 v6, v52
	v_cvt_f32_f16_sdwa v9, v53 dst_sel:DWORD dst_unused:UNUSED_PAD src0_sel:WORD_1
	v_cvt_f32_f16_e32 v8, v53
	v_add_u32_e32 v2, s6, v2
	v_lshl_add_u32 v10, v2, 8, v30
	v_mov_b32_e32 v11, 0
	v_lshl_add_u64 v[12:13], v[10:11], 2, s[16:17]
	v_pk_mul_f32 v[6:7], v[0:1], v[6:7] op_sel_hi:[0,1]
	v_pk_mul_f32 v[8:9], v[0:1], v[8:9] op_sel_hi:[0,1]
	global_store_dwordx4 v[12:13], v[6:9], off
	v_add_u32_e32 v10, 0x80, v10
	v_lshl_add_u64 v[10:11], v[10:11], 2, s[16:17]
	v_cvt_f32_f16_sdwa v7, v51 dst_sel:DWORD dst_unused:UNUSED_PAD src0_sel:WORD_1
	v_cvt_f32_f16_e32 v6, v51
	v_cvt_f32_f16_sdwa v9, v50 dst_sel:DWORD dst_unused:UNUSED_PAD src0_sel:WORD_1
	v_cvt_f32_f16_e32 v8, v50
	v_pk_mul_f32 v[6:7], v[0:1], v[6:7] op_sel_hi:[0,1]
	v_pk_mul_f32 v[8:9], v[0:1], v[8:9] op_sel_hi:[0,1]
	global_store_dwordx4 v[10:11], v[6:9], off
	s_and_b64 exec, exec, s[0:1]
	s_cbranch_execz .LBB30_21
; %bb.20:
	v_ashrrev_i32_e32 v3, 31, v2
	v_lshl_add_u64 v[2:3], v[2:3], 3, s[18:19]
	v_mov_b32_e32 v0, v5
	global_store_dwordx2 v[2:3], v[0:1], off
.LBB30_21:
	s_endpgm
	.section	.rodata,"a",@progbits
	.p2align	6, 0x0
	.amdhsa_kernel _ZL15flash_attn_tileILi256ELi256ELi8ELi2ELb0EEvPKcS1_S1_S1_S1_PKiPfP15HIP_vector_typeIfLj2EEffffjfiS5_IjLj3EEiiiiiiiiiiiliiliiiiil
		.amdhsa_group_segment_fixed_size 17920
		.amdhsa_private_segment_fixed_size 0
		.amdhsa_kernarg_size 464
		.amdhsa_user_sgpr_count 2
		.amdhsa_user_sgpr_dispatch_ptr 0
		.amdhsa_user_sgpr_queue_ptr 0
		.amdhsa_user_sgpr_kernarg_segment_ptr 1
		.amdhsa_user_sgpr_dispatch_id 0
		.amdhsa_user_sgpr_kernarg_preload_length 0
		.amdhsa_user_sgpr_kernarg_preload_offset 0
		.amdhsa_user_sgpr_private_segment_size 0
		.amdhsa_uses_dynamic_stack 0
		.amdhsa_enable_private_segment 0
		.amdhsa_system_sgpr_workgroup_id_x 1
		.amdhsa_system_sgpr_workgroup_id_y 1
		.amdhsa_system_sgpr_workgroup_id_z 1
		.amdhsa_system_sgpr_workgroup_info 0
		.amdhsa_system_vgpr_workitem_id 1
		.amdhsa_next_free_vgpr 72
		.amdhsa_next_free_sgpr 39
		.amdhsa_accum_offset 72
		.amdhsa_reserve_vcc 1
		.amdhsa_float_round_mode_32 0
		.amdhsa_float_round_mode_16_64 0
		.amdhsa_float_denorm_mode_32 3
		.amdhsa_float_denorm_mode_16_64 3
		.amdhsa_dx10_clamp 1
		.amdhsa_ieee_mode 1
		.amdhsa_fp16_overflow 0
		.amdhsa_tg_split 0
		.amdhsa_exception_fp_ieee_invalid_op 0
		.amdhsa_exception_fp_denorm_src 0
		.amdhsa_exception_fp_ieee_div_zero 0
		.amdhsa_exception_fp_ieee_overflow 0
		.amdhsa_exception_fp_ieee_underflow 0
		.amdhsa_exception_fp_ieee_inexact 0
		.amdhsa_exception_int_div_zero 0
	.end_amdhsa_kernel
	.section	.text._ZL15flash_attn_tileILi256ELi256ELi8ELi2ELb0EEvPKcS1_S1_S1_S1_PKiPfP15HIP_vector_typeIfLj2EEffffjfiS5_IjLj3EEiiiiiiiiiiiliiliiiiil,"axG",@progbits,_ZL15flash_attn_tileILi256ELi256ELi8ELi2ELb0EEvPKcS1_S1_S1_S1_PKiPfP15HIP_vector_typeIfLj2EEffffjfiS5_IjLj3EEiiiiiiiiiiiliiliiiiil,comdat
.Lfunc_end30:
	.size	_ZL15flash_attn_tileILi256ELi256ELi8ELi2ELb0EEvPKcS1_S1_S1_S1_PKiPfP15HIP_vector_typeIfLj2EEffffjfiS5_IjLj3EEiiiiiiiiiiiliiliiiiil, .Lfunc_end30-_ZL15flash_attn_tileILi256ELi256ELi8ELi2ELb0EEvPKcS1_S1_S1_S1_PKiPfP15HIP_vector_typeIfLj2EEffffjfiS5_IjLj3EEiiiiiiiiiiiliiliiiiil
                                        ; -- End function
	.set _ZL15flash_attn_tileILi256ELi256ELi8ELi2ELb0EEvPKcS1_S1_S1_S1_PKiPfP15HIP_vector_typeIfLj2EEffffjfiS5_IjLj3EEiiiiiiiiiiiliiliiiiil.num_vgpr, 72
	.set _ZL15flash_attn_tileILi256ELi256ELi8ELi2ELb0EEvPKcS1_S1_S1_S1_PKiPfP15HIP_vector_typeIfLj2EEffffjfiS5_IjLj3EEiiiiiiiiiiiliiliiiiil.num_agpr, 0
	.set _ZL15flash_attn_tileILi256ELi256ELi8ELi2ELb0EEvPKcS1_S1_S1_S1_PKiPfP15HIP_vector_typeIfLj2EEffffjfiS5_IjLj3EEiiiiiiiiiiiliiliiiiil.numbered_sgpr, 39
	.set _ZL15flash_attn_tileILi256ELi256ELi8ELi2ELb0EEvPKcS1_S1_S1_S1_PKiPfP15HIP_vector_typeIfLj2EEffffjfiS5_IjLj3EEiiiiiiiiiiiliiliiiiil.num_named_barrier, 0
	.set _ZL15flash_attn_tileILi256ELi256ELi8ELi2ELb0EEvPKcS1_S1_S1_S1_PKiPfP15HIP_vector_typeIfLj2EEffffjfiS5_IjLj3EEiiiiiiiiiiiliiliiiiil.private_seg_size, 0
	.set _ZL15flash_attn_tileILi256ELi256ELi8ELi2ELb0EEvPKcS1_S1_S1_S1_PKiPfP15HIP_vector_typeIfLj2EEffffjfiS5_IjLj3EEiiiiiiiiiiiliiliiiiil.uses_vcc, 1
	.set _ZL15flash_attn_tileILi256ELi256ELi8ELi2ELb0EEvPKcS1_S1_S1_S1_PKiPfP15HIP_vector_typeIfLj2EEffffjfiS5_IjLj3EEiiiiiiiiiiiliiliiiiil.uses_flat_scratch, 0
	.set _ZL15flash_attn_tileILi256ELi256ELi8ELi2ELb0EEvPKcS1_S1_S1_S1_PKiPfP15HIP_vector_typeIfLj2EEffffjfiS5_IjLj3EEiiiiiiiiiiiliiliiiiil.has_dyn_sized_stack, 0
	.set _ZL15flash_attn_tileILi256ELi256ELi8ELi2ELb0EEvPKcS1_S1_S1_S1_PKiPfP15HIP_vector_typeIfLj2EEffffjfiS5_IjLj3EEiiiiiiiiiiiliiliiiiil.has_recursion, 0
	.set _ZL15flash_attn_tileILi256ELi256ELi8ELi2ELb0EEvPKcS1_S1_S1_S1_PKiPfP15HIP_vector_typeIfLj2EEffffjfiS5_IjLj3EEiiiiiiiiiiiliiliiiiil.has_indirect_call, 0
	.section	.AMDGPU.csdata,"",@progbits
; Kernel info:
; codeLenInByte = 13140
; TotalNumSgprs: 45
; NumVgprs: 72
; NumAgprs: 0
; TotalNumVgprs: 72
; ScratchSize: 0
; MemoryBound: 0
; FloatMode: 240
; IeeeMode: 1
; LDSByteSize: 17920 bytes/workgroup (compile time only)
; SGPRBlocks: 5
; VGPRBlocks: 8
; NumSGPRsForWavesPerEU: 45
; NumVGPRsForWavesPerEU: 72
; AccumOffset: 72
; Occupancy: 7
; WaveLimiterHint : 1
; COMPUTE_PGM_RSRC2:SCRATCH_EN: 0
; COMPUTE_PGM_RSRC2:USER_SGPR: 2
; COMPUTE_PGM_RSRC2:TRAP_HANDLER: 0
; COMPUTE_PGM_RSRC2:TGID_X_EN: 1
; COMPUTE_PGM_RSRC2:TGID_Y_EN: 1
; COMPUTE_PGM_RSRC2:TGID_Z_EN: 1
; COMPUTE_PGM_RSRC2:TIDIG_COMP_CNT: 1
; COMPUTE_PGM_RSRC3_GFX90A:ACCUM_OFFSET: 17
; COMPUTE_PGM_RSRC3_GFX90A:TG_SPLIT: 0
	.section	.text._ZL33flash_attn_stream_k_fixup_uniformILi256ELi8ELi2EEvPfPK15HIP_vector_typeIfLj2EEiiiiiiS1_IjLj3EES5_S5_,"axG",@progbits,_ZL33flash_attn_stream_k_fixup_uniformILi256ELi8ELi2EEvPfPK15HIP_vector_typeIfLj2EEiiiiiiS1_IjLj3EES5_S5_,comdat
	.globl	_ZL33flash_attn_stream_k_fixup_uniformILi256ELi8ELi2EEvPfPK15HIP_vector_typeIfLj2EEiiiiiiS1_IjLj3EES5_S5_ ; -- Begin function _ZL33flash_attn_stream_k_fixup_uniformILi256ELi8ELi2EEvPfPK15HIP_vector_typeIfLj2EEiiiiiiS1_IjLj3EES5_S5_
	.p2align	8
	.type	_ZL33flash_attn_stream_k_fixup_uniformILi256ELi8ELi2EEvPfPK15HIP_vector_typeIfLj2EEiiiiiiS1_IjLj3EES5_S5_,@function
_ZL33flash_attn_stream_k_fixup_uniformILi256ELi8ELi2EEvPfPK15HIP_vector_typeIfLj2EEiiiiiiS1_IjLj3EES5_S5_: ; @_ZL33flash_attn_stream_k_fixup_uniformILi256ELi8ELi2EEvPfPK15HIP_vector_typeIfLj2EEiiiiiiS1_IjLj3EES5_S5_
; %bb.0:
	s_load_dwordx8 s[8:15], s[0:1], 0x1c
	s_load_dwordx2 s[6:7], s[0:1], 0x10
	s_load_dwordx4 s[20:23], s[0:1], 0x3c
	s_waitcnt lgkmcnt(0)
	s_mul_hi_u32 s5, s11, s2
	s_add_i32 s5, s2, s5
	s_lshr_b32 s5, s5, s12
	s_mul_i32 s11, s5, s13
	s_sub_i32 s11, s2, s11
	s_mul_hi_u32 s12, s11, s14
	s_add_i32 s12, s11, s12
	s_lshr_b32 s16, s12, s15
	s_mul_i32 s12, s16, s20
	s_sub_i32 s11, s11, s12
	;; [unrolled: 5-line block ×3, first 2 shown]
	s_lshl_b32 s11, s12, 1
	s_lshl_b32 s12, s17, 3
	s_add_i32 s12, s12, s3
	s_cmp_lt_i32 s12, s6
	s_cselect_b64 s[12:13], -1, 0
	s_add_i32 s14, s11, s4
	s_cmp_lt_i32 s14, s9
	s_cselect_b64 s[14:15], -1, 0
	s_and_b64 s[12:13], s[12:13], s[14:15]
	s_andn2_b64 vcc, exec, s[12:13]
	s_cbranch_vccnz .LBB31_6
; %bb.1:
	s_load_dwordx4 s[12:15], s[0:1], 0x0
	s_mul_i32 s0, s5, s6
	s_add_i32 s0, s0, s3
	s_mul_i32 s0, s0, s7
	s_mul_i32 s16, s16, s9
	s_add_i32 s0, s0, s4
	s_add_i32 s0, s0, s16
	s_mul_i32 s1, s7, s17
	s_add_i32 s0, s0, s11
	s_lshl_b32 s1, s1, 11
	s_lshl_b32 s0, s0, 8
	s_add_i32 s1, s1, s0
	v_or_b32_e32 v4, s1, v0
	s_waitcnt lgkmcnt(0)
	v_mov_b32_e32 v2, s12
	v_mov_b32_e32 v3, s13
	v_ashrrev_i32_e32 v5, 31, v4
	v_lshl_add_u64 v[2:3], v[4:5], 2, v[2:3]
	global_load_dword v5, v[2:3], off
	s_mul_i32 s5, s10, s2
	s_lshl_b32 s11, s3, 1
	s_add_i32 s9, s5, s10
	s_add_i32 s0, s11, s4
	s_lshl_b32 s1, s9, 4
	s_add_i32 s0, s0, s1
	s_add_i32 s0, s0, -16
	s_ashr_i32 s1, s0, 31
	s_lshl_b64 s[0:1], s[0:1], 3
	s_add_u32 s0, s14, s0
	s_addc_u32 s1, s15, s1
	s_load_dword s12, s[0:1], 0x4
	s_add_i32 s6, s9, -2
	s_cmp_lt_i32 s6, s5
	s_cbranch_scc1 .LBB31_4
; %bb.2:
	s_lshl_b32 s6, s8, 6
	s_ashr_i32 s7, s6, 31
	s_lshl_b64 s[6:7], s[6:7], 2
	s_add_u32 s6, s14, s6
	s_addc_u32 s7, s15, s7
	s_add_i32 s2, s2, 1
	s_load_dword s0, s[0:1], 0x0
	s_mul_i32 s1, s10, s2
	s_lshl_b32 s3, s3, 9
	s_lshl_b32 s10, s4, 8
	;; [unrolled: 1-line block ×3, first 2 shown]
	s_add_i32 s3, s10, s3
	s_lshl_b32 s1, s1, 4
	s_add_i32 s3, s3, s2
	s_add_i32 s1, s4, s1
	s_lshl_b32 s2, s8, 4
	s_add_i32 s1, s1, s2
	v_or_b32_e32 v0, s3, v0
	s_add_i32 s1, s1, s11
	s_add_i32 s9, s9, -1
	v_add_u32_e32 v0, 0xffffe000, v0
	s_sub_i32 s2, s1, 32
	s_waitcnt lgkmcnt(0)
	v_mov_b32_e32 v7, s0
	v_mov_b32_e32 v4, s12
	s_mov_b32 s4, 0x3fb8aa3b
	s_mov_b32 s8, 0xc2ce8ed0
	;; [unrolled: 1-line block ×3, first 2 shown]
	v_mov_b32_e32 v6, 0x7f800000
	s_mov_b32 s11, 0xc1a00000
.LBB31_3:                               ; =>This Inner Loop Header: Depth=1
	v_ashrrev_i32_e32 v1, 31, v0
	v_lshl_add_u64 v[8:9], v[0:1], 2, s[6:7]
	global_load_dword v9, v[8:9], off
	s_ashr_i32 s3, s2, 31
	s_lshl_b64 s[0:1], s[2:3], 3
	s_add_u32 s0, s14, s0
	s_addc_u32 s1, s15, s1
	s_load_dwordx2 s[0:1], s[0:1], 0x0
	v_max_f32_e32 v1, v7, v7
	s_add_i32 s9, s9, -1
	s_add_i32 s2, s2, -16
	v_add_u32_e32 v0, 0xfffff000, v0
	s_waitcnt lgkmcnt(0)
	v_max_f32_e64 v10, s0, s0
	v_max_f32_e32 v1, v1, v10
	v_sub_f32_e32 v11, s0, v1
	v_sub_f32_e32 v10, v7, v1
	v_mul_f32_e32 v12, 0x3fb8aa3b, v11
	v_mov_b32_e32 v7, v1
	v_mul_f32_e32 v1, 0x3fb8aa3b, v10
	v_fma_f32 v15, v11, s4, -v12
	v_rndne_f32_e32 v16, v12
	v_fma_f32 v13, v10, s4, -v1
	v_rndne_f32_e32 v14, v1
	v_fmac_f32_e32 v15, 0x32a5705f, v11
	v_sub_f32_e32 v12, v12, v16
	v_fmac_f32_e32 v13, 0x32a5705f, v10
	v_sub_f32_e32 v1, v1, v14
	v_add_f32_e32 v12, v12, v15
	v_cvt_i32_f32_e32 v16, v16
	v_add_f32_e32 v1, v1, v13
	v_exp_f32_e32 v12, v12
	v_cvt_i32_f32_e32 v14, v14
	v_exp_f32_e32 v1, v1
	v_cmp_ngt_f32_e32 vcc, s8, v11
	v_ldexp_f32 v12, v12, v16
	v_mov_b32_e32 v8, s1
	v_ldexp_f32 v1, v1, v14
	v_cmp_ngt_f32_e64 s[0:1], s8, v10
	v_cndmask_b32_e32 v12, 0, v12, vcc
	v_cmp_nlt_f32_e32 vcc, s10, v11
	v_cndmask_b32_e64 v1, 0, v1, s[0:1]
	v_cmp_nlt_f32_e64 s[0:1], s10, v10
	v_cndmask_b32_e32 v12, v6, v12, vcc
	v_cmp_le_f32_e32 vcc, s11, v11
	v_cndmask_b32_e64 v1, v6, v1, s[0:1]
	v_cmp_le_f32_e64 s[0:1], s11, v10
	v_cndmask_b32_e32 v12, 0, v12, vcc
	s_cmp_le_i32 s9, s5
	v_cndmask_b32_e64 v10, 0, v1, s[0:1]
	s_waitcnt vmcnt(0)
	v_pk_mul_f32 v[8:9], v[8:9], v[12:13] op_sel_hi:[1,0]
	s_nop 0
	v_pk_fma_f32 v[4:5], v[4:5], v[10:11], v[8:9] op_sel_hi:[1,0,1]
	s_cbranch_scc0 .LBB31_3
	s_branch .LBB31_5
.LBB31_4:
	s_waitcnt lgkmcnt(0)
	v_mov_b32_e32 v4, s12
.LBB31_5:
	s_waitcnt vmcnt(0)
	v_div_scale_f32 v0, s[0:1], v4, v4, v5
	v_rcp_f32_e32 v1, v0
	v_div_scale_f32 v6, vcc, v5, v4, v5
	v_fma_f32 v7, -v0, v1, 1.0
	v_fmac_f32_e32 v1, v7, v1
	v_mul_f32_e32 v7, v6, v1
	v_fma_f32 v8, -v0, v7, v6
	v_fmac_f32_e32 v7, v8, v1
	v_fma_f32 v0, -v0, v7, v6
	v_div_fmas_f32 v0, v0, v1, v7
	v_div_fixup_f32 v0, v0, v4, v5
	global_store_dword v[2:3], v0, off
.LBB31_6:
	s_endpgm
	.section	.rodata,"a",@progbits
	.p2align	6, 0x0
	.amdhsa_kernel _ZL33flash_attn_stream_k_fixup_uniformILi256ELi8ELi2EEvPfPK15HIP_vector_typeIfLj2EEiiiiiiS1_IjLj3EES5_S5_
		.amdhsa_group_segment_fixed_size 0
		.amdhsa_private_segment_fixed_size 0
		.amdhsa_kernarg_size 76
		.amdhsa_user_sgpr_count 2
		.amdhsa_user_sgpr_dispatch_ptr 0
		.amdhsa_user_sgpr_queue_ptr 0
		.amdhsa_user_sgpr_kernarg_segment_ptr 1
		.amdhsa_user_sgpr_dispatch_id 0
		.amdhsa_user_sgpr_kernarg_preload_length 0
		.amdhsa_user_sgpr_kernarg_preload_offset 0
		.amdhsa_user_sgpr_private_segment_size 0
		.amdhsa_uses_dynamic_stack 0
		.amdhsa_enable_private_segment 0
		.amdhsa_system_sgpr_workgroup_id_x 1
		.amdhsa_system_sgpr_workgroup_id_y 1
		.amdhsa_system_sgpr_workgroup_id_z 1
		.amdhsa_system_sgpr_workgroup_info 0
		.amdhsa_system_vgpr_workitem_id 0
		.amdhsa_next_free_vgpr 17
		.amdhsa_next_free_sgpr 24
		.amdhsa_accum_offset 20
		.amdhsa_reserve_vcc 1
		.amdhsa_float_round_mode_32 0
		.amdhsa_float_round_mode_16_64 0
		.amdhsa_float_denorm_mode_32 3
		.amdhsa_float_denorm_mode_16_64 3
		.amdhsa_dx10_clamp 1
		.amdhsa_ieee_mode 1
		.amdhsa_fp16_overflow 0
		.amdhsa_tg_split 0
		.amdhsa_exception_fp_ieee_invalid_op 0
		.amdhsa_exception_fp_denorm_src 0
		.amdhsa_exception_fp_ieee_div_zero 0
		.amdhsa_exception_fp_ieee_overflow 0
		.amdhsa_exception_fp_ieee_underflow 0
		.amdhsa_exception_fp_ieee_inexact 0
		.amdhsa_exception_int_div_zero 0
	.end_amdhsa_kernel
	.section	.text._ZL33flash_attn_stream_k_fixup_uniformILi256ELi8ELi2EEvPfPK15HIP_vector_typeIfLj2EEiiiiiiS1_IjLj3EES5_S5_,"axG",@progbits,_ZL33flash_attn_stream_k_fixup_uniformILi256ELi8ELi2EEvPfPK15HIP_vector_typeIfLj2EEiiiiiiS1_IjLj3EES5_S5_,comdat
.Lfunc_end31:
	.size	_ZL33flash_attn_stream_k_fixup_uniformILi256ELi8ELi2EEvPfPK15HIP_vector_typeIfLj2EEiiiiiiS1_IjLj3EES5_S5_, .Lfunc_end31-_ZL33flash_attn_stream_k_fixup_uniformILi256ELi8ELi2EEvPfPK15HIP_vector_typeIfLj2EEiiiiiiS1_IjLj3EES5_S5_
                                        ; -- End function
	.set _ZL33flash_attn_stream_k_fixup_uniformILi256ELi8ELi2EEvPfPK15HIP_vector_typeIfLj2EEiiiiiiS1_IjLj3EES5_S5_.num_vgpr, 17
	.set _ZL33flash_attn_stream_k_fixup_uniformILi256ELi8ELi2EEvPfPK15HIP_vector_typeIfLj2EEiiiiiiS1_IjLj3EES5_S5_.num_agpr, 0
	.set _ZL33flash_attn_stream_k_fixup_uniformILi256ELi8ELi2EEvPfPK15HIP_vector_typeIfLj2EEiiiiiiS1_IjLj3EES5_S5_.numbered_sgpr, 24
	.set _ZL33flash_attn_stream_k_fixup_uniformILi256ELi8ELi2EEvPfPK15HIP_vector_typeIfLj2EEiiiiiiS1_IjLj3EES5_S5_.num_named_barrier, 0
	.set _ZL33flash_attn_stream_k_fixup_uniformILi256ELi8ELi2EEvPfPK15HIP_vector_typeIfLj2EEiiiiiiS1_IjLj3EES5_S5_.private_seg_size, 0
	.set _ZL33flash_attn_stream_k_fixup_uniformILi256ELi8ELi2EEvPfPK15HIP_vector_typeIfLj2EEiiiiiiS1_IjLj3EES5_S5_.uses_vcc, 1
	.set _ZL33flash_attn_stream_k_fixup_uniformILi256ELi8ELi2EEvPfPK15HIP_vector_typeIfLj2EEiiiiiiS1_IjLj3EES5_S5_.uses_flat_scratch, 0
	.set _ZL33flash_attn_stream_k_fixup_uniformILi256ELi8ELi2EEvPfPK15HIP_vector_typeIfLj2EEiiiiiiS1_IjLj3EES5_S5_.has_dyn_sized_stack, 0
	.set _ZL33flash_attn_stream_k_fixup_uniformILi256ELi8ELi2EEvPfPK15HIP_vector_typeIfLj2EEiiiiiiS1_IjLj3EES5_S5_.has_recursion, 0
	.set _ZL33flash_attn_stream_k_fixup_uniformILi256ELi8ELi2EEvPfPK15HIP_vector_typeIfLj2EEiiiiiiS1_IjLj3EES5_S5_.has_indirect_call, 0
	.section	.AMDGPU.csdata,"",@progbits
; Kernel info:
; codeLenInByte = 836
; TotalNumSgprs: 30
; NumVgprs: 17
; NumAgprs: 0
; TotalNumVgprs: 17
; ScratchSize: 0
; MemoryBound: 0
; FloatMode: 240
; IeeeMode: 1
; LDSByteSize: 0 bytes/workgroup (compile time only)
; SGPRBlocks: 3
; VGPRBlocks: 2
; NumSGPRsForWavesPerEU: 30
; NumVGPRsForWavesPerEU: 17
; AccumOffset: 20
; Occupancy: 8
; WaveLimiterHint : 0
; COMPUTE_PGM_RSRC2:SCRATCH_EN: 0
; COMPUTE_PGM_RSRC2:USER_SGPR: 2
; COMPUTE_PGM_RSRC2:TRAP_HANDLER: 0
; COMPUTE_PGM_RSRC2:TGID_X_EN: 1
; COMPUTE_PGM_RSRC2:TGID_Y_EN: 1
; COMPUTE_PGM_RSRC2:TGID_Z_EN: 1
; COMPUTE_PGM_RSRC2:TIDIG_COMP_CNT: 0
; COMPUTE_PGM_RSRC3_GFX90A:ACCUM_OFFSET: 4
; COMPUTE_PGM_RSRC3_GFX90A:TG_SPLIT: 0
	.section	.text._ZL33flash_attn_stream_k_fixup_generalILi256ELi8ELi2EEvPfPK15HIP_vector_typeIfLj2EEiiiiS1_IjLj3EES5_S5_S5_,"axG",@progbits,_ZL33flash_attn_stream_k_fixup_generalILi256ELi8ELi2EEvPfPK15HIP_vector_typeIfLj2EEiiiiS1_IjLj3EES5_S5_S5_,comdat
	.globl	_ZL33flash_attn_stream_k_fixup_generalILi256ELi8ELi2EEvPfPK15HIP_vector_typeIfLj2EEiiiiS1_IjLj3EES5_S5_S5_ ; -- Begin function _ZL33flash_attn_stream_k_fixup_generalILi256ELi8ELi2EEvPfPK15HIP_vector_typeIfLj2EEiiiiS1_IjLj3EES5_S5_S5_
	.p2align	8
	.type	_ZL33flash_attn_stream_k_fixup_generalILi256ELi8ELi2EEvPfPK15HIP_vector_typeIfLj2EEiiiiS1_IjLj3EES5_S5_S5_,@function
_ZL33flash_attn_stream_k_fixup_generalILi256ELi8ELi2EEvPfPK15HIP_vector_typeIfLj2EEiiiiS1_IjLj3EES5_S5_S5_: ; @_ZL33flash_attn_stream_k_fixup_generalILi256ELi8ELi2EEvPfPK15HIP_vector_typeIfLj2EEiiiiS1_IjLj3EES5_S5_S5_
; %bb.0:
	s_load_dwordx4 s[8:11], s[0:1], 0x10
	s_load_dword s22, s[0:1], 0x50
	s_mov_b32 s12, 0
	s_waitcnt lgkmcnt(0)
	s_mul_hi_i32 s13, s11, s2
	s_cmp_lg_u64 s[12:13], 0
	s_mul_i32 s5, s11, s2
	s_cbranch_scc0 .LBB32_20
; %bb.1:
	s_add_u32 s6, s22, 0
	s_addc_u32 s7, 0, 0
	s_xor_b64 s[6:7], s[6:7], 0
	v_cvt_f32_u32_e32 v1, s6
	v_cvt_f32_u32_e32 v2, s7
	s_sub_u32 s12, 0, s6
	s_subb_u32 s18, 0, s7
	v_fmamk_f32 v1, v2, 0x4f800000, v1
	v_rcp_f32_e32 v1, v1
	s_nop 0
	v_mul_f32_e32 v1, 0x5f7ffffc, v1
	v_mul_f32_e32 v2, 0x2f800000, v1
	v_trunc_f32_e32 v2, v2
	v_fmamk_f32 v1, v2, 0xcf800000, v1
	v_cvt_u32_f32_e32 v2, v2
	v_cvt_u32_f32_e32 v1, v1
	v_readfirstlane_b32 s19, v2
	v_readfirstlane_b32 s14, v1
	s_mul_i32 s15, s12, s19
	s_mul_hi_u32 s21, s12, s14
	s_mul_i32 s20, s18, s14
	s_add_i32 s15, s21, s15
	s_add_i32 s15, s15, s20
	s_mul_i32 s23, s12, s14
	s_mul_i32 s21, s14, s15
	s_mul_hi_u32 s24, s14, s23
	s_mul_hi_u32 s20, s14, s15
	s_add_u32 s21, s24, s21
	s_addc_u32 s20, 0, s20
	s_mul_hi_u32 s25, s19, s23
	s_mul_i32 s23, s19, s23
	s_add_u32 s21, s21, s23
	s_mul_hi_u32 s24, s19, s15
	s_addc_u32 s20, s20, s25
	s_addc_u32 s21, s24, 0
	s_mul_i32 s15, s19, s15
	s_add_u32 s15, s20, s15
	s_addc_u32 s20, 0, s21
	s_add_u32 s21, s14, s15
	s_cselect_b64 s[14:15], -1, 0
	s_cmp_lg_u64 s[14:15], 0
	s_addc_u32 s19, s19, s20
	s_mul_i32 s14, s12, s19
	s_mul_hi_u32 s15, s12, s21
	s_add_i32 s14, s15, s14
	s_mul_i32 s18, s18, s21
	s_add_i32 s14, s14, s18
	s_mul_i32 s12, s12, s21
	s_mul_hi_u32 s18, s19, s12
	s_mul_i32 s20, s19, s12
	s_mul_i32 s24, s21, s14
	s_mul_hi_u32 s12, s21, s12
	s_mul_hi_u32 s23, s21, s14
	s_add_u32 s12, s12, s24
	s_addc_u32 s23, 0, s23
	s_add_u32 s12, s12, s20
	s_mul_hi_u32 s15, s19, s14
	s_addc_u32 s12, s23, s18
	s_addc_u32 s15, s15, 0
	s_mul_i32 s14, s19, s14
	s_add_u32 s12, s12, s14
	s_addc_u32 s18, 0, s15
	s_add_u32 s20, s21, s12
	s_cselect_b64 s[14:15], -1, 0
	s_cmp_lg_u64 s[14:15], 0
	s_addc_u32 s18, s19, s18
	s_ashr_i32 s14, s13, 31
	s_add_u32 s12, s5, s14
	s_mov_b32 s15, s14
	s_addc_u32 s13, s13, s14
	s_xor_b64 s[12:13], s[12:13], s[14:15]
	s_mul_i32 s21, s12, s18
	s_mul_hi_u32 s23, s12, s20
	s_mul_hi_u32 s19, s12, s18
	s_add_u32 s21, s23, s21
	s_addc_u32 s19, 0, s19
	s_mul_hi_u32 s24, s13, s20
	s_mul_i32 s20, s13, s20
	s_add_u32 s20, s21, s20
	s_mul_hi_u32 s23, s13, s18
	s_addc_u32 s19, s19, s24
	s_addc_u32 s20, s23, 0
	s_mul_i32 s18, s13, s18
	s_add_u32 s23, s19, s18
	s_addc_u32 s24, 0, s20
	s_mul_i32 s18, s6, s24
	s_mul_hi_u32 s19, s6, s23
	s_add_i32 s18, s19, s18
	s_mul_i32 s19, s7, s23
	s_add_i32 s25, s18, s19
	s_sub_i32 s20, s13, s25
	s_mul_i32 s18, s6, s23
	s_sub_u32 s12, s12, s18
	s_cselect_b64 s[18:19], -1, 0
	s_cmp_lg_u64 s[18:19], 0
	s_subb_u32 s26, s20, s7
	s_sub_u32 s27, s12, s6
	s_cselect_b64 s[20:21], -1, 0
	s_cmp_lg_u64 s[20:21], 0
	s_subb_u32 s20, s26, 0
	s_cmp_ge_u32 s20, s7
	s_cselect_b32 s21, -1, 0
	s_cmp_ge_u32 s27, s6
	s_cselect_b32 s26, -1, 0
	s_cmp_eq_u32 s20, s7
	s_cselect_b32 s20, s26, s21
	s_add_u32 s21, s23, 1
	s_addc_u32 s26, s24, 0
	s_add_u32 s27, s23, 2
	s_addc_u32 s28, s24, 0
	s_cmp_lg_u32 s20, 0
	s_cselect_b32 s20, s27, s21
	s_cselect_b32 s21, s28, s26
	s_cmp_lg_u64 s[18:19], 0
	s_subb_u32 s13, s13, s25
	s_cmp_ge_u32 s13, s7
	s_cselect_b32 s18, -1, 0
	s_cmp_ge_u32 s12, s6
	s_cselect_b32 s6, -1, 0
	s_cmp_eq_u32 s13, s7
	s_cselect_b32 s6, s6, s18
	s_cmp_lg_u32 s6, 0
	s_cselect_b32 s7, s21, s24
	s_cselect_b32 s6, s20, s23
	s_xor_b64 s[12:13], s[14:15], 0
	s_xor_b64 s[6:7], s[6:7], s[12:13]
	s_sub_u32 s6, s6, s12
	s_load_dwordx4 s[12:15], s[0:1], 0x44
	s_cbranch_execnz .LBB32_3
.LBB32_2:
	v_cvt_f32_u32_e32 v1, s22
	s_sub_i32 s6, 0, s22
	v_rcp_iflag_f32_e32 v1, v1
	s_nop 0
	v_mul_f32_e32 v1, 0x4f7ffffe, v1
	v_cvt_u32_f32_e32 v1, v1
	s_nop 0
	v_readfirstlane_b32 s7, v1
	s_mul_i32 s6, s6, s7
	s_mul_hi_u32 s6, s7, s6
	s_add_i32 s7, s7, s6
	s_mul_hi_u32 s6, s5, s7
	s_waitcnt lgkmcnt(0)
	s_mul_i32 s15, s6, s22
	s_sub_i32 s5, s5, s15
	s_add_i32 s7, s6, 1
	s_sub_i32 s15, s5, s22
	s_cmp_ge_u32 s5, s22
	s_cselect_b32 s6, s7, s6
	s_cselect_b32 s5, s15, s5
	s_add_i32 s7, s6, 1
	s_cmp_ge_u32 s5, s22
	s_cselect_b32 s6, s7, s6
.LBB32_3:
	s_add_i32 s5, s2, 1
	s_mul_hi_i32 s21, s11, s5
	s_mov_b32 s20, 0
	s_cmp_lg_u64 s[20:21], 0
	s_mul_i32 s5, s11, s5
	s_cbranch_scc0 .LBB32_21
; %bb.4:
	s_add_u32 s16, s22, 0
	s_addc_u32 s17, 0, 0
	s_xor_b64 s[18:19], s[16:17], 0
	v_cvt_f32_u32_e32 v1, s18
	v_cvt_f32_u32_e32 v2, s19
	s_sub_u32 s7, 0, s18
	s_waitcnt lgkmcnt(0)
	s_subb_u32 s15, 0, s19
	v_fmamk_f32 v1, v2, 0x4f800000, v1
	v_rcp_f32_e32 v1, v1
	s_nop 0
	v_mul_f32_e32 v1, 0x5f7ffffc, v1
	v_mul_f32_e32 v2, 0x2f800000, v1
	v_trunc_f32_e32 v2, v2
	v_fmamk_f32 v1, v2, 0xcf800000, v1
	v_cvt_u32_f32_e32 v2, v2
	v_cvt_u32_f32_e32 v1, v1
	v_readfirstlane_b32 s20, v2
	v_readfirstlane_b32 s23, v1
	s_mul_i32 s24, s7, s20
	s_mul_hi_u32 s26, s7, s23
	s_mul_i32 s25, s15, s23
	s_add_i32 s24, s26, s24
	s_add_i32 s24, s24, s25
	s_mul_i32 s27, s7, s23
	s_mul_i32 s26, s23, s24
	s_mul_hi_u32 s28, s23, s27
	s_mul_hi_u32 s25, s23, s24
	s_add_u32 s26, s28, s26
	s_addc_u32 s25, 0, s25
	s_mul_hi_u32 s29, s20, s27
	s_mul_i32 s27, s20, s27
	s_add_u32 s26, s26, s27
	s_mul_hi_u32 s28, s20, s24
	s_addc_u32 s25, s25, s29
	s_addc_u32 s26, s28, 0
	s_mul_i32 s24, s20, s24
	s_add_u32 s24, s25, s24
	s_addc_u32 s26, 0, s26
	s_add_u32 s23, s23, s24
	s_cselect_b64 s[24:25], -1, 0
	s_cmp_lg_u64 s[24:25], 0
	s_addc_u32 s20, s20, s26
	s_mul_i32 s24, s7, s20
	s_mul_hi_u32 s25, s7, s23
	s_add_i32 s24, s25, s24
	s_mul_i32 s15, s15, s23
	s_add_i32 s24, s24, s15
	s_mul_i32 s7, s7, s23
	s_mul_hi_u32 s25, s20, s7
	s_mul_i32 s26, s20, s7
	s_mul_i32 s28, s23, s24
	s_mul_hi_u32 s7, s23, s7
	s_mul_hi_u32 s27, s23, s24
	s_add_u32 s7, s7, s28
	s_addc_u32 s27, 0, s27
	s_add_u32 s7, s7, s26
	s_mul_hi_u32 s15, s20, s24
	s_addc_u32 s7, s27, s25
	s_addc_u32 s15, s15, 0
	s_mul_i32 s24, s20, s24
	s_add_u32 s7, s7, s24
	s_addc_u32 s15, 0, s15
	s_add_u32 s7, s23, s7
	s_cselect_b64 s[24:25], -1, 0
	s_cmp_lg_u64 s[24:25], 0
	s_addc_u32 s15, s20, s15
	s_ashr_i32 s24, s21, 31
	s_add_u32 s20, s5, s24
	s_mov_b32 s25, s24
	s_addc_u32 s21, s21, s24
	s_xor_b64 s[20:21], s[20:21], s[24:25]
	s_mul_i32 s26, s20, s15
	s_mul_hi_u32 s27, s20, s7
	s_mul_hi_u32 s23, s20, s15
	s_add_u32 s26, s27, s26
	s_addc_u32 s23, 0, s23
	s_mul_hi_u32 s28, s21, s7
	s_mul_i32 s7, s21, s7
	s_add_u32 s7, s26, s7
	s_mul_hi_u32 s27, s21, s15
	s_addc_u32 s7, s23, s28
	s_addc_u32 s23, s27, 0
	s_mul_i32 s15, s21, s15
	s_add_u32 s7, s7, s15
	s_addc_u32 s15, 0, s23
	s_mul_i32 s23, s18, s15
	s_mul_hi_u32 s26, s18, s7
	s_add_i32 s23, s26, s23
	s_mul_i32 s26, s19, s7
	s_add_i32 s23, s23, s26
	s_sub_i32 s28, s21, s23
	s_mul_i32 s26, s18, s7
	s_sub_u32 s20, s20, s26
	s_cselect_b64 s[26:27], -1, 0
	s_cmp_lg_u64 s[26:27], 0
	s_subb_u32 s30, s28, s19
	s_sub_u32 s31, s20, s18
	s_cselect_b64 s[28:29], -1, 0
	s_cmp_lg_u64 s[28:29], 0
	s_subb_u32 s28, s30, 0
	s_cmp_ge_u32 s28, s19
	s_cselect_b32 s29, -1, 0
	s_cmp_ge_u32 s31, s18
	s_cselect_b32 s30, -1, 0
	s_cmp_eq_u32 s28, s19
	s_cselect_b32 s28, s30, s29
	s_add_u32 s29, s7, 1
	s_addc_u32 s30, s15, 0
	s_add_u32 s31, s7, 2
	s_addc_u32 s33, s15, 0
	s_cmp_lg_u32 s28, 0
	s_cselect_b32 s28, s31, s29
	s_cselect_b32 s29, s33, s30
	s_cmp_lg_u64 s[26:27], 0
	s_subb_u32 s21, s21, s23
	s_cmp_ge_u32 s21, s19
	s_cselect_b32 s23, -1, 0
	s_cmp_ge_u32 s20, s18
	s_cselect_b32 s18, -1, 0
	s_cmp_eq_u32 s21, s19
	s_cselect_b32 s18, s18, s23
	s_cmp_lg_u32 s18, 0
	s_cselect_b32 s19, s29, s15
	s_cselect_b32 s18, s28, s7
	s_xor_b64 s[20:21], s[24:25], 0
	s_xor_b64 s[18:19], s[18:19], s[20:21]
	s_sub_u32 s18, s18, s20
	s_cbranch_execnz .LBB32_6
.LBB32_5:
	v_cvt_f32_u32_e32 v1, s22
	s_sub_i32 s7, 0, s22
	v_rcp_iflag_f32_e32 v1, v1
	s_nop 0
	v_mul_f32_e32 v1, 0x4f7ffffe, v1
	v_cvt_u32_f32_e32 v1, v1
	s_waitcnt lgkmcnt(0)
	v_readfirstlane_b32 s15, v1
	s_mul_i32 s7, s7, s15
	s_mul_hi_u32 s7, s15, s7
	s_add_i32 s15, s15, s7
	s_mul_hi_u32 s7, s5, s15
	s_mul_i32 s16, s7, s22
	s_sub_i32 s5, s5, s16
	s_add_i32 s15, s7, 1
	s_sub_i32 s16, s5, s22
	s_cmp_ge_u32 s5, s22
	s_cselect_b32 s7, s15, s7
	s_cselect_b32 s5, s16, s5
	s_add_i32 s15, s7, 1
	s_cmp_ge_u32 s5, s22
	s_cselect_b32 s18, s15, s7
.LBB32_6:
	s_cmp_eq_u32 s6, s18
	s_waitcnt lgkmcnt(0)
	s_mul_hi_u32 s5, s6, s12
	s_cselect_b64 s[16:17], -1, 0
	s_add_i32 s5, s5, s6
	s_lshr_b32 s7, s5, s13
	s_mul_i32 s5, s7, s14
	s_cmp_eq_u32 s5, s6
	s_mul_hi_u32 s5, s18, s12
	s_cselect_b64 s[20:21], -1, 0
	s_add_i32 s5, s5, s18
	s_lshr_b32 s5, s5, s13
	s_cmp_eq_u32 s7, s5
	s_mul_i32 s5, s5, s14
	s_cselect_b64 s[24:25], -1, 0
	s_cmp_lg_u32 s5, s18
	s_cselect_b64 s[18:19], -1, 0
	s_and_b64 s[18:19], s[24:25], s[18:19]
	s_or_b64 s[16:17], s[16:17], s[20:21]
	s_or_b64 s[16:17], s[16:17], s[18:19]
	s_and_b64 vcc, exec, s[16:17]
	s_cbranch_vccnz .LBB32_23
; %bb.7:
	s_load_dwordx8 s[24:31], s[0:1], 0x20
	s_load_dword s15, s[0:1], 0x40
	s_waitcnt lgkmcnt(0)
	s_mul_hi_u32 s5, s6, s24
	s_add_i32 s5, s5, s6
	s_lshr_b32 s5, s5, s25
	s_mul_i32 s16, s5, s26
	s_sub_i32 s16, s6, s16
	s_mul_hi_u32 s17, s16, s27
	s_add_i32 s17, s16, s17
	s_lshr_b32 s20, s17, s28
	s_mul_i32 s17, s20, s29
	s_sub_i32 s16, s16, s17
	;; [unrolled: 5-line block ×3, first 2 shown]
	s_mul_hi_u32 s16, s15, s12
	s_add_i32 s15, s15, s16
	s_lshr_b32 s23, s15, s13
	s_lshl_b32 s15, s23, 3
	s_lshl_b32 s21, s17, 1
	s_add_i32 s15, s15, s3
	s_cmp_lt_i32 s15, s8
	s_cselect_b64 s[16:17], -1, 0
	s_add_i32 s15, s21, s4
	s_cmp_lt_i32 s15, s10
	s_cselect_b64 s[18:19], -1, 0
	s_and_b64 s[16:17], s[16:17], s[18:19]
	s_andn2_b64 vcc, exec, s[16:17]
	s_cbranch_vccnz .LBB32_23
; %bb.8:
	s_load_dwordx4 s[16:19], s[0:1], 0x0
	s_mov_b32 s0, 0
	s_lshl_b32 s15, s3, 1
	s_lshl_b32 s24, s22, 6
	s_mov_b32 s25, s0
	s_add_i32 s15, s15, s4
	s_waitcnt lgkmcnt(0)
	v_mov_b32_e32 v2, s16
	v_mov_b32_e32 v3, s17
	s_lshl_b64 s[16:17], s[24:25], 2
	s_add_u32 s16, s18, s16
	s_mul_i32 s1, s5, s8
	s_addc_u32 s17, s19, s17
	s_add_i32 s1, s1, s3
	s_mul_i32 s1, s1, s9
	s_mul_i32 s20, s20, s10
	s_add_i32 s1, s1, s4
	s_add_i32 s1, s1, s20
	s_mul_i32 s5, s9, s23
	s_add_i32 s1, s1, s21
	s_lshl_b32 s5, s5, 11
	s_lshl_b32 s1, s1, 8
	s_add_i32 s5, s5, s1
	v_or_b32_e32 v4, s5, v0
	v_ashrrev_i32_e32 v5, 31, v4
	v_lshl_add_u64 v[2:3], v[4:5], 2, v[2:3]
	global_load_dword v1, v[2:3], off
	v_cvt_f32_u32_e32 v4, s22
	s_lshl_b32 s1, s2, 4
	s_add_i32 s4, s15, s1
	s_ashr_i32 s5, s4, 31
	s_lshl_b64 s[4:5], s[4:5], 3
	v_rcp_iflag_f32_e32 v4, v4
	s_add_u32 s4, s18, s4
	s_addc_u32 s5, s19, s5
	s_load_dwordx2 s[4:5], s[4:5], 0x0
	v_mul_f32_e32 v4, 0x4f7ffffe, v4
	v_cvt_u32_f32_e32 v7, v4
	s_add_i32 s24, s2, -1
	v_lshl_or_b32 v6, s15, 8, v0
	s_waitcnt lgkmcnt(0)
	v_mov_b32_e32 v0, s5
	v_mov_b32_e32 v9, s4
	s_mov_b32 s10, 0x3fb8aa3b
	s_mov_b32 s20, 0xc2ce8ed0
	;; [unrolled: 1-line block ×4, first 2 shown]
	v_mov_b32_e32 v8, 0x7f800000
	s_mul_hi_i32 s1, s24, s11
	s_cmp_lg_u64 s[0:1], 0
	s_mul_i32 s8, s24, s11
	s_cbranch_scc0 .LBB32_19
.LBB32_9:
	s_add_u32 s2, s22, 0
	s_addc_u32 s3, 0, 0
	s_xor_b64 s[2:3], s[2:3], 0
	v_cvt_f32_u32_e32 v4, s2
	v_cvt_f32_u32_e32 v5, s3
	s_sub_u32 s9, 0, s2
	s_subb_u32 s25, 0, s3
	v_fmac_f32_e32 v4, 0x4f800000, v5
	v_rcp_f32_e32 v4, v4
	s_nop 0
	v_mul_f32_e32 v4, 0x5f7ffffc, v4
	v_mul_f32_e32 v5, 0x2f800000, v4
	v_trunc_f32_e32 v5, v5
	v_fmac_f32_e32 v4, 0xcf800000, v5
	v_cvt_u32_f32_e32 v5, v5
	v_cvt_u32_f32_e32 v4, v4
	v_readfirstlane_b32 s26, v5
	v_readfirstlane_b32 s4, v4
	s_mul_i32 s5, s9, s26
	s_mul_hi_u32 s28, s9, s4
	s_mul_i32 s27, s25, s4
	s_add_i32 s5, s28, s5
	s_mul_i32 s29, s9, s4
	s_add_i32 s5, s5, s27
	s_mul_i32 s28, s4, s5
	s_mul_hi_u32 s30, s4, s29
	s_mul_hi_u32 s27, s4, s5
	s_add_u32 s28, s30, s28
	s_addc_u32 s27, 0, s27
	s_mul_hi_u32 s31, s26, s29
	s_mul_i32 s29, s26, s29
	s_add_u32 s28, s28, s29
	s_mul_hi_u32 s30, s26, s5
	s_addc_u32 s27, s27, s31
	s_addc_u32 s28, s30, 0
	s_mul_i32 s5, s26, s5
	s_add_u32 s5, s27, s5
	s_addc_u32 s27, 0, s28
	s_add_u32 s28, s4, s5
	s_cselect_b64 s[4:5], -1, 0
	s_cmp_lg_u64 s[4:5], 0
	s_addc_u32 s26, s26, s27
	s_mul_i32 s4, s9, s26
	s_mul_hi_u32 s5, s9, s28
	s_add_i32 s4, s5, s4
	s_mul_i32 s25, s25, s28
	s_add_i32 s4, s4, s25
	s_mul_i32 s9, s9, s28
	s_mul_hi_u32 s25, s26, s9
	s_mul_i32 s27, s26, s9
	s_mul_i32 s30, s28, s4
	s_mul_hi_u32 s9, s28, s9
	s_mul_hi_u32 s29, s28, s4
	s_add_u32 s9, s9, s30
	s_addc_u32 s29, 0, s29
	s_add_u32 s9, s9, s27
	s_mul_hi_u32 s5, s26, s4
	s_addc_u32 s9, s29, s25
	s_addc_u32 s5, s5, 0
	s_mul_i32 s4, s26, s4
	s_add_u32 s4, s9, s4
	s_addc_u32 s9, 0, s5
	s_add_u32 s25, s28, s4
	s_cselect_b64 s[4:5], -1, 0
	s_cmp_lg_u64 s[4:5], 0
	s_addc_u32 s9, s26, s9
	s_ashr_i32 s4, s1, 31
	s_add_u32 s26, s8, s4
	s_mov_b32 s5, s4
	s_addc_u32 s27, s1, s4
	s_xor_b64 s[26:27], s[26:27], s[4:5]
	s_mul_i32 s28, s26, s9
	s_mul_hi_u32 s29, s26, s25
	s_mul_hi_u32 s1, s26, s9
	s_add_u32 s28, s29, s28
	s_addc_u32 s1, 0, s1
	s_mul_hi_u32 s30, s27, s25
	s_mul_i32 s25, s27, s25
	s_add_u32 s25, s28, s25
	s_mul_hi_u32 s29, s27, s9
	s_addc_u32 s1, s1, s30
	s_addc_u32 s25, s29, 0
	s_mul_i32 s9, s27, s9
	s_add_u32 s1, s1, s9
	s_addc_u32 s9, 0, s25
	s_mul_i32 s25, s2, s9
	s_mul_hi_u32 s28, s2, s1
	s_add_i32 s25, s28, s25
	s_mul_i32 s28, s3, s1
	s_add_i32 s25, s25, s28
	s_sub_i32 s30, s27, s25
	s_mul_i32 s28, s2, s1
	s_sub_u32 s26, s26, s28
	s_cselect_b64 s[28:29], -1, 0
	s_cmp_lg_u64 s[28:29], 0
	s_subb_u32 s33, s30, s3
	s_sub_u32 s34, s26, s2
	s_cselect_b64 s[30:31], -1, 0
	s_cmp_lg_u64 s[30:31], 0
	s_subb_u32 s30, s33, 0
	s_cmp_ge_u32 s30, s3
	s_cselect_b32 s31, -1, 0
	s_cmp_ge_u32 s34, s2
	s_cselect_b32 s33, -1, 0
	s_cmp_eq_u32 s30, s3
	s_cselect_b32 s30, s33, s31
	s_add_u32 s31, s1, 1
	s_addc_u32 s33, s9, 0
	s_add_u32 s34, s1, 2
	s_addc_u32 s35, s9, 0
	s_cmp_lg_u32 s30, 0
	s_cselect_b32 s30, s34, s31
	s_cselect_b32 s31, s35, s33
	s_cmp_lg_u64 s[28:29], 0
	s_subb_u32 s25, s27, s25
	s_cmp_ge_u32 s25, s3
	s_cselect_b32 s27, -1, 0
	s_cmp_ge_u32 s26, s2
	s_cselect_b32 s2, -1, 0
	s_cmp_eq_u32 s25, s3
	s_cselect_b32 s2, s2, s27
	s_cmp_lg_u32 s2, 0
	s_cselect_b32 s3, s31, s9
	s_cselect_b32 s2, s30, s1
	s_xor_b64 s[4:5], s[4:5], 0
	s_xor_b64 s[2:3], s[2:3], s[4:5]
	s_sub_u32 s4, s2, s4
	s_cbranch_execnz .LBB32_11
.LBB32_10:
	s_sub_i32 s1, 0, s22
	v_readfirstlane_b32 s2, v7
	s_mul_i32 s1, s1, s2
	s_mul_hi_u32 s1, s2, s1
	s_add_i32 s2, s2, s1
	s_mul_hi_u32 s1, s8, s2
	s_mul_i32 s3, s1, s22
	s_sub_i32 s3, s8, s3
	s_add_i32 s2, s1, 1
	s_sub_i32 s4, s3, s22
	s_cmp_ge_u32 s3, s22
	s_cselect_b32 s1, s2, s1
	s_cselect_b32 s3, s4, s3
	s_add_i32 s2, s1, 1
	s_cmp_ge_u32 s3, s22
	s_cselect_b32 s4, s2, s1
.LBB32_11:
	s_cmp_lg_u32 s6, s4
	s_cbranch_scc0 .LBB32_15
; %bb.12:
	s_add_i32 s1, s24, s22
	s_lshl_b32 s1, s1, 4
	s_add_i32 s2, s1, s15
	s_mov_b32 s3, s0
	s_lshl_b64 s[2:3], s[2:3], 3
	s_add_u32 s8, s18, s2
	s_mul_hi_u32 s1, s4, s12
	s_addc_u32 s9, s19, s3
	s_add_i32 s1, s1, s4
	s_lshr_b32 s1, s1, s13
	s_mul_i32 s2, s1, s14
	s_cmp_eq_u32 s2, s4
	s_cselect_b64 s[2:3], -1, 0
	s_cmp_lt_u32 s1, s7
	s_cselect_b64 s[26:27], -1, 0
	s_or_b64 s[26:27], s[26:27], s[2:3]
	s_mov_b64 s[2:3], -1
	s_and_b64 vcc, exec, s[26:27]
	s_mov_b32 s1, s24
	s_mov_b32 s25, s6
	s_cbranch_vccnz .LBB32_14
; %bb.13:
	s_add_i32 s1, s24, -1
	s_mov_b64 s[2:3], 0
	s_mov_b32 s25, s4
.LBB32_14:
	v_lshl_add_u32 v4, s24, 12, v6
	v_ashrrev_i32_e32 v5, 31, v4
	v_lshl_add_u64 v[4:5], v[4:5], 2, s[16:17]
	global_load_dword v5, v[4:5], off
	s_load_dwordx2 s[4:5], s[8:9], 0x0
	v_max_f32_e32 v4, v9, v9
	s_waitcnt lgkmcnt(0)
	v_max_f32_e64 v10, s4, s4
	v_max_f32_e32 v10, v4, v10
	v_sub_f32_e32 v11, v9, v10
	v_sub_f32_e32 v13, s4, v10
	v_mul_f32_e32 v4, 0x3fb8aa3b, v11
	v_mul_f32_e32 v12, 0x3fb8aa3b, v13
	v_fma_f32 v14, v11, s10, -v4
	v_rndne_f32_e32 v15, v4
	v_fma_f32 v16, v13, s10, -v12
	v_rndne_f32_e32 v17, v12
	v_fmac_f32_e32 v14, 0x32a5705f, v11
	v_sub_f32_e32 v4, v4, v15
	v_fmac_f32_e32 v16, 0x32a5705f, v13
	v_sub_f32_e32 v12, v12, v17
	v_add_f32_e32 v4, v4, v14
	v_cvt_i32_f32_e32 v15, v15
	v_add_f32_e32 v12, v12, v16
	v_exp_f32_e32 v14, v4
	v_cvt_i32_f32_e32 v17, v17
	v_exp_f32_e32 v12, v12
	v_cmp_ngt_f32_e32 vcc, s20, v11
	v_ldexp_f32 v14, v14, v15
	v_mov_b32_e32 v4, s5
	v_ldexp_f32 v12, v12, v17
	v_cndmask_b32_e32 v14, 0, v14, vcc
	v_cmp_ngt_f32_e32 vcc, s20, v13
	s_nop 1
	v_cndmask_b32_e32 v12, 0, v12, vcc
	v_cmp_nlt_f32_e32 vcc, s21, v11
	s_nop 1
	v_cndmask_b32_e32 v14, v8, v14, vcc
	v_cmp_nlt_f32_e32 vcc, s21, v13
	s_nop 1
	v_cndmask_b32_e32 v15, v8, v12, vcc
	v_cmp_le_f32_e32 vcc, s23, v11
	s_nop 1
	v_cndmask_b32_e32 v12, 0, v14, vcc
	v_cmp_le_f32_e32 vcc, s23, v13
	s_nop 1
	v_cndmask_b32_e32 v14, 0, v15, vcc
	s_waitcnt vmcnt(0)
	v_pk_mul_f32 v[4:5], v[4:5], v[14:15] op_sel_hi:[1,0]
	s_nop 0
	v_pk_fma_f32 v[4:5], v[0:1], v[12:13], v[4:5] op_sel_hi:[1,0,1]
	s_cbranch_execz .LBB32_16
	s_branch .LBB32_17
.LBB32_15:
                                        ; implicit-def: $vgpr4_vgpr5
                                        ; implicit-def: $sgpr2_sgpr3
                                        ; implicit-def: $vgpr10
                                        ; implicit-def: $sgpr1
                                        ; implicit-def: $sgpr25
.LBB32_16:
	s_add_i32 s1, s24, -1
	s_mov_b64 s[2:3], 0
	s_mov_b32 s25, s6
	v_mov_b32_e32 v10, v9
	s_waitcnt vmcnt(0)
	v_mov_b64_e32 v[4:5], v[0:1]
.LBB32_17:
	s_andn2_b64 vcc, exec, s[2:3]
	s_cbranch_vccz .LBB32_22
; %bb.18:
	s_mov_b32 s6, s25
	s_mov_b32 s24, s1
	v_mov_b32_e32 v9, v10
	s_waitcnt vmcnt(0)
	v_mov_b64_e32 v[0:1], v[4:5]
	s_mul_hi_i32 s1, s24, s11
	s_cmp_lg_u64 s[0:1], 0
	s_mul_i32 s8, s24, s11
	s_cbranch_scc1 .LBB32_9
.LBB32_19:
                                        ; implicit-def: $sgpr4_sgpr5
	s_branch .LBB32_10
.LBB32_20:
                                        ; implicit-def: $sgpr6_sgpr7
	s_load_dwordx4 s[12:15], s[0:1], 0x44
	s_branch .LBB32_2
.LBB32_21:
                                        ; implicit-def: $sgpr18_sgpr19
	s_branch .LBB32_5
.LBB32_22:
	v_div_scale_f32 v0, s[0:1], v4, v4, v5
	s_waitcnt vmcnt(0)
	v_rcp_f32_e32 v1, v0
	v_div_scale_f32 v6, vcc, v5, v4, v5
	v_fma_f32 v7, -v0, v1, 1.0
	v_fmac_f32_e32 v1, v7, v1
	v_mul_f32_e32 v7, v6, v1
	v_fma_f32 v8, -v0, v7, v6
	v_fmac_f32_e32 v7, v8, v1
	v_fma_f32 v0, -v0, v7, v6
	v_div_fmas_f32 v0, v0, v1, v7
	v_div_fixup_f32 v0, v0, v4, v5
	global_store_dword v[2:3], v0, off
.LBB32_23:
	s_endpgm
	.section	.rodata,"a",@progbits
	.p2align	6, 0x0
	.amdhsa_kernel _ZL33flash_attn_stream_k_fixup_generalILi256ELi8ELi2EEvPfPK15HIP_vector_typeIfLj2EEiiiiS1_IjLj3EES5_S5_S5_
		.amdhsa_group_segment_fixed_size 0
		.amdhsa_private_segment_fixed_size 0
		.amdhsa_kernarg_size 336
		.amdhsa_user_sgpr_count 2
		.amdhsa_user_sgpr_dispatch_ptr 0
		.amdhsa_user_sgpr_queue_ptr 0
		.amdhsa_user_sgpr_kernarg_segment_ptr 1
		.amdhsa_user_sgpr_dispatch_id 0
		.amdhsa_user_sgpr_kernarg_preload_length 0
		.amdhsa_user_sgpr_kernarg_preload_offset 0
		.amdhsa_user_sgpr_private_segment_size 0
		.amdhsa_uses_dynamic_stack 0
		.amdhsa_enable_private_segment 0
		.amdhsa_system_sgpr_workgroup_id_x 1
		.amdhsa_system_sgpr_workgroup_id_y 1
		.amdhsa_system_sgpr_workgroup_id_z 1
		.amdhsa_system_sgpr_workgroup_info 0
		.amdhsa_system_vgpr_workitem_id 0
		.amdhsa_next_free_vgpr 18
		.amdhsa_next_free_sgpr 36
		.amdhsa_accum_offset 20
		.amdhsa_reserve_vcc 1
		.amdhsa_float_round_mode_32 0
		.amdhsa_float_round_mode_16_64 0
		.amdhsa_float_denorm_mode_32 3
		.amdhsa_float_denorm_mode_16_64 3
		.amdhsa_dx10_clamp 1
		.amdhsa_ieee_mode 1
		.amdhsa_fp16_overflow 0
		.amdhsa_tg_split 0
		.amdhsa_exception_fp_ieee_invalid_op 0
		.amdhsa_exception_fp_denorm_src 0
		.amdhsa_exception_fp_ieee_div_zero 0
		.amdhsa_exception_fp_ieee_overflow 0
		.amdhsa_exception_fp_ieee_underflow 0
		.amdhsa_exception_fp_ieee_inexact 0
		.amdhsa_exception_int_div_zero 0
	.end_amdhsa_kernel
	.section	.text._ZL33flash_attn_stream_k_fixup_generalILi256ELi8ELi2EEvPfPK15HIP_vector_typeIfLj2EEiiiiS1_IjLj3EES5_S5_S5_,"axG",@progbits,_ZL33flash_attn_stream_k_fixup_generalILi256ELi8ELi2EEvPfPK15HIP_vector_typeIfLj2EEiiiiS1_IjLj3EES5_S5_S5_,comdat
.Lfunc_end32:
	.size	_ZL33flash_attn_stream_k_fixup_generalILi256ELi8ELi2EEvPfPK15HIP_vector_typeIfLj2EEiiiiS1_IjLj3EES5_S5_S5_, .Lfunc_end32-_ZL33flash_attn_stream_k_fixup_generalILi256ELi8ELi2EEvPfPK15HIP_vector_typeIfLj2EEiiiiS1_IjLj3EES5_S5_S5_
                                        ; -- End function
	.set _ZL33flash_attn_stream_k_fixup_generalILi256ELi8ELi2EEvPfPK15HIP_vector_typeIfLj2EEiiiiS1_IjLj3EES5_S5_S5_.num_vgpr, 18
	.set _ZL33flash_attn_stream_k_fixup_generalILi256ELi8ELi2EEvPfPK15HIP_vector_typeIfLj2EEiiiiS1_IjLj3EES5_S5_S5_.num_agpr, 0
	.set _ZL33flash_attn_stream_k_fixup_generalILi256ELi8ELi2EEvPfPK15HIP_vector_typeIfLj2EEiiiiS1_IjLj3EES5_S5_S5_.numbered_sgpr, 36
	.set _ZL33flash_attn_stream_k_fixup_generalILi256ELi8ELi2EEvPfPK15HIP_vector_typeIfLj2EEiiiiS1_IjLj3EES5_S5_S5_.num_named_barrier, 0
	.set _ZL33flash_attn_stream_k_fixup_generalILi256ELi8ELi2EEvPfPK15HIP_vector_typeIfLj2EEiiiiS1_IjLj3EES5_S5_S5_.private_seg_size, 0
	.set _ZL33flash_attn_stream_k_fixup_generalILi256ELi8ELi2EEvPfPK15HIP_vector_typeIfLj2EEiiiiS1_IjLj3EES5_S5_S5_.uses_vcc, 1
	.set _ZL33flash_attn_stream_k_fixup_generalILi256ELi8ELi2EEvPfPK15HIP_vector_typeIfLj2EEiiiiS1_IjLj3EES5_S5_S5_.uses_flat_scratch, 0
	.set _ZL33flash_attn_stream_k_fixup_generalILi256ELi8ELi2EEvPfPK15HIP_vector_typeIfLj2EEiiiiS1_IjLj3EES5_S5_S5_.has_dyn_sized_stack, 0
	.set _ZL33flash_attn_stream_k_fixup_generalILi256ELi8ELi2EEvPfPK15HIP_vector_typeIfLj2EEiiiiS1_IjLj3EES5_S5_S5_.has_recursion, 0
	.set _ZL33flash_attn_stream_k_fixup_generalILi256ELi8ELi2EEvPfPK15HIP_vector_typeIfLj2EEiiiiS1_IjLj3EES5_S5_S5_.has_indirect_call, 0
	.section	.AMDGPU.csdata,"",@progbits
; Kernel info:
; codeLenInByte = 2940
; TotalNumSgprs: 42
; NumVgprs: 18
; NumAgprs: 0
; TotalNumVgprs: 18
; ScratchSize: 0
; MemoryBound: 0
; FloatMode: 240
; IeeeMode: 1
; LDSByteSize: 0 bytes/workgroup (compile time only)
; SGPRBlocks: 5
; VGPRBlocks: 2
; NumSGPRsForWavesPerEU: 42
; NumVGPRsForWavesPerEU: 18
; AccumOffset: 20
; Occupancy: 8
; WaveLimiterHint : 0
; COMPUTE_PGM_RSRC2:SCRATCH_EN: 0
; COMPUTE_PGM_RSRC2:USER_SGPR: 2
; COMPUTE_PGM_RSRC2:TRAP_HANDLER: 0
; COMPUTE_PGM_RSRC2:TGID_X_EN: 1
; COMPUTE_PGM_RSRC2:TGID_Y_EN: 1
; COMPUTE_PGM_RSRC2:TGID_Z_EN: 1
; COMPUTE_PGM_RSRC2:TIDIG_COMP_CNT: 0
; COMPUTE_PGM_RSRC3_GFX90A:ACCUM_OFFSET: 4
; COMPUTE_PGM_RSRC3_GFX90A:TG_SPLIT: 0
	.section	.text._ZL15flash_attn_tileILi256ELi256ELi4ELi2ELb0EEvPKcS1_S1_S1_S1_PKiPfP15HIP_vector_typeIfLj2EEffffjfiS5_IjLj3EEiiiiiiiiiiiliiliiiiil,"axG",@progbits,_ZL15flash_attn_tileILi256ELi256ELi4ELi2ELb0EEvPKcS1_S1_S1_S1_PKiPfP15HIP_vector_typeIfLj2EEffffjfiS5_IjLj3EEiiiiiiiiiiiliiliiiiil,comdat
	.globl	_ZL15flash_attn_tileILi256ELi256ELi4ELi2ELb0EEvPKcS1_S1_S1_S1_PKiPfP15HIP_vector_typeIfLj2EEffffjfiS5_IjLj3EEiiiiiiiiiiiliiliiiiil ; -- Begin function _ZL15flash_attn_tileILi256ELi256ELi4ELi2ELb0EEvPKcS1_S1_S1_S1_PKiPfP15HIP_vector_typeIfLj2EEffffjfiS5_IjLj3EEiiiiiiiiiiiliiliiiiil
	.p2align	8
	.type	_ZL15flash_attn_tileILi256ELi256ELi4ELi2ELb0EEvPKcS1_S1_S1_S1_PKiPfP15HIP_vector_typeIfLj2EEffffjfiS5_IjLj3EEiiiiiiiiiiiliiliiiiil,@function
_ZL15flash_attn_tileILi256ELi256ELi4ELi2ELb0EEvPKcS1_S1_S1_S1_PKiPfP15HIP_vector_typeIfLj2EEffffjfiS5_IjLj3EEiiiiiiiiiiiliiliiiiil: ; @_ZL15flash_attn_tileILi256ELi256ELi4ELi2ELb0EEvPKcS1_S1_S1_S1_PKiPfP15HIP_vector_typeIfLj2EEffffjfiS5_IjLj3EEiiiiiiiiiiiliiliiiiil
; %bb.0:
	s_load_dwordx4 s[20:23], s[0:1], 0x5c
	s_load_dwordx2 s[24:25], s[0:1], 0x80
	s_load_dwordx2 s[28:29], s[0:1], 0xb8
	s_mov_b64 s[26:27], 0
	s_waitcnt lgkmcnt(0)
	s_lshr_b32 s5, s23, 31
	s_add_i32 s5, s23, s5
	s_ashr_i32 s5, s5, 1
	v_cvt_f32_u32_e32 v1, s5
	s_sub_i32 s6, 0, s5
	v_rcp_iflag_f32_e32 v1, v1
	s_nop 0
	v_mul_f32_e32 v1, 0x4f7ffffe, v1
	v_cvt_u32_f32_e32 v1, v1
	s_nop 0
	v_readfirstlane_b32 s7, v1
	s_mul_i32 s6, s6, s7
	s_mul_hi_u32 s6, s7, s6
	s_add_i32 s7, s7, s6
	s_mul_hi_u32 s6, s4, s7
	s_mul_i32 s7, s6, s5
	s_sub_i32 s7, s4, s7
	s_add_i32 s8, s6, 1
	s_sub_i32 s9, s7, s5
	s_cmp_ge_u32 s7, s5
	s_cselect_b32 s6, s8, s6
	s_cselect_b32 s7, s9, s7
	s_add_i32 s8, s6, 1
	s_cmp_ge_u32 s7, s5
	s_cselect_b32 s30, s8, s6
	s_abs_i32 s5, s25
	v_cvt_f32_u32_e32 v1, s5
	s_lshl_b32 s4, s4, 1
	s_mul_i32 s8, s30, s23
	s_xor_b32 s6, s23, s25
	v_rcp_iflag_f32_e32 v1, v1
	s_sub_i32 s9, 0, s5
	s_sub_i32 s25, s4, s8
	s_abs_i32 s7, s23
	v_mul_f32_e32 v1, 0x4f7ffffe, v1
	v_cvt_u32_f32_e32 v1, v1
	s_ashr_i32 s6, s6, 31
	v_readfirstlane_b32 s4, v1
	s_mul_i32 s9, s9, s4
	s_mul_hi_u32 s8, s4, s9
	s_add_i32 s4, s4, s8
	s_mul_hi_u32 s4, s7, s4
	s_mul_i32 s8, s4, s5
	s_sub_i32 s7, s7, s8
	s_add_i32 s9, s4, 1
	s_sub_i32 s8, s7, s5
	s_cmp_ge_u32 s7, s5
	s_cselect_b32 s4, s9, s4
	s_cselect_b32 s7, s8, s7
	s_add_i32 s8, s4, 1
	s_cmp_ge_u32 s7, s5
	s_cselect_b32 s4, s8, s4
	s_xor_b32 s4, s4, s6
	s_sub_i32 s33, s4, s6
	s_abs_i32 s31, s33
	v_cvt_f32_u32_e32 v1, s31
	s_load_dwordx16 s[4:19], s[0:1], 0x0
	v_rcp_iflag_f32_e32 v1, v1
	s_waitcnt lgkmcnt(0)
	s_cmp_eq_u64 s[10:11], 0
	v_mul_f32_e32 v1, 0x4f7ffffe, v1
	v_cvt_u32_f32_e32 v1, v1
	s_nop 0
	v_readfirstlane_b32 s34, v1
	s_cbranch_scc1 .LBB33_2
; %bb.1:
	s_abs_i32 s28, s28
	v_cvt_f32_u32_e32 v1, s28
	s_sub_i32 s37, 0, s28
	s_abs_i32 s36, s30
	s_ashr_i32 s35, s30, 31
	v_rcp_iflag_f32_e32 v1, v1
	s_load_dwordx2 s[26:27], s[0:1], 0xc8
	v_mul_f32_e32 v1, 0x4f7ffffe, v1
	v_cvt_u32_f32_e32 v1, v1
	s_nop 0
	v_readfirstlane_b32 s38, v1
	s_mul_i32 s37, s37, s38
	s_mul_hi_u32 s37, s38, s37
	s_add_i32 s38, s38, s37
	s_mul_hi_u32 s37, s36, s38
	s_mul_i32 s37, s37, s28
	s_sub_i32 s36, s36, s37
	s_sub_i32 s37, s36, s28
	s_cmp_ge_u32 s36, s28
	s_cselect_b32 s36, s37, s36
	s_sub_i32 s37, s36, s28
	s_cmp_ge_u32 s36, s28
	s_cselect_b32 s28, s37, s36
	s_xor_b32 s28, s28, s35
	s_sub_i32 s28, s28, s35
	s_ashr_i32 s35, s28, 31
	s_waitcnt lgkmcnt(0)
	s_mul_hi_u32 s36, s26, s28
	s_mul_i32 s35, s26, s35
	s_mul_i32 s27, s27, s28
	s_add_i32 s35, s36, s35
	s_add_i32 s35, s35, s27
	s_mul_i32 s26, s26, s28
	s_add_u32 s26, s10, s26
	s_addc_u32 s27, s11, s35
.LBB33_2:
	s_load_dwordx4 s[36:39], s[0:1], 0x70
	v_lshrrev_b32_e32 v1, 10, v0
	v_bfe_u32 v1, v1, 1, 9
	v_lshl_add_u32 v42, s2, 2, v1
	v_mul_hi_u32 v1, s20, v42
	s_waitcnt lgkmcnt(0)
	s_mul_i32 s10, s30, s38
	s_ashr_i32 s28, s10, 31
	s_mul_i32 s11, s25, s37
	s_add_u32 s4, s4, s10
	s_addc_u32 s5, s5, s28
	s_ashr_i32 s10, s11, 31
	s_add_u32 s4, s4, s11
	v_add_u32_e32 v1, v42, v1
	s_addc_u32 s5, s5, s10
	s_ashr_i32 s11, s37, 31
	s_mov_b32 s10, s37
	v_lshrrev_b32_e32 v1, s21, v1
	v_bfe_u32 v3, v0, 10, 1
	s_lshr_b64 s[38:39], s[10:11], 2
	s_lshr_b32 s10, s11, 2
	v_mul_lo_u32 v1, v1, s22
	s_ashr_i32 s37, s36, 31
	v_mul_lo_u32 v5, s10, v3
	v_sub_u32_e32 v12, v42, v1
	s_lshr_b64 s[10:11], s[36:37], 2
	v_mad_u64_u32 v[6:7], s[10:11], s10, v12, 0
	v_mov_b32_e32 v2, v7
	s_lshr_b32 s10, s37, 2
	v_mul_lo_u32 v4, s38, v3
	v_mad_u64_u32 v[8:9], s[10:11], s10, v12, v[2:3]
	v_mov_b32_e32 v7, v8
	v_and_b32_e32 v2, 0x3ff, v0
	v_lshl_add_u64 v[4:5], v[4:5], 2, s[4:5]
	v_mov_b32_e32 v9, 0
	v_lshl_add_u64 v[4:5], v[6:7], 2, v[4:5]
	v_lshlrev_b32_e32 v8, 4, v2
	v_lshl_add_u64 v[14:15], v[4:5], 0, v[8:9]
	global_load_dwordx4 v[4:7], v[14:15], off
	global_load_dwordx4 v[8:11], v[14:15], off offset:512
	s_load_dword s4, s[0:1], 0x40
	v_bfe_u32 v0, v0, 10, 10
	v_lshlrev_b32_e32 v15, 9, v0
	v_lshlrev_b32_e32 v44, 3, v2
	v_add_u32_e32 v45, 0x4400, v15
	v_add_u32_e32 v1, v45, v44
	s_cmp_eq_u64 s[14:15], 0
	s_waitcnt vmcnt(1) lgkmcnt(0)
	v_fma_mixlo_f16 v4, s4, v4, 0
	v_fma_mixlo_f16 v5, s4, v5, 0
	;; [unrolled: 1-line block ×4, first 2 shown]
	s_waitcnt vmcnt(0)
	v_fma_mixlo_f16 v8, s4, v8, 0
	v_fma_mixlo_f16 v9, s4, v9, 0
	;; [unrolled: 1-line block ×4, first 2 shown]
	v_lshlrev_b32_e32 v5, 16, v5
	v_and_b32_e32 v4, 0xffff, v4
	v_lshlrev_b32_e32 v7, 16, v7
	v_and_b32_e32 v6, 0xffff, v6
	;; [unrolled: 2-line block ×4, first 2 shown]
	v_or_b32_e32 v4, v5, v4
	v_or3_b32 v5, v7, v6, 0
	v_or_b32_e32 v6, v9, v8
	v_or3_b32 v7, v11, v10, 0
	v_or3_b32 v4, 0, 0, v4
	;; [unrolled: 1-line block ×3, first 2 shown]
	ds_write2_b64 v1, v[4:5], v[6:7] offset1:32
	s_waitcnt lgkmcnt(0)
	s_barrier
	s_cbranch_scc1 .LBB33_4
; %bb.3:
	s_load_dword s4, s[0:1], 0xd0
	s_mov_b32 s5, 0
	s_waitcnt lgkmcnt(0)
	s_mul_i32 s4, s4, s30
	s_add_i32 s4, s4, s2
	s_lshl_b64 s[4:5], s[4:5], 2
	s_add_u32 s4, s14, s4
	s_addc_u32 s5, s15, s5
	s_load_dword s24, s[4:5], 0x0
.LBB33_4:
	s_lshl_b32 s2, s3, 6
	v_lshlrev_b32_e32 v43, 2, v2
	s_waitcnt lgkmcnt(0)
	s_cmp_lt_i32 s2, s24
	v_mbcnt_lo_u32_b32 v16, -1, 0
	s_cbranch_scc1 .LBB33_7
; %bb.5:
	v_mbcnt_hi_u32_b32 v13, -1, v16
	v_and_b32_e32 v1, 0x60, v13
	v_add_u32_e32 v46, 32, v1
	v_xor_b32_e32 v51, 16, v13
	v_xor_b32_e32 v50, 8, v13
	;; [unrolled: 1-line block ×5, first 2 shown]
	s_cbranch_execz .LBB33_8
; %bb.6:
	v_mov_b32_e32 v74, 0
	v_mov_b32_e32 v25, 0
	;; [unrolled: 1-line block ×6, first 2 shown]
	s_branch .LBB33_10
.LBB33_7:
                                        ; implicit-def: $vgpr13
                                        ; implicit-def: $vgpr46
                                        ; implicit-def: $vgpr51
                                        ; implicit-def: $vgpr50
                                        ; implicit-def: $vgpr49
                                        ; implicit-def: $vgpr48
                                        ; implicit-def: $vgpr47
.LBB33_8:
	s_sub_i32 s4, 0, s31
	s_mul_i32 s4, s4, s34
	s_mul_hi_u32 s4, s34, s4
	s_add_i32 s34, s34, s4
	s_load_dwordx2 s[4:5], s[0:1], 0x8c
	s_load_dwordx4 s[36:39], s[0:1], 0x98
	s_abs_i32 s14, s25
	s_mul_hi_u32 s15, s14, s34
	s_ashr_i32 s28, s25, 31
	s_waitcnt lgkmcnt(0)
	s_ashr_i32 s11, s4, 2
	s_ashr_i32 s4, s30, 31
	s_mul_hi_u32 s34, s36, s30
	s_mul_i32 s35, s36, s4
	s_add_i32 s34, s34, s35
	s_mul_i32 s35, s37, s30
	s_ashr_i32 s33, s33, 31
	s_ashr_i32 s10, s38, 2
	;; [unrolled: 1-line block ×3, first 2 shown]
	s_add_i32 s34, s34, s35
	s_mul_i32 s35, s36, s30
	s_add_u32 s6, s6, s35
	s_addc_u32 s7, s7, s34
	s_xor_b32 s28, s28, s33
	s_mul_i32 s33, s15, s31
	s_sub_i32 s14, s14, s33
	s_add_i32 s33, s15, 1
	s_sub_i32 s34, s14, s31
	s_cmp_ge_u32 s14, s31
	s_cselect_b32 s15, s33, s15
	s_cselect_b32 s14, s34, s14
	s_add_i32 s33, s15, 1
	s_cmp_ge_u32 s14, s31
	s_load_dwordx2 s[20:21], s[0:1], 0xa8
	s_cselect_b32 s14, s33, s15
	s_xor_b32 s14, s14, s28
	s_sub_i32 s28, s14, s28
	s_mul_i32 s5, s28, s5
	s_ashr_i32 s15, s5, 31
	s_add_u32 s14, s6, s5
	s_waitcnt lgkmcnt(0)
	s_mul_hi_u32 s5, s20, s30
	s_mul_i32 s4, s20, s4
	s_addc_u32 s15, s7, s15
	s_add_i32 s4, s5, s4
	s_mul_i32 s5, s21, s30
	s_add_i32 s4, s4, s5
	s_mul_i32 s5, s20, s30
	s_add_u32 s5, s8, s5
	s_mul_i32 s28, s28, s39
	s_addc_u32 s4, s9, s4
	s_ashr_i32 s6, s28, 31
	s_add_u32 s20, s5, s28
	v_lshrrev_b32_e32 v1, 4, v2
	v_and_b32_e32 v18, 60, v43
	s_addc_u32 s21, s4, s6
	v_lshl_add_u32 v4, v0, 1, v1
	v_lshlrev_b32_e32 v5, 2, v18
	s_movk_i32 s4, 0x110
	v_mad_u32_u24 v52, v4, s4, v5
	v_mul_lo_u32 v4, s11, v4
	s_lshl_b32 s4, s11, 4
	v_add_u32_e32 v6, s4, v4
	v_add_u32_e32 v8, s4, v6
	;; [unrolled: 1-line block ×3, first 2 shown]
	v_mad_u64_u32 v[12:13], s[4:5], v12, s29, v[2:3]
	v_mul_lo_u32 v20, s10, v0
	s_lshl_b32 s4, s10, 3
	v_add_u32_e32 v22, s4, v20
	v_mov_b32_e32 v13, 0x5400
	v_add_u32_e32 v26, s4, v22
	v_lshl_add_u32 v57, v0, 7, v13
	v_lshlrev_b32_e32 v14, 2, v43
	v_add_u32_e32 v28, s4, v26
	v_mbcnt_hi_u32_b32 v13, -1, v16
	v_mov_b32_e32 v1, 0
	v_add_u32_e32 v59, v15, v14
	v_ashrrev_i32_e32 v21, 31, v20
	v_lshl_add_u32 v0, v0, 9, v14
	v_ashrrev_i32_e32 v23, 31, v22
	v_ashrrev_i32_e32 v27, 31, v26
	;; [unrolled: 1-line block ×3, first 2 shown]
	s_add_u32 s8, s0, 0xd0
	v_and_b32_e32 v15, 0x60, v13
	v_ashrrev_i32_e32 v5, 31, v4
	v_add_u32_e32 v53, 0x1100, v52
	v_ashrrev_i32_e32 v7, 31, v6
	v_add_u32_e32 v54, 0x2200, v52
	;; [unrolled: 2-line block ×3, first 2 shown]
	v_ashrrev_i32_e32 v11, 31, v10
	v_mul_u32_u24_e32 v56, 0x110, v2
	v_lshl_add_u32 v58, v2, 1, v57
	v_add_u32_e32 v60, 0x1000, v0
	v_add_u32_e32 v61, 0x2000, v0
	;; [unrolled: 1-line block ×3, first 2 shown]
	s_addc_u32 s9, s1, 0
	v_mov_b32_e32 v24, 0xfeffffff
	v_lshlrev_b32_e32 v0, 2, v18
	v_add_u32_e32 v46, 32, v15
	v_xor_b32_e32 v51, 16, v13
	v_xor_b32_e32 v50, 8, v13
	;; [unrolled: 1-line block ×5, first 2 shown]
	s_mov_b32 s28, 0x3fb8aa3b
	s_mov_b32 s29, 0xc2ce8ed0
	;; [unrolled: 1-line block ×3, first 2 shown]
	v_mov_b32_e32 v63, 0x7f800000
	s_mov_b32 s33, 0x10001
	v_lshlrev_b64 v[16:17], 2, v[20:21]
	v_mov_b32_e32 v15, v1
	v_lshlrev_b64 v[18:19], 2, v[22:23]
	v_lshlrev_b64 v[20:21], 2, v[26:27]
	;; [unrolled: 1-line block ×3, first 2 shown]
	v_add_u32_e32 v64, 0x800, v44
	v_add_u32_e32 v65, 0x1000, v44
	;; [unrolled: 1-line block ×7, first 2 shown]
	v_mov_b32_e32 v71, v1
	v_mov_b32_e32 v72, v1
	;; [unrolled: 1-line block ×5, first 2 shown]
.LBB33_9:                               ; =>This Inner Loop Header: Depth=1
	v_cmp_lt_i32_e32 vcc, v51, v46
	s_mul_hi_i32 s5, s2, s11
	s_mul_i32 s4, s2, s11
	v_cndmask_b32_e32 v26, v13, v51, vcc
	v_cmp_lt_i32_e32 vcc, v50, v46
	s_lshl_b64 s[4:5], s[4:5], 2
	s_add_u32 s4, s14, s4
	v_cndmask_b32_e32 v27, v13, v50, vcc
	v_cmp_lt_i32_e32 vcc, v49, v46
	s_addc_u32 s5, s15, s5
	v_lshlrev_b32_e32 v83, 2, v26
	v_cndmask_b32_e32 v28, v13, v49, vcc
	v_cmp_lt_i32_e32 vcc, v48, v46
	v_lshlrev_b32_e32 v82, 2, v27
	v_lshl_add_u64 v[26:27], v[4:5], 2, s[4:5]
	v_cndmask_b32_e32 v29, v13, v48, vcc
	v_cmp_lt_i32_e32 vcc, v47, v46
	v_lshlrev_b32_e32 v81, 2, v28
	v_lshlrev_b32_e32 v80, 2, v29
	v_cndmask_b32_e32 v30, v13, v47, vcc
	v_lshlrev_b32_e32 v79, 2, v30
	v_lshl_add_u64 v[28:29], v[6:7], 2, s[4:5]
	v_lshl_add_u64 v[30:31], v[8:9], 2, s[4:5]
	;; [unrolled: 1-line block ×7, first 2 shown]
	global_load_dwordx4 v[26:29], v[38:39], off
	global_load_dwordx4 v[30:33], v[40:41], off
	;; [unrolled: 1-line block ×4, first 2 shown]
	v_mov_b32_e32 v75, 0
	v_mov_b32_e32 v76, 0
	;; [unrolled: 1-line block ×3, first 2 shown]
	v_add_u32_e32 v24, s2, v12
	v_mov_b32_e32 v78, v25
	v_ashrrev_i32_e32 v25, 31, v24
	v_lshl_add_u64 v[24:25], v[24:25], 1, s[26:27]
	s_mul_hi_i32 s7, s2, s10
	s_mul_i32 s6, s2, s10
	s_lshl_b64 s[6:7], s[6:7], 2
	s_add_u32 s4, s20, s6
	s_addc_u32 s5, s21, s7
	s_or_b32 s6, s2, 32
	v_lshl_add_u64 v[92:93], s[4:5], 0, v[16:17]
	v_lshl_add_u64 v[94:95], s[4:5], 0, v[18:19]
	;; [unrolled: 1-line block ×3, first 2 shown]
	s_waitcnt vmcnt(3)
	ds_write_b128 v52, v[26:29]
	s_waitcnt vmcnt(2)
	ds_write_b128 v53, v[30:33]
	;; [unrolled: 2-line block ×4, first 2 shown]
	s_waitcnt lgkmcnt(0)
	s_barrier
	ds_read_b128 v[26:29], v56
	ds_read_b128 v[30:33], v45
	ds_read_b128 v[84:87], v56 offset:8704
	s_waitcnt lgkmcnt(1)
	;;#ASMSTART
	v_dot2_f32_f16 v75, v26, v30, v75
	;;#ASMEND
	s_nop 0
	;;#ASMSTART
	v_dot2_f32_f16 v75, v27, v31, v75
	;;#ASMEND
	s_nop 0
	;;#ASMSTART
	v_dot2_f32_f16 v75, v28, v32, v75
	;;#ASMEND
	s_nop 0
	;;#ASMSTART
	v_dot2_f32_f16 v75, v29, v33, v75
	;;#ASMEND
	s_waitcnt lgkmcnt(0)
	;;#ASMSTART
	v_dot2_f32_f16 v76, v84, v30, v76
	;;#ASMEND
	s_nop 0
	;;#ASMSTART
	v_dot2_f32_f16 v76, v85, v31, v76
	;;#ASMEND
	s_nop 0
	;;#ASMSTART
	v_dot2_f32_f16 v76, v86, v32, v76
	;;#ASMEND
	s_nop 0
	;;#ASMSTART
	v_dot2_f32_f16 v76, v87, v33, v76
	;;#ASMEND
	ds_read_b128 v[26:29], v56 offset:16
	ds_read_b128 v[30:33], v45 offset:16
	ds_read_b128 v[84:87], v56 offset:8720
	s_waitcnt lgkmcnt(1)
	;;#ASMSTART
	v_dot2_f32_f16 v75, v26, v30, v75
	;;#ASMEND
	s_nop 0
	;;#ASMSTART
	v_dot2_f32_f16 v75, v27, v31, v75
	;;#ASMEND
	s_nop 0
	;;#ASMSTART
	v_dot2_f32_f16 v75, v28, v32, v75
	;;#ASMEND
	s_nop 0
	;;#ASMSTART
	v_dot2_f32_f16 v75, v29, v33, v75
	;;#ASMEND
	s_waitcnt lgkmcnt(0)
	;;#ASMSTART
	v_dot2_f32_f16 v76, v84, v30, v76
	;;#ASMEND
	s_nop 0
	;;#ASMSTART
	v_dot2_f32_f16 v76, v85, v31, v76
	;;#ASMEND
	s_nop 0
	;;#ASMSTART
	v_dot2_f32_f16 v76, v86, v32, v76
	;;#ASMEND
	s_nop 0
	;;#ASMSTART
	v_dot2_f32_f16 v76, v87, v33, v76
	;;#ASMEND
	ds_read_b128 v[26:29], v56 offset:32
	ds_read_b128 v[30:33], v45 offset:32
	;; [unrolled: 35-line block ×14, first 2 shown]
	ds_read_b128 v[84:87], v56 offset:8928
	s_waitcnt lgkmcnt(1)
	;;#ASMSTART
	v_dot2_f32_f16 v75, v26, v30, v75
	;;#ASMEND
	s_nop 0
	;;#ASMSTART
	v_dot2_f32_f16 v75, v27, v31, v75
	;;#ASMEND
	s_nop 0
	;; [unrolled: 4-line block ×3, first 2 shown]
	;;#ASMSTART
	v_dot2_f32_f16 v75, v29, v33, v75
	;;#ASMEND
	s_waitcnt lgkmcnt(0)
	;;#ASMSTART
	v_dot2_f32_f16 v76, v84, v30, v76
	;;#ASMEND
	s_nop 0
	;;#ASMSTART
	v_dot2_f32_f16 v76, v85, v31, v76
	;;#ASMEND
	v_lshl_add_u64 v[30:31], v[96:97], 0, v[14:15]
	;;#ASMSTART
	v_dot2_f32_f16 v76, v86, v32, v76
	;;#ASMEND
	s_nop 0
	;;#ASMSTART
	v_dot2_f32_f16 v76, v87, v33, v76
	;;#ASMEND
	ds_read_b128 v[26:29], v56 offset:240
	ds_read_b128 v[84:87], v45 offset:240
	;; [unrolled: 1-line block ×3, first 2 shown]
	s_waitcnt lgkmcnt(1)
	;;#ASMSTART
	v_dot2_f32_f16 v75, v26, v84, v75
	;;#ASMEND
	s_nop 0
	;;#ASMSTART
	v_dot2_f32_f16 v75, v27, v85, v75
	;;#ASMEND
	v_lshl_add_u64 v[32:33], s[4:5], 0, v[22:23]
	;;#ASMSTART
	v_dot2_f32_f16 v75, v28, v86, v75
	;;#ASMEND
	s_mul_hi_i32 s5, s6, s10
	;;#ASMSTART
	v_dot2_f32_f16 v75, v29, v87, v75
	;;#ASMEND
	s_waitcnt lgkmcnt(0)
	;;#ASMSTART
	v_dot2_f32_f16 v76, v88, v84, v76
	;;#ASMEND
	s_mul_i32 s4, s6, s10
	;;#ASMSTART
	v_dot2_f32_f16 v76, v89, v85, v76
	;;#ASMEND
	s_lshl_b64 s[4:5], s[4:5], 2
	;;#ASMSTART
	v_dot2_f32_f16 v76, v90, v86, v76
	;;#ASMEND
	s_add_u32 s4, s20, s4
	;;#ASMSTART
	v_dot2_f32_f16 v76, v91, v87, v76
	;;#ASMEND
	s_barrier
	global_load_dwordx4 v[84:87], v[38:39], off offset:256
	global_load_dwordx4 v[88:91], v[40:41], off offset:256
	s_addc_u32 s5, s21, s5
	v_lshl_add_u64 v[28:29], v[92:93], 0, v[14:15]
	v_lshl_add_u64 v[26:27], v[94:95], 0, v[14:15]
	;; [unrolled: 1-line block ×6, first 2 shown]
	s_waitcnt vmcnt(1)
	ds_write_b128 v52, v[84:87]
	global_load_dwordx4 v[38:41], v[34:35], off offset:256
	global_load_dwordx4 v[84:87], v[36:37], off offset:256
	s_waitcnt vmcnt(2)
	ds_write_b128 v53, v[88:91]
	s_waitcnt vmcnt(1)
	ds_write_b128 v54, v[38:41]
	;; [unrolled: 2-line block ×3, first 2 shown]
	s_waitcnt lgkmcnt(0)
	s_barrier
	ds_read_b128 v[34:37], v56
	ds_read_b128 v[38:41], v45 offset:256
	ds_read_b128 v[84:87], v56 offset:8704
	s_waitcnt lgkmcnt(1)
	;;#ASMSTART
	v_dot2_f32_f16 v75, v34, v38, v75
	;;#ASMEND
	s_nop 0
	;;#ASMSTART
	v_dot2_f32_f16 v75, v35, v39, v75
	;;#ASMEND
	s_nop 0
	;;#ASMSTART
	v_dot2_f32_f16 v75, v36, v40, v75
	;;#ASMEND
	s_nop 0
	;;#ASMSTART
	v_dot2_f32_f16 v75, v37, v41, v75
	;;#ASMEND
	s_waitcnt lgkmcnt(0)
	;;#ASMSTART
	v_dot2_f32_f16 v76, v84, v38, v76
	;;#ASMEND
	s_nop 0
	;;#ASMSTART
	v_dot2_f32_f16 v76, v85, v39, v76
	;;#ASMEND
	s_nop 0
	;;#ASMSTART
	v_dot2_f32_f16 v76, v86, v40, v76
	;;#ASMEND
	s_nop 0
	;;#ASMSTART
	v_dot2_f32_f16 v76, v87, v41, v76
	;;#ASMEND
	ds_read_b128 v[34:37], v56 offset:16
	ds_read_b128 v[38:41], v45 offset:272
	ds_read_b128 v[84:87], v56 offset:8720
	s_waitcnt lgkmcnt(1)
	;;#ASMSTART
	v_dot2_f32_f16 v75, v34, v38, v75
	;;#ASMEND
	s_nop 0
	;;#ASMSTART
	v_dot2_f32_f16 v75, v35, v39, v75
	;;#ASMEND
	s_nop 0
	;;#ASMSTART
	v_dot2_f32_f16 v75, v36, v40, v75
	;;#ASMEND
	s_nop 0
	;;#ASMSTART
	v_dot2_f32_f16 v75, v37, v41, v75
	;;#ASMEND
	s_waitcnt lgkmcnt(0)
	;;#ASMSTART
	v_dot2_f32_f16 v76, v84, v38, v76
	;;#ASMEND
	s_nop 0
	;;#ASMSTART
	v_dot2_f32_f16 v76, v85, v39, v76
	;;#ASMEND
	s_nop 0
	;;#ASMSTART
	v_dot2_f32_f16 v76, v86, v40, v76
	;;#ASMEND
	s_nop 0
	;;#ASMSTART
	v_dot2_f32_f16 v76, v87, v41, v76
	;;#ASMEND
	ds_read_b128 v[34:37], v56 offset:32
	;; [unrolled: 35-line block ×14, first 2 shown]
	ds_read_b128 v[38:41], v45 offset:480
	ds_read_b128 v[84:87], v56 offset:8928
	s_waitcnt lgkmcnt(1)
	;;#ASMSTART
	v_dot2_f32_f16 v75, v34, v38, v75
	;;#ASMEND
	s_nop 0
	;;#ASMSTART
	v_dot2_f32_f16 v75, v35, v39, v75
	;;#ASMEND
	s_nop 0
	;; [unrolled: 4-line block ×3, first 2 shown]
	;;#ASMSTART
	v_dot2_f32_f16 v75, v37, v41, v75
	;;#ASMEND
	s_waitcnt lgkmcnt(0)
	;;#ASMSTART
	v_dot2_f32_f16 v76, v84, v38, v76
	;;#ASMEND
	s_nop 0
	;;#ASMSTART
	v_dot2_f32_f16 v76, v85, v39, v76
	;;#ASMEND
	v_lshl_add_u64 v[38:39], v[96:97], 0, v[14:15]
	;;#ASMSTART
	v_dot2_f32_f16 v76, v86, v40, v76
	;;#ASMEND
	s_nop 0
	;;#ASMSTART
	v_dot2_f32_f16 v76, v87, v41, v76
	;;#ASMEND
	ds_read_b128 v[34:37], v56 offset:240
	ds_read_b128 v[84:87], v45 offset:496
	ds_read_b128 v[88:91], v56 offset:8944
	s_waitcnt lgkmcnt(1)
	;;#ASMSTART
	v_dot2_f32_f16 v75, v34, v84, v75
	;;#ASMEND
	s_nop 0
	;;#ASMSTART
	v_dot2_f32_f16 v75, v35, v85, v75
	;;#ASMEND
	v_lshl_add_u64 v[40:41], v[92:93], 0, v[14:15]
	;;#ASMSTART
	v_dot2_f32_f16 v75, v36, v86, v75
	;;#ASMEND
	v_lshl_add_u64 v[34:35], s[4:5], 0, v[22:23]
	;;#ASMSTART
	v_dot2_f32_f16 v75, v37, v87, v75
	;;#ASMEND
	s_waitcnt lgkmcnt(0)
	;;#ASMSTART
	v_dot2_f32_f16 v76, v88, v84, v76
	;;#ASMEND
	v_lshl_add_u64 v[36:37], v[94:95], 0, v[14:15]
	;;#ASMSTART
	v_dot2_f32_f16 v76, v89, v85, v76
	;;#ASMEND
	v_lshl_add_u64 v[34:35], v[34:35], 0, v[14:15]
	;;#ASMSTART
	v_dot2_f32_f16 v76, v90, v86, v76
	;;#ASMEND
	s_nop 0
	;;#ASMSTART
	v_dot2_f32_f16 v76, v91, v87, v76
	;;#ASMEND
	global_load_ushort v100, v[24:25], off
	global_load_ushort v101, v[24:25], off offset:64
	s_barrier
	global_load_dwordx4 v[84:87], v[28:29], off
	global_load_dwordx4 v[88:91], v[26:27], off
	;; [unrolled: 1-line block ×4, first 2 shown]
	s_waitcnt vmcnt(5)
	v_cvt_f32_f16_e32 v24, v100
	s_waitcnt vmcnt(4)
	v_cvt_f32_f16_e32 v25, v101
	v_add_f32_e32 v26, v75, v24
	v_add_f32_e32 v25, v76, v25
	;; [unrolled: 1-line block ×4, first 2 shown]
	v_max3_f32 v24, v77, v24, v27
	ds_bpermute_b32 v27, v83, v24
	s_waitcnt lgkmcnt(0)
	v_max_f32_e32 v27, v27, v27
	v_max_f32_e32 v24, v24, v27
	ds_bpermute_b32 v27, v82, v24
	s_waitcnt lgkmcnt(0)
	v_max_f32_e32 v27, v27, v27
	v_max_f32_e32 v24, v24, v27
	;; [unrolled: 4-line block ×5, first 2 shown]
	v_sub_f32_e32 v26, v26, v24
	v_mul_f32_e32 v28, 0x3fb8aa3b, v26
	v_sub_f32_e32 v25, v25, v24
	v_sub_f32_e32 v27, v77, v24
	v_fma_f32 v31, v26, s28, -v28
	v_rndne_f32_e32 v33, v28
	v_mul_f32_e32 v29, 0x3fb8aa3b, v25
	v_mul_f32_e32 v30, 0x3fb8aa3b, v27
	v_fmac_f32_e32 v31, 0x32a5705f, v26
	v_sub_f32_e32 v28, v28, v33
	v_fma_f32 v32, v25, s28, -v29
	v_rndne_f32_e32 v75, v29
	v_fma_f32 v76, v27, s28, -v30
	v_add_f32_e32 v28, v28, v31
	v_rndne_f32_e32 v31, v30
	v_fmac_f32_e32 v32, 0x32a5705f, v25
	v_sub_f32_e32 v29, v29, v75
	v_fmac_f32_e32 v76, 0x32a5705f, v27
	v_sub_f32_e32 v30, v30, v31
	v_add_f32_e32 v29, v29, v32
	v_add_f32_e32 v30, v30, v76
	v_cvt_i32_f32_e32 v33, v33
	v_cvt_i32_f32_e32 v75, v75
	;; [unrolled: 1-line block ×3, first 2 shown]
	v_exp_f32_e32 v28, v28
	v_exp_f32_e32 v29, v29
	;; [unrolled: 1-line block ×3, first 2 shown]
	v_cmp_ngt_f32_e32 vcc, s29, v26
	v_ldexp_f32 v28, v28, v33
	v_ldexp_f32 v29, v29, v75
	v_ldexp_f32 v30, v30, v31
	v_cmp_ngt_f32_e64 s[4:5], s29, v27
	v_cmp_ngt_f32_e64 s[6:7], s29, v25
	s_nop 1
	v_cndmask_b32_e64 v29, 0, v29, s[6:7]
	v_cmp_nlt_f32_e64 s[6:7], s31, v25
	v_cndmask_b32_e32 v25, 0, v28, vcc
	v_cndmask_b32_e64 v28, 0, v30, s[4:5]
	v_cmp_nlt_f32_e64 s[4:5], s31, v26
	v_cmp_nlt_f32_e32 vcc, s31, v27
	v_cndmask_b32_e64 v26, v63, v29, s[6:7]
	v_cndmask_b32_e64 v25, v63, v25, s[4:5]
	v_cndmask_b32_e32 v27, v63, v28, vcc
	v_cvt_f16_f32_e32 v28, v25
	v_cvt_f16_f32_e32 v29, v26
	v_cvt_f16_f32_e32 v75, v27
	v_add_f32_e32 v25, v25, v26
	v_fmac_f32_e32 v25, v78, v27
	ds_write_b16 v58, v28
	ds_write_b16 v58, v29 offset:64
	s_waitcnt vmcnt(3)
	ds_write_b128 v59, v[84:87]
	s_waitcnt vmcnt(2)
	ds_write_b128 v60, v[88:91]
	s_waitcnt vmcnt(1)
	ds_write_b128 v61, v[92:95]
	s_waitcnt vmcnt(0)
	ds_write_b128 v62, v[96:99]
	s_waitcnt lgkmcnt(0)
	s_barrier
	ds_read_b128 v[26:29], v57
	ds_read2_b64 v[30:33], v44 offset1:32
	v_mul_u32_u24_e32 v75, 0x10001, v75
	v_pk_mul_f16 v72, v72, v75
	v_pk_mul_f16 v71, v71, v75
	s_waitcnt lgkmcnt(1)
	v_mul_u32_u24_sdwa v92, v26, s33 dst_sel:DWORD dst_unused:UNUSED_PAD src0_sel:WORD_0 src1_sel:DWORD
	ds_read2_b64 v[76:79], v44 offset0:64 offset1:96
	ds_read2_b64 v[80:83], v44 offset0:128 offset1:160
	;; [unrolled: 1-line block ×3, first 2 shown]
	ds_read_b128 v[88:91], v57 offset:16
	s_waitcnt lgkmcnt(4)
	v_pk_fma_f16 v72, v32, v92, v72
	v_pk_fma_f16 v71, v33, v92, v71
	v_pk_mul_f16 v93, v30, v92
	v_pk_mul_f16 v92, v31, v92
	ds_read2_b64 v[30:33], v64 offset1:32
	v_pk_fma_f16 v74, v74, v75, v93
	v_mul_u32_u24_sdwa v26, v26, s33 dst_sel:DWORD dst_unused:UNUSED_PAD src0_sel:WORD_1 src1_sel:DWORD
	v_pk_fma_f16 v73, v73, v75, v92
	s_waitcnt lgkmcnt(4)
	v_pk_fma_f16 v78, v78, v26, v72
	v_pk_fma_f16 v71, v79, v26, v71
	;; [unrolled: 1-line block ×4, first 2 shown]
	ds_read2_b64 v[72:75], v64 offset0:64 offset1:96
	v_mul_u32_u24_sdwa v77, v27, s33 dst_sel:DWORD dst_unused:UNUSED_PAD src0_sel:WORD_0 src1_sel:DWORD
	s_waitcnt lgkmcnt(4)
	v_pk_fma_f16 v82, v82, v77, v78
	v_pk_fma_f16 v71, v83, v77, v71
	;; [unrolled: 1-line block ×4, first 2 shown]
	ds_read2_b64 v[76:79], v64 offset0:128 offset1:160
	v_mul_u32_u24_sdwa v27, v27, s33 dst_sel:DWORD dst_unused:UNUSED_PAD src0_sel:WORD_1 src1_sel:DWORD
	s_waitcnt lgkmcnt(4)
	v_pk_fma_f16 v86, v86, v27, v82
	v_pk_fma_f16 v71, v87, v27, v71
	;; [unrolled: 1-line block ×4, first 2 shown]
	ds_read2_b64 v[80:83], v64 offset0:192 offset1:224
	v_mul_u32_u24_sdwa v27, v28, s33 dst_sel:DWORD dst_unused:UNUSED_PAD src0_sel:WORD_0 src1_sel:DWORD
	s_waitcnt lgkmcnt(3)
	v_pk_fma_f16 v85, v32, v27, v86
	v_pk_fma_f16 v71, v33, v27, v71
	;; [unrolled: 1-line block ×4, first 2 shown]
	ds_read2_b64 v[30:33], v65 offset1:32
	v_mul_u32_u24_sdwa v87, v28, s33 dst_sel:DWORD dst_unused:UNUSED_PAD src0_sel:WORD_1 src1_sel:DWORD
	v_mul_u32_u24_sdwa v92, v29, s33 dst_sel:DWORD dst_unused:UNUSED_PAD src0_sel:WORD_0 src1_sel:DWORD
	v_mul_u32_u24_sdwa v93, v29, s33 dst_sel:DWORD dst_unused:UNUSED_PAD src0_sel:WORD_1 src1_sel:DWORD
	ds_read2_b64 v[26:29], v65 offset0:64 offset1:96
	s_waitcnt lgkmcnt(4)
	v_pk_fma_f16 v85, v74, v87, v85
	v_pk_fma_f16 v71, v75, v87, v71
	v_pk_fma_f16 v84, v72, v87, v84
	v_pk_fma_f16 v86, v73, v87, v86
	ds_read2_b64 v[72:75], v65 offset0:128 offset1:160
	s_waitcnt lgkmcnt(4)
	v_pk_fma_f16 v85, v78, v92, v85
	v_pk_fma_f16 v71, v79, v92, v71
	v_pk_fma_f16 v84, v76, v92, v84
	v_pk_fma_f16 v86, v77, v92, v86
	;; [unrolled: 6-line block ×3, first 2 shown]
	ds_read2_b64 v[80:83], v66 offset1:32
	v_mul_u32_u24_sdwa v87, v88, s33 dst_sel:DWORD dst_unused:UNUSED_PAD src0_sel:WORD_0 src1_sel:DWORD
	s_waitcnt lgkmcnt(4)
	v_pk_fma_f16 v85, v32, v87, v85
	v_pk_fma_f16 v71, v33, v87, v71
	;; [unrolled: 1-line block ×4, first 2 shown]
	v_mul_u32_u24_sdwa v87, v88, s33 dst_sel:DWORD dst_unused:UNUSED_PAD src0_sel:WORD_1 src1_sel:DWORD
	ds_read2_b64 v[30:33], v66 offset0:64 offset1:96
	s_waitcnt lgkmcnt(4)
	v_pk_fma_f16 v85, v28, v87, v85
	v_pk_fma_f16 v71, v29, v87, v71
	;; [unrolled: 1-line block ×4, first 2 shown]
	v_mul_u32_u24_sdwa v87, v89, s33 dst_sel:DWORD dst_unused:UNUSED_PAD src0_sel:WORD_0 src1_sel:DWORD
	ds_read2_b64 v[26:29], v66 offset0:128 offset1:160
	s_waitcnt lgkmcnt(4)
	v_pk_fma_f16 v85, v74, v87, v85
	v_pk_fma_f16 v71, v75, v87, v71
	;; [unrolled: 1-line block ×4, first 2 shown]
	v_mul_u32_u24_sdwa v87, v89, s33 dst_sel:DWORD dst_unused:UNUSED_PAD src0_sel:WORD_1 src1_sel:DWORD
	ds_read2_b64 v[72:75], v66 offset0:192 offset1:224
	s_waitcnt lgkmcnt(4)
	v_pk_fma_f16 v85, v78, v87, v85
	v_pk_fma_f16 v71, v79, v87, v71
	;; [unrolled: 1-line block ×4, first 2 shown]
	ds_read_b128 v[76:79], v57 offset:32
	v_mul_u32_u24_sdwa v87, v90, s33 dst_sel:DWORD dst_unused:UNUSED_PAD src0_sel:WORD_0 src1_sel:DWORD
	s_waitcnt lgkmcnt(4)
	v_pk_fma_f16 v88, v82, v87, v85
	v_pk_fma_f16 v71, v83, v87, v71
	;; [unrolled: 1-line block ×4, first 2 shown]
	ds_read2_b64 v[80:83], v67 offset1:32
	v_mul_u32_u24_sdwa v90, v90, s33 dst_sel:DWORD dst_unused:UNUSED_PAD src0_sel:WORD_1 src1_sel:DWORD
	v_mul_u32_u24_sdwa v93, v91, s33 dst_sel:DWORD dst_unused:UNUSED_PAD src0_sel:WORD_0 src1_sel:DWORD
	ds_read2_b64 v[84:87], v67 offset0:64 offset1:96
	s_waitcnt lgkmcnt(5)
	v_pk_fma_f16 v88, v32, v90, v88
	v_pk_fma_f16 v71, v33, v90, v71
	;; [unrolled: 1-line block ×4, first 2 shown]
	v_mul_u32_u24_sdwa v91, v91, s33 dst_sel:DWORD dst_unused:UNUSED_PAD src0_sel:WORD_1 src1_sel:DWORD
	ds_read2_b64 v[30:33], v67 offset0:128 offset1:160
	s_waitcnt lgkmcnt(5)
	v_pk_fma_f16 v88, v28, v93, v88
	v_pk_fma_f16 v71, v29, v93, v71
	v_pk_fma_f16 v89, v26, v93, v89
	v_pk_fma_f16 v90, v27, v93, v90
	ds_read2_b64 v[26:29], v67 offset0:192 offset1:224
	s_waitcnt lgkmcnt(5)
	v_pk_fma_f16 v88, v74, v91, v88
	v_pk_fma_f16 v71, v75, v91, v71
	;; [unrolled: 1-line block ×4, first 2 shown]
	ds_read_b128 v[72:75], v57 offset:48
	s_waitcnt lgkmcnt(5)
	v_mul_u32_u24_sdwa v91, v76, s33 dst_sel:DWORD dst_unused:UNUSED_PAD src0_sel:WORD_0 src1_sel:DWORD
	s_waitcnt lgkmcnt(4)
	v_pk_fma_f16 v88, v82, v91, v88
	v_pk_fma_f16 v71, v83, v91, v71
	;; [unrolled: 1-line block ×4, first 2 shown]
	ds_read2_b64 v[80:83], v68 offset1:32
	v_mul_u32_u24_sdwa v76, v76, s33 dst_sel:DWORD dst_unused:UNUSED_PAD src0_sel:WORD_1 src1_sel:DWORD
	s_waitcnt lgkmcnt(4)
	v_pk_fma_f16 v88, v86, v76, v88
	v_pk_fma_f16 v71, v87, v76, v71
	;; [unrolled: 1-line block ×4, first 2 shown]
	ds_read2_b64 v[84:87], v68 offset0:64 offset1:96
	v_mul_u32_u24_sdwa v90, v77, s33 dst_sel:DWORD dst_unused:UNUSED_PAD src0_sel:WORD_0 src1_sel:DWORD
	s_waitcnt lgkmcnt(4)
	v_pk_fma_f16 v88, v32, v90, v88
	v_pk_fma_f16 v71, v33, v90, v71
	;; [unrolled: 1-line block ×4, first 2 shown]
	ds_read2_b64 v[30:33], v68 offset0:128 offset1:160
	v_mul_u32_u24_sdwa v77, v77, s33 dst_sel:DWORD dst_unused:UNUSED_PAD src0_sel:WORD_1 src1_sel:DWORD
	s_waitcnt lgkmcnt(4)
	v_pk_fma_f16 v88, v28, v77, v88
	v_pk_fma_f16 v71, v29, v77, v71
	;; [unrolled: 1-line block ×4, first 2 shown]
	ds_read2_b64 v[26:29], v68 offset0:192 offset1:224
	v_mul_u32_u24_sdwa v77, v78, s33 dst_sel:DWORD dst_unused:UNUSED_PAD src0_sel:WORD_0 src1_sel:DWORD
	s_waitcnt lgkmcnt(3)
	v_pk_fma_f16 v88, v82, v77, v88
	v_pk_fma_f16 v71, v83, v77, v71
	;; [unrolled: 1-line block ×4, first 2 shown]
	ds_read2_b64 v[80:83], v69 offset1:32
	v_mul_u32_u24_sdwa v91, v78, s33 dst_sel:DWORD dst_unused:UNUSED_PAD src0_sel:WORD_1 src1_sel:DWORD
	v_mul_u32_u24_sdwa v92, v79, s33 dst_sel:DWORD dst_unused:UNUSED_PAD src0_sel:WORD_0 src1_sel:DWORD
	v_mul_u32_u24_sdwa v93, v79, s33 dst_sel:DWORD dst_unused:UNUSED_PAD src0_sel:WORD_1 src1_sel:DWORD
	ds_read2_b64 v[76:79], v69 offset0:64 offset1:96
	s_waitcnt lgkmcnt(4)
	v_pk_fma_f16 v88, v86, v91, v88
	v_pk_fma_f16 v71, v87, v91, v71
	v_pk_fma_f16 v89, v84, v91, v89
	v_pk_fma_f16 v90, v85, v91, v90
	ds_read2_b64 v[84:87], v69 offset0:128 offset1:160
	s_waitcnt lgkmcnt(4)
	v_pk_fma_f16 v88, v32, v92, v88
	v_pk_fma_f16 v71, v33, v92, v71
	v_pk_fma_f16 v89, v30, v92, v89
	v_pk_fma_f16 v90, v31, v92, v90
	;; [unrolled: 6-line block ×3, first 2 shown]
	v_mul_u32_u24_sdwa v91, v72, s33 dst_sel:DWORD dst_unused:UNUSED_PAD src0_sel:WORD_0 src1_sel:DWORD
	s_waitcnt lgkmcnt(3)
	v_pk_fma_f16 v88, v82, v91, v88
	v_pk_fma_f16 v71, v83, v91, v71
	v_pk_fma_f16 v89, v80, v91, v89
	v_pk_fma_f16 v90, v81, v91, v90
	v_mul_u32_u24_sdwa v72, v72, s33 dst_sel:DWORD dst_unused:UNUSED_PAD src0_sel:WORD_1 src1_sel:DWORD
	ds_read2_b64 v[26:29], v70 offset1:32
	s_waitcnt lgkmcnt(3)
	v_pk_fma_f16 v88, v78, v72, v88
	v_pk_fma_f16 v71, v79, v72, v71
	v_pk_fma_f16 v89, v76, v72, v89
	v_pk_fma_f16 v72, v77, v72, v90
	v_mul_u32_u24_sdwa v90, v73, s33 dst_sel:DWORD dst_unused:UNUSED_PAD src0_sel:WORD_0 src1_sel:DWORD
	ds_read2_b64 v[80:83], v70 offset0:64 offset1:96
	ds_read2_b64 v[76:79], v70 offset0:128 offset1:160
	s_waitcnt lgkmcnt(4)
	v_pk_fma_f16 v92, v86, v90, v88
	v_pk_fma_f16 v71, v87, v90, v71
	;; [unrolled: 1-line block ×4, first 2 shown]
	ds_read2_b64 v[84:87], v70 offset0:192 offset1:224
	s_waitcnt lgkmcnt(0)
	s_barrier
	global_load_dwordx4 v[88:91], v[40:41], off
	v_mul_u32_u24_sdwa v40, v73, s33 dst_sel:DWORD dst_unused:UNUSED_PAD src0_sel:WORD_1 src1_sel:DWORD
	v_pk_fma_f16 v41, v32, v40, v92
	v_pk_fma_f16 v71, v33, v40, v71
	;; [unrolled: 1-line block ×4, first 2 shown]
	global_load_dwordx4 v[30:33], v[36:37], off
	global_load_dwordx4 v[92:95], v[38:39], off
	v_mul_u32_u24_sdwa v36, v74, s33 dst_sel:DWORD dst_unused:UNUSED_PAD src0_sel:WORD_0 src1_sel:DWORD
	v_pk_fma_f16 v37, v28, v36, v41
	v_pk_fma_f16 v38, v29, v36, v71
	;; [unrolled: 1-line block ×4, first 2 shown]
	global_load_dwordx4 v[26:29], v[34:35], off
	v_mul_u32_u24_sdwa v34, v74, s33 dst_sel:DWORD dst_unused:UNUSED_PAD src0_sel:WORD_1 src1_sel:DWORD
	v_mul_u32_u24_sdwa v35, v75, s33 dst_sel:DWORD dst_unused:UNUSED_PAD src0_sel:WORD_0 src1_sel:DWORD
	v_pk_fma_f16 v37, v82, v34, v37
	v_pk_fma_f16 v38, v83, v34, v38
	;; [unrolled: 1-line block ×4, first 2 shown]
	v_mul_u32_u24_sdwa v40, v75, s33 dst_sel:DWORD dst_unused:UNUSED_PAD src0_sel:WORD_1 src1_sel:DWORD
	v_pk_fma_f16 v36, v78, v35, v37
	v_pk_fma_f16 v37, v79, v35, v38
	;; [unrolled: 1-line block ×8, first 2 shown]
	s_waitcnt vmcnt(3)
	ds_write_b128 v59, v[88:91]
	s_waitcnt vmcnt(2)
	ds_write_b128 v60, v[30:33]
	;; [unrolled: 2-line block ×4, first 2 shown]
	s_waitcnt lgkmcnt(0)
	s_barrier
	ds_read_b128 v[26:29], v57 offset:64
	ds_read2_b64 v[30:33], v44 offset1:32
	ds_read2_b64 v[34:37], v44 offset0:64 offset1:96
	ds_read2_b64 v[38:41], v44 offset0:128 offset1:160
	;; [unrolled: 1-line block ×3, first 2 shown]
	ds_read2_b64 v[76:79], v64 offset1:32
	ds_read2_b64 v[80:83], v64 offset0:64 offset1:96
	ds_read_b128 v[84:87], v57 offset:80
	s_waitcnt lgkmcnt(7)
	v_mul_u32_u24_sdwa v88, v26, s33 dst_sel:DWORD dst_unused:UNUSED_PAD src0_sel:WORD_0 src1_sel:DWORD
	s_waitcnt lgkmcnt(6)
	v_pk_fma_f16 v89, v30, v88, v97
	v_pk_fma_f16 v90, v31, v88, v98
	;; [unrolled: 1-line block ×4, first 2 shown]
	v_mul_u32_u24_sdwa v26, v26, s33 dst_sel:DWORD dst_unused:UNUSED_PAD src0_sel:WORD_1 src1_sel:DWORD
	ds_read2_b64 v[30:33], v64 offset0:128 offset1:160
	s_waitcnt lgkmcnt(6)
	v_pk_fma_f16 v89, v34, v26, v89
	v_pk_fma_f16 v90, v35, v26, v90
	;; [unrolled: 1-line block ×4, first 2 shown]
	v_mul_u32_u24_sdwa v88, v27, s33 dst_sel:DWORD dst_unused:UNUSED_PAD src0_sel:WORD_0 src1_sel:DWORD
	ds_read2_b64 v[34:37], v64 offset0:192 offset1:224
	s_waitcnt lgkmcnt(6)
	v_pk_fma_f16 v89, v38, v88, v89
	v_pk_fma_f16 v90, v39, v88, v90
	;; [unrolled: 1-line block ×4, first 2 shown]
	v_mul_u32_u24_sdwa v27, v27, s33 dst_sel:DWORD dst_unused:UNUSED_PAD src0_sel:WORD_1 src1_sel:DWORD
	ds_read2_b64 v[38:41], v65 offset1:32
	s_waitcnt lgkmcnt(6)
	v_pk_fma_f16 v88, v72, v27, v89
	v_pk_fma_f16 v89, v73, v27, v90
	;; [unrolled: 1-line block ×4, first 2 shown]
	v_mul_u32_u24_sdwa v27, v28, s33 dst_sel:DWORD dst_unused:UNUSED_PAD src0_sel:WORD_0 src1_sel:DWORD
	ds_read2_b64 v[72:75], v65 offset0:64 offset1:96
	s_waitcnt lgkmcnt(6)
	v_pk_fma_f16 v88, v76, v27, v88
	v_pk_fma_f16 v89, v77, v27, v89
	;; [unrolled: 1-line block ×4, first 2 shown]
	v_mul_u32_u24_sdwa v91, v28, s33 dst_sel:DWORD dst_unused:UNUSED_PAD src0_sel:WORD_1 src1_sel:DWORD
	ds_read2_b64 v[76:79], v65 offset0:128 offset1:160
	v_mul_u32_u24_sdwa v92, v29, s33 dst_sel:DWORD dst_unused:UNUSED_PAD src0_sel:WORD_0 src1_sel:DWORD
	s_waitcnt lgkmcnt(6)
	v_pk_fma_f16 v88, v80, v91, v88
	v_pk_fma_f16 v89, v81, v91, v89
	;; [unrolled: 1-line block ×4, first 2 shown]
	v_mul_u32_u24_sdwa v93, v29, s33 dst_sel:DWORD dst_unused:UNUSED_PAD src0_sel:WORD_1 src1_sel:DWORD
	ds_read2_b64 v[26:29], v65 offset0:192 offset1:224
	s_waitcnt lgkmcnt(5)
	v_pk_fma_f16 v88, v30, v92, v88
	v_pk_fma_f16 v89, v31, v92, v89
	;; [unrolled: 1-line block ×4, first 2 shown]
	ds_read2_b64 v[80:83], v66 offset1:32
	s_waitcnt lgkmcnt(5)
	v_pk_fma_f16 v88, v34, v93, v88
	v_pk_fma_f16 v89, v35, v93, v89
	;; [unrolled: 1-line block ×4, first 2 shown]
	v_mul_u32_u24_sdwa v91, v84, s33 dst_sel:DWORD dst_unused:UNUSED_PAD src0_sel:WORD_0 src1_sel:DWORD
	ds_read2_b64 v[30:33], v66 offset0:64 offset1:96
	s_waitcnt lgkmcnt(5)
	v_pk_fma_f16 v88, v38, v91, v88
	v_pk_fma_f16 v89, v39, v91, v89
	;; [unrolled: 1-line block ×4, first 2 shown]
	v_mul_u32_u24_sdwa v84, v84, s33 dst_sel:DWORD dst_unused:UNUSED_PAD src0_sel:WORD_1 src1_sel:DWORD
	ds_read2_b64 v[34:37], v66 offset0:128 offset1:160
	s_waitcnt lgkmcnt(5)
	v_pk_fma_f16 v88, v72, v84, v88
	v_pk_fma_f16 v89, v73, v84, v89
	;; [unrolled: 1-line block ×4, first 2 shown]
	v_mul_u32_u24_sdwa v90, v85, s33 dst_sel:DWORD dst_unused:UNUSED_PAD src0_sel:WORD_0 src1_sel:DWORD
	ds_read2_b64 v[38:41], v66 offset0:192 offset1:224
	ds_read_b128 v[72:75], v57 offset:96
	s_waitcnt lgkmcnt(6)
	v_pk_fma_f16 v88, v76, v90, v88
	v_pk_fma_f16 v89, v77, v90, v89
	;; [unrolled: 1-line block ×4, first 2 shown]
	v_mul_u32_u24_sdwa v85, v85, s33 dst_sel:DWORD dst_unused:UNUSED_PAD src0_sel:WORD_1 src1_sel:DWORD
	ds_read2_b64 v[76:79], v67 offset1:32
	s_waitcnt lgkmcnt(6)
	v_pk_fma_f16 v88, v26, v85, v88
	v_pk_fma_f16 v89, v27, v85, v89
	;; [unrolled: 1-line block ×4, first 2 shown]
	v_mul_u32_u24_sdwa v85, v86, s33 dst_sel:DWORD dst_unused:UNUSED_PAD src0_sel:WORD_0 src1_sel:DWORD
	ds_read2_b64 v[26:29], v67 offset0:64 offset1:96
	s_waitcnt lgkmcnt(6)
	v_pk_fma_f16 v88, v80, v85, v88
	v_pk_fma_f16 v89, v81, v85, v89
	;; [unrolled: 1-line block ×4, first 2 shown]
	v_mul_u32_u24_sdwa v91, v86, s33 dst_sel:DWORD dst_unused:UNUSED_PAD src0_sel:WORD_1 src1_sel:DWORD
	ds_read2_b64 v[80:83], v67 offset0:128 offset1:160
	v_mul_u32_u24_sdwa v92, v87, s33 dst_sel:DWORD dst_unused:UNUSED_PAD src0_sel:WORD_0 src1_sel:DWORD
	s_waitcnt lgkmcnt(6)
	v_pk_fma_f16 v88, v30, v91, v88
	v_pk_fma_f16 v89, v31, v91, v89
	;; [unrolled: 1-line block ×4, first 2 shown]
	v_mul_u32_u24_sdwa v93, v87, s33 dst_sel:DWORD dst_unused:UNUSED_PAD src0_sel:WORD_1 src1_sel:DWORD
	ds_read2_b64 v[84:87], v67 offset0:192 offset1:224
	s_waitcnt lgkmcnt(6)
	v_pk_fma_f16 v88, v34, v92, v88
	v_pk_fma_f16 v89, v35, v92, v89
	v_pk_fma_f16 v71, v36, v92, v71
	v_pk_fma_f16 v90, v37, v92, v90
	ds_read2_b64 v[30:33], v68 offset1:32
	s_waitcnt lgkmcnt(6)
	v_pk_fma_f16 v88, v38, v93, v88
	v_pk_fma_f16 v89, v39, v93, v89
	;; [unrolled: 1-line block ×4, first 2 shown]
	ds_read_b128 v[38:41], v57 offset:112
	s_waitcnt lgkmcnt(6)
	v_mul_u32_u24_sdwa v91, v72, s33 dst_sel:DWORD dst_unused:UNUSED_PAD src0_sel:WORD_0 src1_sel:DWORD
	ds_read2_b64 v[34:37], v68 offset0:64 offset1:96
	s_waitcnt lgkmcnt(6)
	v_pk_fma_f16 v88, v76, v91, v88
	v_pk_fma_f16 v89, v77, v91, v89
	;; [unrolled: 1-line block ×4, first 2 shown]
	v_mul_u32_u24_sdwa v72, v72, s33 dst_sel:DWORD dst_unused:UNUSED_PAD src0_sel:WORD_1 src1_sel:DWORD
	ds_read2_b64 v[76:79], v68 offset0:128 offset1:160
	s_waitcnt lgkmcnt(6)
	v_pk_fma_f16 v88, v26, v72, v88
	v_pk_fma_f16 v89, v27, v72, v89
	;; [unrolled: 1-line block ×4, first 2 shown]
	v_mul_u32_u24_sdwa v90, v73, s33 dst_sel:DWORD dst_unused:UNUSED_PAD src0_sel:WORD_0 src1_sel:DWORD
	ds_read2_b64 v[26:29], v68 offset0:192 offset1:224
	s_waitcnt lgkmcnt(6)
	v_pk_fma_f16 v88, v80, v90, v88
	v_pk_fma_f16 v89, v81, v90, v89
	;; [unrolled: 1-line block ×4, first 2 shown]
	v_mul_u32_u24_sdwa v73, v73, s33 dst_sel:DWORD dst_unused:UNUSED_PAD src0_sel:WORD_1 src1_sel:DWORD
	ds_read2_b64 v[80:83], v69 offset1:32
	s_waitcnt lgkmcnt(6)
	v_pk_fma_f16 v88, v84, v73, v88
	v_pk_fma_f16 v89, v85, v73, v89
	v_pk_fma_f16 v71, v86, v73, v71
	v_pk_fma_f16 v72, v87, v73, v72
	v_mul_u32_u24_sdwa v73, v74, s33 dst_sel:DWORD dst_unused:UNUSED_PAD src0_sel:WORD_0 src1_sel:DWORD
	ds_read2_b64 v[84:87], v69 offset0:64 offset1:96
	s_waitcnt lgkmcnt(6)
	v_pk_fma_f16 v88, v30, v73, v88
	v_pk_fma_f16 v89, v31, v73, v89
	;; [unrolled: 1-line block ×4, first 2 shown]
	v_mul_u32_u24_sdwa v91, v74, s33 dst_sel:DWORD dst_unused:UNUSED_PAD src0_sel:WORD_1 src1_sel:DWORD
	ds_read2_b64 v[30:33], v69 offset0:128 offset1:160
	v_mul_u32_u24_sdwa v92, v75, s33 dst_sel:DWORD dst_unused:UNUSED_PAD src0_sel:WORD_0 src1_sel:DWORD
	s_waitcnt lgkmcnt(5)
	v_pk_fma_f16 v88, v34, v91, v88
	v_pk_fma_f16 v89, v35, v91, v89
	;; [unrolled: 1-line block ×4, first 2 shown]
	v_mul_u32_u24_sdwa v93, v75, s33 dst_sel:DWORD dst_unused:UNUSED_PAD src0_sel:WORD_1 src1_sel:DWORD
	ds_read2_b64 v[72:75], v69 offset0:192 offset1:224
	s_waitcnt lgkmcnt(5)
	v_pk_fma_f16 v88, v76, v92, v88
	v_pk_fma_f16 v89, v77, v92, v89
	;; [unrolled: 1-line block ×4, first 2 shown]
	ds_read2_b64 v[34:37], v70 offset1:32
	s_waitcnt lgkmcnt(5)
	v_pk_fma_f16 v88, v26, v93, v88
	v_pk_fma_f16 v89, v27, v93, v89
	;; [unrolled: 1-line block ×4, first 2 shown]
	v_mul_u32_u24_sdwa v91, v38, s33 dst_sel:DWORD dst_unused:UNUSED_PAD src0_sel:WORD_0 src1_sel:DWORD
	ds_read2_b64 v[76:79], v70 offset0:64 offset1:96
	ds_read2_b64 v[26:29], v70 offset0:128 offset1:160
	v_mul_u32_u24_sdwa v92, v38, s33 dst_sel:DWORD dst_unused:UNUSED_PAD src0_sel:WORD_1 src1_sel:DWORD
	v_mul_u32_u24_sdwa v93, v39, s33 dst_sel:DWORD dst_unused:UNUSED_PAD src0_sel:WORD_0 src1_sel:DWORD
	s_waitcnt lgkmcnt(6)
	v_pk_fma_f16 v80, v80, v91, v88
	v_pk_fma_f16 v81, v81, v91, v89
	;; [unrolled: 1-line block ×4, first 2 shown]
	v_mul_u32_u24_sdwa v83, v39, s33 dst_sel:DWORD dst_unused:UNUSED_PAD src0_sel:WORD_1 src1_sel:DWORD
	v_mul_u32_u24_sdwa v88, v40, s33 dst_sel:DWORD dst_unused:UNUSED_PAD src0_sel:WORD_0 src1_sel:DWORD
	v_mul_u32_u24_sdwa v89, v40, s33 dst_sel:DWORD dst_unused:UNUSED_PAD src0_sel:WORD_1 src1_sel:DWORD
	v_mul_u32_u24_sdwa v90, v41, s33 dst_sel:DWORD dst_unused:UNUSED_PAD src0_sel:WORD_0 src1_sel:DWORD
	v_mul_u32_u24_sdwa v91, v41, s33 dst_sel:DWORD dst_unused:UNUSED_PAD src0_sel:WORD_1 src1_sel:DWORD
	ds_read2_b64 v[38:41], v70 offset0:192 offset1:224
	s_waitcnt lgkmcnt(0)
	s_barrier
	s_load_dword s4, s[8:9], 0x4
	v_pk_fma_f16 v80, v84, v92, v80
	v_pk_fma_f16 v81, v85, v92, v81
	;; [unrolled: 1-line block ×16, first 2 shown]
	s_waitcnt lgkmcnt(0)
	s_lshl_b32 s4, s4, 6
	v_pk_fma_f16 v30, v76, v89, v30
	v_pk_fma_f16 v31, v77, v89, v31
	;; [unrolled: 1-line block ×4, first 2 shown]
	s_add_i32 s2, s4, s2
	v_pk_fma_f16 v26, v26, v90, v30
	v_pk_fma_f16 v27, v27, v90, v31
	;; [unrolled: 1-line block ×4, first 2 shown]
	s_cmp_ge_i32 s2, s24
	v_pk_fma_f16 v74, v38, v91, v26
	v_pk_fma_f16 v73, v39, v91, v27
	;; [unrolled: 1-line block ×4, first 2 shown]
	s_cbranch_scc0 .LBB33_9
.LBB33_10:
	v_cmp_lt_i32_e32 vcc, v51, v46
	s_cmp_lg_u64 s[12:13], 0
	s_cselect_b64 s[4:5], -1, 0
	v_cndmask_b32_e32 v0, v13, v51, vcc
	v_lshlrev_b32_e32 v0, 2, v0
	ds_bpermute_b32 v0, v0, v25
	v_cmp_lt_i32_e32 vcc, v50, v46
	s_cmp_eq_u32 s3, 0
	s_cselect_b64 s[6:7], -1, 0
	v_cndmask_b32_e32 v1, v13, v50, vcc
	v_lshlrev_b32_e32 v1, 2, v1
	s_waitcnt lgkmcnt(0)
	v_add_f32_e32 v0, v25, v0
	ds_bpermute_b32 v1, v1, v0
	v_cmp_lt_i32_e32 vcc, v49, v46
	s_and_b64 s[4:5], s[6:7], s[4:5]
	s_waitcnt lgkmcnt(0)
	v_add_f32_e32 v0, v0, v1
	v_cndmask_b32_e32 v4, v13, v49, vcc
	v_lshlrev_b32_e32 v4, 2, v4
	ds_bpermute_b32 v1, v4, v0
	v_cmp_lt_i32_e32 vcc, v48, v46
	s_waitcnt lgkmcnt(0)
	v_add_f32_e32 v0, v0, v1
	v_cndmask_b32_e32 v4, v13, v48, vcc
	v_lshlrev_b32_e32 v4, 2, v4
	ds_bpermute_b32 v1, v4, v0
	v_cmp_lt_i32_e32 vcc, v47, v46
	s_waitcnt lgkmcnt(0)
	v_add_f32_e32 v0, v0, v1
	v_cndmask_b32_e32 v4, v13, v47, vcc
	v_lshlrev_b32_e32 v4, 2, v4
	ds_bpermute_b32 v1, v4, v0
	s_and_b64 vcc, exec, s[4:5]
	s_waitcnt lgkmcnt(0)
	v_add_f32_e32 v25, v0, v1
	s_cbranch_vccz .LBB33_13
; %bb.11:
	v_add_u32_e32 v0, s25, v3
	v_ashrrev_i32_e32 v1, 31, v0
	v_lshl_add_u64 v[0:1], v[0:1], 2, s[12:13]
	global_load_dword v1, v[0:1], off
	v_max_f32_e32 v0, v24, v24
	s_mov_b32 s2, 0x3fb8aa3b
	s_mov_b32 s4, 0xc2ce8ed0
	s_waitcnt vmcnt(0)
	v_max_f32_e32 v4, v1, v1
	v_max_f32_e32 v0, v0, v4
	v_sub_f32_e32 v4, v24, v0
	v_sub_f32_e32 v1, v1, v0
	v_mul_f32_e32 v5, 0x3fb8aa3b, v4
	v_mul_f32_e32 v6, 0x3fb8aa3b, v1
	v_fma_f32 v7, v4, s2, -v5
	v_rndne_f32_e32 v8, v5
	v_fma_f32 v9, v1, s2, -v6
	v_rndne_f32_e32 v10, v6
	v_fmac_f32_e32 v7, 0x32a5705f, v4
	v_sub_f32_e32 v5, v5, v8
	v_fmac_f32_e32 v9, 0x32a5705f, v1
	v_sub_f32_e32 v6, v6, v10
	v_add_f32_e32 v5, v5, v7
	v_cvt_i32_f32_e32 v8, v8
	v_add_f32_e32 v6, v6, v9
	v_exp_f32_e32 v5, v5
	v_cvt_i32_f32_e32 v10, v10
	v_exp_f32_e32 v6, v6
	v_cmp_ngt_f32_e32 vcc, s4, v4
	v_ldexp_f32 v5, v5, v8
	s_mov_b32 s2, 0x42b17218
	v_ldexp_f32 v6, v6, v10
	v_cndmask_b32_e32 v5, 0, v5, vcc
	v_cmp_ngt_f32_e32 vcc, s4, v1
	v_mov_b32_e32 v7, 0x7f800000
	s_nop 0
	v_cndmask_b32_e32 v6, 0, v6, vcc
	v_cmp_nlt_f32_e32 vcc, s2, v4
	s_nop 1
	v_cndmask_b32_e32 v4, v7, v5, vcc
	v_cvt_f16_f32_e32 v5, v4
	v_cmp_nlt_f32_e32 vcc, s2, v1
	s_nop 1
	v_cndmask_b32_e32 v1, v7, v6, vcc
	v_fmac_f32_e32 v1, v25, v4
	v_mul_u32_u24_e32 v4, 0x10001, v5
	v_pk_mul_f16 v74, v74, v4
	v_pk_mul_f16 v73, v73, v4
	;; [unrolled: 1-line block ×4, first 2 shown]
	v_mov_b64_e32 v[24:25], v[0:1]
	v_cmp_gt_i32_e32 vcc, s22, v42
	s_and_saveexec_b64 s[4:5], vcc
	s_cbranch_execnz .LBB33_14
.LBB33_12:
	s_endpgm
.LBB33_13:
	v_mov_b32_e32 v1, v25
	v_cmp_gt_i32_e32 vcc, s22, v42
	s_and_saveexec_b64 s[4:5], vcc
	s_cbranch_execz .LBB33_12
.LBB33_14:
	s_load_dword s2, s[0:1], 0xd4
	v_div_scale_f32 v0, s[0:1], v1, v1, 1.0
	v_rcp_f32_e32 v4, v0
	s_mul_i32 s30, s30, s22
	s_waitcnt lgkmcnt(0)
	s_cmp_lg_u32 s2, 1
	s_cselect_b64 s[0:1], -1, 0
	v_fma_f32 v5, -v0, v4, 1.0
	v_fmac_f32_e32 v4, v5, v4
	v_div_scale_f32 v5, vcc, 1.0, v1, 1.0
	v_mul_f32_e32 v6, v5, v4
	v_fma_f32 v7, -v0, v6, v5
	v_fmac_f32_e32 v6, v7, v4
	v_fma_f32 v0, -v0, v6, v5
	v_div_fmas_f32 v0, v0, v4, v6
	v_div_fixup_f32 v0, v0, v1, 1.0
	v_cndmask_b32_e64 v6, v0, 1.0, s[0:1]
	v_add_u32_e32 v0, s30, v42
	v_mul_lo_u32 v0, v0, s23
	v_add3_u32 v0, s25, v3, v0
	v_cmp_eq_u32_e32 vcc, 0, v2
	v_cvt_f32_f16_sdwa v3, v74 dst_sel:DWORD dst_unused:UNUSED_PAD src0_sel:WORD_1
	v_cvt_f32_f16_e32 v2, v74
	v_cvt_f32_f16_sdwa v5, v73 dst_sel:DWORD dst_unused:UNUSED_PAD src0_sel:WORD_1
	v_cvt_f32_f16_e32 v4, v73
	v_mul_lo_u32 v0, s2, v0
	v_add_u32_e32 v0, s3, v0
	v_lshl_add_u32 v8, v0, 8, v43
	v_mov_b32_e32 v9, 0
	v_lshl_add_u64 v[10:11], v[8:9], 2, s[16:17]
	v_pk_mul_f32 v[2:3], v[6:7], v[2:3] op_sel_hi:[0,1]
	v_pk_mul_f32 v[4:5], v[6:7], v[4:5] op_sel_hi:[0,1]
	global_store_dwordx4 v[10:11], v[2:5], off
	v_add_u32_e32 v8, 0x80, v8
	s_and_b64 s[0:1], vcc, s[0:1]
	v_cvt_f32_f16_sdwa v3, v72 dst_sel:DWORD dst_unused:UNUSED_PAD src0_sel:WORD_1
	v_cvt_f32_f16_e32 v2, v72
	v_cvt_f32_f16_sdwa v5, v71 dst_sel:DWORD dst_unused:UNUSED_PAD src0_sel:WORD_1
	v_cvt_f32_f16_e32 v4, v71
	v_lshl_add_u64 v[8:9], v[8:9], 2, s[16:17]
	v_pk_mul_f32 v[2:3], v[6:7], v[2:3] op_sel_hi:[0,1]
	v_pk_mul_f32 v[4:5], v[6:7], v[4:5] op_sel_hi:[0,1]
	global_store_dwordx4 v[8:9], v[2:5], off
	s_and_b64 exec, exec, s[0:1]
	s_cbranch_execz .LBB33_12
; %bb.15:
	v_mov_b32_e32 v2, s18
	v_mov_b32_e32 v3, s19
	v_ashrrev_i32_e32 v1, 31, v0
	v_lshl_add_u64 v[0:1], v[0:1], 3, v[2:3]
	global_store_dwordx2 v[0:1], v[24:25], off
	s_endpgm
	.section	.rodata,"a",@progbits
	.p2align	6, 0x0
	.amdhsa_kernel _ZL15flash_attn_tileILi256ELi256ELi4ELi2ELb0EEvPKcS1_S1_S1_S1_PKiPfP15HIP_vector_typeIfLj2EEffffjfiS5_IjLj3EEiiiiiiiiiiiliiliiiiil
		.amdhsa_group_segment_fixed_size 22528
		.amdhsa_private_segment_fixed_size 0
		.amdhsa_kernarg_size 464
		.amdhsa_user_sgpr_count 2
		.amdhsa_user_sgpr_dispatch_ptr 0
		.amdhsa_user_sgpr_queue_ptr 0
		.amdhsa_user_sgpr_kernarg_segment_ptr 1
		.amdhsa_user_sgpr_dispatch_id 0
		.amdhsa_user_sgpr_kernarg_preload_length 0
		.amdhsa_user_sgpr_kernarg_preload_offset 0
		.amdhsa_user_sgpr_private_segment_size 0
		.amdhsa_uses_dynamic_stack 0
		.amdhsa_enable_private_segment 0
		.amdhsa_system_sgpr_workgroup_id_x 1
		.amdhsa_system_sgpr_workgroup_id_y 1
		.amdhsa_system_sgpr_workgroup_id_z 1
		.amdhsa_system_sgpr_workgroup_info 0
		.amdhsa_system_vgpr_workitem_id 1
		.amdhsa_next_free_vgpr 102
		.amdhsa_next_free_sgpr 75
		.amdhsa_accum_offset 104
		.amdhsa_reserve_vcc 1
		.amdhsa_float_round_mode_32 0
		.amdhsa_float_round_mode_16_64 0
		.amdhsa_float_denorm_mode_32 3
		.amdhsa_float_denorm_mode_16_64 3
		.amdhsa_dx10_clamp 1
		.amdhsa_ieee_mode 1
		.amdhsa_fp16_overflow 0
		.amdhsa_tg_split 0
		.amdhsa_exception_fp_ieee_invalid_op 0
		.amdhsa_exception_fp_denorm_src 0
		.amdhsa_exception_fp_ieee_div_zero 0
		.amdhsa_exception_fp_ieee_overflow 0
		.amdhsa_exception_fp_ieee_underflow 0
		.amdhsa_exception_fp_ieee_inexact 0
		.amdhsa_exception_int_div_zero 0
	.end_amdhsa_kernel
	.section	.text._ZL15flash_attn_tileILi256ELi256ELi4ELi2ELb0EEvPKcS1_S1_S1_S1_PKiPfP15HIP_vector_typeIfLj2EEffffjfiS5_IjLj3EEiiiiiiiiiiiliiliiiiil,"axG",@progbits,_ZL15flash_attn_tileILi256ELi256ELi4ELi2ELb0EEvPKcS1_S1_S1_S1_PKiPfP15HIP_vector_typeIfLj2EEffffjfiS5_IjLj3EEiiiiiiiiiiiliiliiiiil,comdat
.Lfunc_end33:
	.size	_ZL15flash_attn_tileILi256ELi256ELi4ELi2ELb0EEvPKcS1_S1_S1_S1_PKiPfP15HIP_vector_typeIfLj2EEffffjfiS5_IjLj3EEiiiiiiiiiiiliiliiiiil, .Lfunc_end33-_ZL15flash_attn_tileILi256ELi256ELi4ELi2ELb0EEvPKcS1_S1_S1_S1_PKiPfP15HIP_vector_typeIfLj2EEffffjfiS5_IjLj3EEiiiiiiiiiiiliiliiiiil
                                        ; -- End function
	.set _ZL15flash_attn_tileILi256ELi256ELi4ELi2ELb0EEvPKcS1_S1_S1_S1_PKiPfP15HIP_vector_typeIfLj2EEffffjfiS5_IjLj3EEiiiiiiiiiiiliiliiiiil.num_vgpr, 102
	.set _ZL15flash_attn_tileILi256ELi256ELi4ELi2ELb0EEvPKcS1_S1_S1_S1_PKiPfP15HIP_vector_typeIfLj2EEffffjfiS5_IjLj3EEiiiiiiiiiiiliiliiiiil.num_agpr, 0
	.set _ZL15flash_attn_tileILi256ELi256ELi4ELi2ELb0EEvPKcS1_S1_S1_S1_PKiPfP15HIP_vector_typeIfLj2EEffffjfiS5_IjLj3EEiiiiiiiiiiiliiliiiiil.numbered_sgpr, 40
	.set _ZL15flash_attn_tileILi256ELi256ELi4ELi2ELb0EEvPKcS1_S1_S1_S1_PKiPfP15HIP_vector_typeIfLj2EEffffjfiS5_IjLj3EEiiiiiiiiiiiliiliiiiil.num_named_barrier, 0
	.set _ZL15flash_attn_tileILi256ELi256ELi4ELi2ELb0EEvPKcS1_S1_S1_S1_PKiPfP15HIP_vector_typeIfLj2EEffffjfiS5_IjLj3EEiiiiiiiiiiiliiliiiiil.private_seg_size, 0
	.set _ZL15flash_attn_tileILi256ELi256ELi4ELi2ELb0EEvPKcS1_S1_S1_S1_PKiPfP15HIP_vector_typeIfLj2EEffffjfiS5_IjLj3EEiiiiiiiiiiiliiliiiiil.uses_vcc, 1
	.set _ZL15flash_attn_tileILi256ELi256ELi4ELi2ELb0EEvPKcS1_S1_S1_S1_PKiPfP15HIP_vector_typeIfLj2EEffffjfiS5_IjLj3EEiiiiiiiiiiiliiliiiiil.uses_flat_scratch, 0
	.set _ZL15flash_attn_tileILi256ELi256ELi4ELi2ELb0EEvPKcS1_S1_S1_S1_PKiPfP15HIP_vector_typeIfLj2EEffffjfiS5_IjLj3EEiiiiiiiiiiiliiliiiiil.has_dyn_sized_stack, 0
	.set _ZL15flash_attn_tileILi256ELi256ELi4ELi2ELb0EEvPKcS1_S1_S1_S1_PKiPfP15HIP_vector_typeIfLj2EEffffjfiS5_IjLj3EEiiiiiiiiiiiliiliiiiil.has_recursion, 0
	.set _ZL15flash_attn_tileILi256ELi256ELi4ELi2ELb0EEvPKcS1_S1_S1_S1_PKiPfP15HIP_vector_typeIfLj2EEffffjfiS5_IjLj3EEiiiiiiiiiiiliiliiiiil.has_indirect_call, 0
	.section	.AMDGPU.csdata,"",@progbits
; Kernel info:
; codeLenInByte = 12956
; TotalNumSgprs: 46
; NumVgprs: 102
; NumAgprs: 0
; TotalNumVgprs: 102
; ScratchSize: 0
; MemoryBound: 0
; FloatMode: 240
; IeeeMode: 1
; LDSByteSize: 22528 bytes/workgroup (compile time only)
; SGPRBlocks: 10
; VGPRBlocks: 12
; NumSGPRsForWavesPerEU: 81
; NumVGPRsForWavesPerEU: 102
; AccumOffset: 104
; Occupancy: 4
; WaveLimiterHint : 1
; COMPUTE_PGM_RSRC2:SCRATCH_EN: 0
; COMPUTE_PGM_RSRC2:USER_SGPR: 2
; COMPUTE_PGM_RSRC2:TRAP_HANDLER: 0
; COMPUTE_PGM_RSRC2:TGID_X_EN: 1
; COMPUTE_PGM_RSRC2:TGID_Y_EN: 1
; COMPUTE_PGM_RSRC2:TGID_Z_EN: 1
; COMPUTE_PGM_RSRC2:TIDIG_COMP_CNT: 1
; COMPUTE_PGM_RSRC3_GFX90A:ACCUM_OFFSET: 25
; COMPUTE_PGM_RSRC3_GFX90A:TG_SPLIT: 0
	.section	.text._ZL33flash_attn_stream_k_fixup_uniformILi256ELi4ELi2EEvPfPK15HIP_vector_typeIfLj2EEiiiiiiS1_IjLj3EES5_S5_,"axG",@progbits,_ZL33flash_attn_stream_k_fixup_uniformILi256ELi4ELi2EEvPfPK15HIP_vector_typeIfLj2EEiiiiiiS1_IjLj3EES5_S5_,comdat
	.globl	_ZL33flash_attn_stream_k_fixup_uniformILi256ELi4ELi2EEvPfPK15HIP_vector_typeIfLj2EEiiiiiiS1_IjLj3EES5_S5_ ; -- Begin function _ZL33flash_attn_stream_k_fixup_uniformILi256ELi4ELi2EEvPfPK15HIP_vector_typeIfLj2EEiiiiiiS1_IjLj3EES5_S5_
	.p2align	8
	.type	_ZL33flash_attn_stream_k_fixup_uniformILi256ELi4ELi2EEvPfPK15HIP_vector_typeIfLj2EEiiiiiiS1_IjLj3EES5_S5_,@function
_ZL33flash_attn_stream_k_fixup_uniformILi256ELi4ELi2EEvPfPK15HIP_vector_typeIfLj2EEiiiiiiS1_IjLj3EES5_S5_: ; @_ZL33flash_attn_stream_k_fixup_uniformILi256ELi4ELi2EEvPfPK15HIP_vector_typeIfLj2EEiiiiiiS1_IjLj3EES5_S5_
; %bb.0:
	s_load_dwordx8 s[8:15], s[0:1], 0x1c
	s_load_dwordx2 s[6:7], s[0:1], 0x10
	s_load_dwordx4 s[20:23], s[0:1], 0x3c
	s_waitcnt lgkmcnt(0)
	s_mul_hi_u32 s5, s11, s2
	s_add_i32 s5, s2, s5
	s_lshr_b32 s5, s5, s12
	s_mul_i32 s11, s5, s13
	s_sub_i32 s11, s2, s11
	s_mul_hi_u32 s12, s11, s14
	s_add_i32 s12, s11, s12
	s_lshr_b32 s16, s12, s15
	s_mul_i32 s12, s16, s20
	s_sub_i32 s11, s11, s12
	;; [unrolled: 5-line block ×3, first 2 shown]
	s_lshl_b32 s11, s12, 1
	s_lshl_b32 s12, s17, 2
	s_add_i32 s12, s12, s3
	s_cmp_lt_i32 s12, s6
	s_cselect_b64 s[12:13], -1, 0
	s_add_i32 s14, s11, s4
	s_cmp_lt_i32 s14, s9
	s_cselect_b64 s[14:15], -1, 0
	s_and_b64 s[12:13], s[12:13], s[14:15]
	s_andn2_b64 vcc, exec, s[12:13]
	s_cbranch_vccnz .LBB34_6
; %bb.1:
	s_load_dwordx4 s[12:15], s[0:1], 0x0
	s_mul_i32 s0, s5, s6
	s_add_i32 s0, s0, s3
	s_mul_i32 s0, s0, s7
	s_mul_i32 s16, s16, s9
	s_add_i32 s0, s0, s4
	s_add_i32 s0, s0, s16
	s_mul_i32 s1, s7, s17
	s_add_i32 s0, s0, s11
	s_lshl_b32 s1, s1, 10
	s_lshl_b32 s0, s0, 8
	s_add_i32 s1, s1, s0
	v_or_b32_e32 v4, s1, v0
	s_waitcnt lgkmcnt(0)
	v_mov_b32_e32 v2, s12
	v_mov_b32_e32 v3, s13
	v_ashrrev_i32_e32 v5, 31, v4
	v_lshl_add_u64 v[2:3], v[4:5], 2, v[2:3]
	global_load_dword v5, v[2:3], off
	s_mul_i32 s5, s10, s2
	s_lshl_b32 s11, s3, 1
	s_add_i32 s9, s5, s10
	s_add_i32 s0, s11, s4
	s_lshl_b32 s1, s9, 3
	s_add_i32 s0, s0, s1
	s_add_i32 s0, s0, -8
	s_ashr_i32 s1, s0, 31
	s_lshl_b64 s[0:1], s[0:1], 3
	s_add_u32 s0, s14, s0
	s_addc_u32 s1, s15, s1
	s_load_dword s12, s[0:1], 0x4
	s_add_i32 s6, s9, -2
	s_cmp_lt_i32 s6, s5
	s_cbranch_scc1 .LBB34_4
; %bb.2:
	s_lshl_b32 s6, s8, 5
	s_ashr_i32 s7, s6, 31
	s_lshl_b64 s[6:7], s[6:7], 2
	s_add_u32 s6, s14, s6
	s_addc_u32 s7, s15, s7
	s_add_i32 s2, s2, 1
	s_load_dword s0, s[0:1], 0x0
	s_mul_i32 s1, s10, s2
	s_lshl_b32 s3, s3, 9
	s_lshl_b32 s10, s4, 8
	;; [unrolled: 1-line block ×3, first 2 shown]
	s_add_i32 s3, s10, s3
	s_lshl_b32 s1, s1, 3
	s_add_i32 s3, s3, s2
	s_add_i32 s1, s4, s1
	s_lshl_b32 s2, s8, 3
	s_add_i32 s1, s1, s2
	v_or_b32_e32 v0, s3, v0
	s_add_i32 s1, s1, s11
	s_add_i32 s9, s9, -1
	v_add_u32_e32 v0, 0xfffff000, v0
	s_add_i32 s2, s1, -16
	s_waitcnt lgkmcnt(0)
	v_mov_b32_e32 v7, s0
	v_mov_b32_e32 v4, s12
	s_mov_b32 s4, 0x3fb8aa3b
	s_mov_b32 s8, 0xc2ce8ed0
	;; [unrolled: 1-line block ×3, first 2 shown]
	v_mov_b32_e32 v6, 0x7f800000
	s_mov_b32 s11, 0xc1a00000
.LBB34_3:                               ; =>This Inner Loop Header: Depth=1
	v_ashrrev_i32_e32 v1, 31, v0
	v_lshl_add_u64 v[8:9], v[0:1], 2, s[6:7]
	global_load_dword v9, v[8:9], off
	s_ashr_i32 s3, s2, 31
	s_lshl_b64 s[0:1], s[2:3], 3
	s_add_u32 s0, s14, s0
	s_addc_u32 s1, s15, s1
	s_load_dwordx2 s[0:1], s[0:1], 0x0
	v_max_f32_e32 v1, v7, v7
	s_add_i32 s9, s9, -1
	s_add_i32 s2, s2, -8
	v_add_u32_e32 v0, 0xfffff800, v0
	s_waitcnt lgkmcnt(0)
	v_max_f32_e64 v10, s0, s0
	v_max_f32_e32 v1, v1, v10
	v_sub_f32_e32 v11, s0, v1
	v_sub_f32_e32 v10, v7, v1
	v_mul_f32_e32 v12, 0x3fb8aa3b, v11
	v_mov_b32_e32 v7, v1
	v_mul_f32_e32 v1, 0x3fb8aa3b, v10
	v_fma_f32 v15, v11, s4, -v12
	v_rndne_f32_e32 v16, v12
	v_fma_f32 v13, v10, s4, -v1
	v_rndne_f32_e32 v14, v1
	v_fmac_f32_e32 v15, 0x32a5705f, v11
	v_sub_f32_e32 v12, v12, v16
	v_fmac_f32_e32 v13, 0x32a5705f, v10
	v_sub_f32_e32 v1, v1, v14
	v_add_f32_e32 v12, v12, v15
	v_cvt_i32_f32_e32 v16, v16
	v_add_f32_e32 v1, v1, v13
	v_exp_f32_e32 v12, v12
	v_cvt_i32_f32_e32 v14, v14
	v_exp_f32_e32 v1, v1
	v_cmp_ngt_f32_e32 vcc, s8, v11
	v_ldexp_f32 v12, v12, v16
	v_mov_b32_e32 v8, s1
	v_ldexp_f32 v1, v1, v14
	v_cmp_ngt_f32_e64 s[0:1], s8, v10
	v_cndmask_b32_e32 v12, 0, v12, vcc
	v_cmp_nlt_f32_e32 vcc, s10, v11
	v_cndmask_b32_e64 v1, 0, v1, s[0:1]
	v_cmp_nlt_f32_e64 s[0:1], s10, v10
	v_cndmask_b32_e32 v12, v6, v12, vcc
	v_cmp_le_f32_e32 vcc, s11, v11
	v_cndmask_b32_e64 v1, v6, v1, s[0:1]
	v_cmp_le_f32_e64 s[0:1], s11, v10
	v_cndmask_b32_e32 v12, 0, v12, vcc
	s_cmp_le_i32 s9, s5
	v_cndmask_b32_e64 v10, 0, v1, s[0:1]
	s_waitcnt vmcnt(0)
	v_pk_mul_f32 v[8:9], v[8:9], v[12:13] op_sel_hi:[1,0]
	s_nop 0
	v_pk_fma_f32 v[4:5], v[4:5], v[10:11], v[8:9] op_sel_hi:[1,0,1]
	s_cbranch_scc0 .LBB34_3
	s_branch .LBB34_5
.LBB34_4:
	s_waitcnt lgkmcnt(0)
	v_mov_b32_e32 v4, s12
.LBB34_5:
	s_waitcnt vmcnt(0)
	v_div_scale_f32 v0, s[0:1], v4, v4, v5
	v_rcp_f32_e32 v1, v0
	v_div_scale_f32 v6, vcc, v5, v4, v5
	v_fma_f32 v7, -v0, v1, 1.0
	v_fmac_f32_e32 v1, v7, v1
	v_mul_f32_e32 v7, v6, v1
	v_fma_f32 v8, -v0, v7, v6
	v_fmac_f32_e32 v7, v8, v1
	v_fma_f32 v0, -v0, v7, v6
	v_div_fmas_f32 v0, v0, v1, v7
	v_div_fixup_f32 v0, v0, v4, v5
	global_store_dword v[2:3], v0, off
.LBB34_6:
	s_endpgm
	.section	.rodata,"a",@progbits
	.p2align	6, 0x0
	.amdhsa_kernel _ZL33flash_attn_stream_k_fixup_uniformILi256ELi4ELi2EEvPfPK15HIP_vector_typeIfLj2EEiiiiiiS1_IjLj3EES5_S5_
		.amdhsa_group_segment_fixed_size 0
		.amdhsa_private_segment_fixed_size 0
		.amdhsa_kernarg_size 76
		.amdhsa_user_sgpr_count 2
		.amdhsa_user_sgpr_dispatch_ptr 0
		.amdhsa_user_sgpr_queue_ptr 0
		.amdhsa_user_sgpr_kernarg_segment_ptr 1
		.amdhsa_user_sgpr_dispatch_id 0
		.amdhsa_user_sgpr_kernarg_preload_length 0
		.amdhsa_user_sgpr_kernarg_preload_offset 0
		.amdhsa_user_sgpr_private_segment_size 0
		.amdhsa_uses_dynamic_stack 0
		.amdhsa_enable_private_segment 0
		.amdhsa_system_sgpr_workgroup_id_x 1
		.amdhsa_system_sgpr_workgroup_id_y 1
		.amdhsa_system_sgpr_workgroup_id_z 1
		.amdhsa_system_sgpr_workgroup_info 0
		.amdhsa_system_vgpr_workitem_id 0
		.amdhsa_next_free_vgpr 17
		.amdhsa_next_free_sgpr 24
		.amdhsa_accum_offset 20
		.amdhsa_reserve_vcc 1
		.amdhsa_float_round_mode_32 0
		.amdhsa_float_round_mode_16_64 0
		.amdhsa_float_denorm_mode_32 3
		.amdhsa_float_denorm_mode_16_64 3
		.amdhsa_dx10_clamp 1
		.amdhsa_ieee_mode 1
		.amdhsa_fp16_overflow 0
		.amdhsa_tg_split 0
		.amdhsa_exception_fp_ieee_invalid_op 0
		.amdhsa_exception_fp_denorm_src 0
		.amdhsa_exception_fp_ieee_div_zero 0
		.amdhsa_exception_fp_ieee_overflow 0
		.amdhsa_exception_fp_ieee_underflow 0
		.amdhsa_exception_fp_ieee_inexact 0
		.amdhsa_exception_int_div_zero 0
	.end_amdhsa_kernel
	.section	.text._ZL33flash_attn_stream_k_fixup_uniformILi256ELi4ELi2EEvPfPK15HIP_vector_typeIfLj2EEiiiiiiS1_IjLj3EES5_S5_,"axG",@progbits,_ZL33flash_attn_stream_k_fixup_uniformILi256ELi4ELi2EEvPfPK15HIP_vector_typeIfLj2EEiiiiiiS1_IjLj3EES5_S5_,comdat
.Lfunc_end34:
	.size	_ZL33flash_attn_stream_k_fixup_uniformILi256ELi4ELi2EEvPfPK15HIP_vector_typeIfLj2EEiiiiiiS1_IjLj3EES5_S5_, .Lfunc_end34-_ZL33flash_attn_stream_k_fixup_uniformILi256ELi4ELi2EEvPfPK15HIP_vector_typeIfLj2EEiiiiiiS1_IjLj3EES5_S5_
                                        ; -- End function
	.set _ZL33flash_attn_stream_k_fixup_uniformILi256ELi4ELi2EEvPfPK15HIP_vector_typeIfLj2EEiiiiiiS1_IjLj3EES5_S5_.num_vgpr, 17
	.set _ZL33flash_attn_stream_k_fixup_uniformILi256ELi4ELi2EEvPfPK15HIP_vector_typeIfLj2EEiiiiiiS1_IjLj3EES5_S5_.num_agpr, 0
	.set _ZL33flash_attn_stream_k_fixup_uniformILi256ELi4ELi2EEvPfPK15HIP_vector_typeIfLj2EEiiiiiiS1_IjLj3EES5_S5_.numbered_sgpr, 24
	.set _ZL33flash_attn_stream_k_fixup_uniformILi256ELi4ELi2EEvPfPK15HIP_vector_typeIfLj2EEiiiiiiS1_IjLj3EES5_S5_.num_named_barrier, 0
	.set _ZL33flash_attn_stream_k_fixup_uniformILi256ELi4ELi2EEvPfPK15HIP_vector_typeIfLj2EEiiiiiiS1_IjLj3EES5_S5_.private_seg_size, 0
	.set _ZL33flash_attn_stream_k_fixup_uniformILi256ELi4ELi2EEvPfPK15HIP_vector_typeIfLj2EEiiiiiiS1_IjLj3EES5_S5_.uses_vcc, 1
	.set _ZL33flash_attn_stream_k_fixup_uniformILi256ELi4ELi2EEvPfPK15HIP_vector_typeIfLj2EEiiiiiiS1_IjLj3EES5_S5_.uses_flat_scratch, 0
	.set _ZL33flash_attn_stream_k_fixup_uniformILi256ELi4ELi2EEvPfPK15HIP_vector_typeIfLj2EEiiiiiiS1_IjLj3EES5_S5_.has_dyn_sized_stack, 0
	.set _ZL33flash_attn_stream_k_fixup_uniformILi256ELi4ELi2EEvPfPK15HIP_vector_typeIfLj2EEiiiiiiS1_IjLj3EES5_S5_.has_recursion, 0
	.set _ZL33flash_attn_stream_k_fixup_uniformILi256ELi4ELi2EEvPfPK15HIP_vector_typeIfLj2EEiiiiiiS1_IjLj3EES5_S5_.has_indirect_call, 0
	.section	.AMDGPU.csdata,"",@progbits
; Kernel info:
; codeLenInByte = 836
; TotalNumSgprs: 30
; NumVgprs: 17
; NumAgprs: 0
; TotalNumVgprs: 17
; ScratchSize: 0
; MemoryBound: 0
; FloatMode: 240
; IeeeMode: 1
; LDSByteSize: 0 bytes/workgroup (compile time only)
; SGPRBlocks: 3
; VGPRBlocks: 2
; NumSGPRsForWavesPerEU: 30
; NumVGPRsForWavesPerEU: 17
; AccumOffset: 20
; Occupancy: 8
; WaveLimiterHint : 0
; COMPUTE_PGM_RSRC2:SCRATCH_EN: 0
; COMPUTE_PGM_RSRC2:USER_SGPR: 2
; COMPUTE_PGM_RSRC2:TRAP_HANDLER: 0
; COMPUTE_PGM_RSRC2:TGID_X_EN: 1
; COMPUTE_PGM_RSRC2:TGID_Y_EN: 1
; COMPUTE_PGM_RSRC2:TGID_Z_EN: 1
; COMPUTE_PGM_RSRC2:TIDIG_COMP_CNT: 0
; COMPUTE_PGM_RSRC3_GFX90A:ACCUM_OFFSET: 4
; COMPUTE_PGM_RSRC3_GFX90A:TG_SPLIT: 0
	.section	.text._ZL33flash_attn_stream_k_fixup_generalILi256ELi4ELi2EEvPfPK15HIP_vector_typeIfLj2EEiiiiS1_IjLj3EES5_S5_S5_,"axG",@progbits,_ZL33flash_attn_stream_k_fixup_generalILi256ELi4ELi2EEvPfPK15HIP_vector_typeIfLj2EEiiiiS1_IjLj3EES5_S5_S5_,comdat
	.globl	_ZL33flash_attn_stream_k_fixup_generalILi256ELi4ELi2EEvPfPK15HIP_vector_typeIfLj2EEiiiiS1_IjLj3EES5_S5_S5_ ; -- Begin function _ZL33flash_attn_stream_k_fixup_generalILi256ELi4ELi2EEvPfPK15HIP_vector_typeIfLj2EEiiiiS1_IjLj3EES5_S5_S5_
	.p2align	8
	.type	_ZL33flash_attn_stream_k_fixup_generalILi256ELi4ELi2EEvPfPK15HIP_vector_typeIfLj2EEiiiiS1_IjLj3EES5_S5_S5_,@function
_ZL33flash_attn_stream_k_fixup_generalILi256ELi4ELi2EEvPfPK15HIP_vector_typeIfLj2EEiiiiS1_IjLj3EES5_S5_S5_: ; @_ZL33flash_attn_stream_k_fixup_generalILi256ELi4ELi2EEvPfPK15HIP_vector_typeIfLj2EEiiiiS1_IjLj3EES5_S5_S5_
; %bb.0:
	s_load_dwordx4 s[8:11], s[0:1], 0x10
	s_load_dword s22, s[0:1], 0x50
	s_mov_b32 s12, 0
	s_waitcnt lgkmcnt(0)
	s_mul_hi_i32 s13, s11, s2
	s_cmp_lg_u64 s[12:13], 0
	s_mul_i32 s5, s11, s2
	s_cbranch_scc0 .LBB35_20
; %bb.1:
	s_add_u32 s6, s22, 0
	s_addc_u32 s7, 0, 0
	s_xor_b64 s[6:7], s[6:7], 0
	v_cvt_f32_u32_e32 v1, s6
	v_cvt_f32_u32_e32 v2, s7
	s_sub_u32 s12, 0, s6
	s_subb_u32 s18, 0, s7
	v_fmamk_f32 v1, v2, 0x4f800000, v1
	v_rcp_f32_e32 v1, v1
	s_nop 0
	v_mul_f32_e32 v1, 0x5f7ffffc, v1
	v_mul_f32_e32 v2, 0x2f800000, v1
	v_trunc_f32_e32 v2, v2
	v_fmamk_f32 v1, v2, 0xcf800000, v1
	v_cvt_u32_f32_e32 v2, v2
	v_cvt_u32_f32_e32 v1, v1
	v_readfirstlane_b32 s19, v2
	v_readfirstlane_b32 s14, v1
	s_mul_i32 s15, s12, s19
	s_mul_hi_u32 s21, s12, s14
	s_mul_i32 s20, s18, s14
	s_add_i32 s15, s21, s15
	s_add_i32 s15, s15, s20
	s_mul_i32 s23, s12, s14
	s_mul_i32 s21, s14, s15
	s_mul_hi_u32 s24, s14, s23
	s_mul_hi_u32 s20, s14, s15
	s_add_u32 s21, s24, s21
	s_addc_u32 s20, 0, s20
	s_mul_hi_u32 s25, s19, s23
	s_mul_i32 s23, s19, s23
	s_add_u32 s21, s21, s23
	s_mul_hi_u32 s24, s19, s15
	s_addc_u32 s20, s20, s25
	s_addc_u32 s21, s24, 0
	s_mul_i32 s15, s19, s15
	s_add_u32 s15, s20, s15
	s_addc_u32 s20, 0, s21
	s_add_u32 s21, s14, s15
	s_cselect_b64 s[14:15], -1, 0
	s_cmp_lg_u64 s[14:15], 0
	s_addc_u32 s19, s19, s20
	s_mul_i32 s14, s12, s19
	s_mul_hi_u32 s15, s12, s21
	s_add_i32 s14, s15, s14
	s_mul_i32 s18, s18, s21
	s_add_i32 s14, s14, s18
	s_mul_i32 s12, s12, s21
	s_mul_hi_u32 s18, s19, s12
	s_mul_i32 s20, s19, s12
	s_mul_i32 s24, s21, s14
	s_mul_hi_u32 s12, s21, s12
	s_mul_hi_u32 s23, s21, s14
	s_add_u32 s12, s12, s24
	s_addc_u32 s23, 0, s23
	s_add_u32 s12, s12, s20
	s_mul_hi_u32 s15, s19, s14
	s_addc_u32 s12, s23, s18
	s_addc_u32 s15, s15, 0
	s_mul_i32 s14, s19, s14
	s_add_u32 s12, s12, s14
	s_addc_u32 s18, 0, s15
	s_add_u32 s20, s21, s12
	s_cselect_b64 s[14:15], -1, 0
	s_cmp_lg_u64 s[14:15], 0
	s_addc_u32 s18, s19, s18
	s_ashr_i32 s14, s13, 31
	s_add_u32 s12, s5, s14
	s_mov_b32 s15, s14
	s_addc_u32 s13, s13, s14
	s_xor_b64 s[12:13], s[12:13], s[14:15]
	s_mul_i32 s21, s12, s18
	s_mul_hi_u32 s23, s12, s20
	s_mul_hi_u32 s19, s12, s18
	s_add_u32 s21, s23, s21
	s_addc_u32 s19, 0, s19
	s_mul_hi_u32 s24, s13, s20
	s_mul_i32 s20, s13, s20
	s_add_u32 s20, s21, s20
	s_mul_hi_u32 s23, s13, s18
	s_addc_u32 s19, s19, s24
	s_addc_u32 s20, s23, 0
	s_mul_i32 s18, s13, s18
	s_add_u32 s23, s19, s18
	s_addc_u32 s24, 0, s20
	s_mul_i32 s18, s6, s24
	s_mul_hi_u32 s19, s6, s23
	s_add_i32 s18, s19, s18
	s_mul_i32 s19, s7, s23
	s_add_i32 s25, s18, s19
	s_sub_i32 s20, s13, s25
	s_mul_i32 s18, s6, s23
	s_sub_u32 s12, s12, s18
	s_cselect_b64 s[18:19], -1, 0
	s_cmp_lg_u64 s[18:19], 0
	s_subb_u32 s26, s20, s7
	s_sub_u32 s27, s12, s6
	s_cselect_b64 s[20:21], -1, 0
	s_cmp_lg_u64 s[20:21], 0
	s_subb_u32 s20, s26, 0
	s_cmp_ge_u32 s20, s7
	s_cselect_b32 s21, -1, 0
	s_cmp_ge_u32 s27, s6
	s_cselect_b32 s26, -1, 0
	s_cmp_eq_u32 s20, s7
	s_cselect_b32 s20, s26, s21
	s_add_u32 s21, s23, 1
	s_addc_u32 s26, s24, 0
	s_add_u32 s27, s23, 2
	s_addc_u32 s28, s24, 0
	s_cmp_lg_u32 s20, 0
	s_cselect_b32 s20, s27, s21
	s_cselect_b32 s21, s28, s26
	s_cmp_lg_u64 s[18:19], 0
	s_subb_u32 s13, s13, s25
	s_cmp_ge_u32 s13, s7
	s_cselect_b32 s18, -1, 0
	s_cmp_ge_u32 s12, s6
	s_cselect_b32 s6, -1, 0
	s_cmp_eq_u32 s13, s7
	s_cselect_b32 s6, s6, s18
	s_cmp_lg_u32 s6, 0
	s_cselect_b32 s7, s21, s24
	s_cselect_b32 s6, s20, s23
	s_xor_b64 s[12:13], s[14:15], 0
	s_xor_b64 s[6:7], s[6:7], s[12:13]
	s_sub_u32 s6, s6, s12
	s_load_dwordx4 s[12:15], s[0:1], 0x44
	s_cbranch_execnz .LBB35_3
.LBB35_2:
	v_cvt_f32_u32_e32 v1, s22
	s_sub_i32 s6, 0, s22
	v_rcp_iflag_f32_e32 v1, v1
	s_nop 0
	v_mul_f32_e32 v1, 0x4f7ffffe, v1
	v_cvt_u32_f32_e32 v1, v1
	s_nop 0
	v_readfirstlane_b32 s7, v1
	s_mul_i32 s6, s6, s7
	s_mul_hi_u32 s6, s7, s6
	s_add_i32 s7, s7, s6
	s_mul_hi_u32 s6, s5, s7
	s_waitcnt lgkmcnt(0)
	s_mul_i32 s15, s6, s22
	s_sub_i32 s5, s5, s15
	s_add_i32 s7, s6, 1
	s_sub_i32 s15, s5, s22
	s_cmp_ge_u32 s5, s22
	s_cselect_b32 s6, s7, s6
	s_cselect_b32 s5, s15, s5
	s_add_i32 s7, s6, 1
	s_cmp_ge_u32 s5, s22
	s_cselect_b32 s6, s7, s6
.LBB35_3:
	s_add_i32 s5, s2, 1
	s_mul_hi_i32 s21, s11, s5
	s_mov_b32 s20, 0
	s_cmp_lg_u64 s[20:21], 0
	s_mul_i32 s5, s11, s5
	s_cbranch_scc0 .LBB35_21
; %bb.4:
	s_add_u32 s16, s22, 0
	s_addc_u32 s17, 0, 0
	s_xor_b64 s[18:19], s[16:17], 0
	v_cvt_f32_u32_e32 v1, s18
	v_cvt_f32_u32_e32 v2, s19
	s_sub_u32 s7, 0, s18
	s_waitcnt lgkmcnt(0)
	s_subb_u32 s15, 0, s19
	v_fmamk_f32 v1, v2, 0x4f800000, v1
	v_rcp_f32_e32 v1, v1
	s_nop 0
	v_mul_f32_e32 v1, 0x5f7ffffc, v1
	v_mul_f32_e32 v2, 0x2f800000, v1
	v_trunc_f32_e32 v2, v2
	v_fmamk_f32 v1, v2, 0xcf800000, v1
	v_cvt_u32_f32_e32 v2, v2
	v_cvt_u32_f32_e32 v1, v1
	v_readfirstlane_b32 s20, v2
	v_readfirstlane_b32 s23, v1
	s_mul_i32 s24, s7, s20
	s_mul_hi_u32 s26, s7, s23
	s_mul_i32 s25, s15, s23
	s_add_i32 s24, s26, s24
	s_add_i32 s24, s24, s25
	s_mul_i32 s27, s7, s23
	s_mul_i32 s26, s23, s24
	s_mul_hi_u32 s28, s23, s27
	s_mul_hi_u32 s25, s23, s24
	s_add_u32 s26, s28, s26
	s_addc_u32 s25, 0, s25
	s_mul_hi_u32 s29, s20, s27
	s_mul_i32 s27, s20, s27
	s_add_u32 s26, s26, s27
	s_mul_hi_u32 s28, s20, s24
	s_addc_u32 s25, s25, s29
	s_addc_u32 s26, s28, 0
	s_mul_i32 s24, s20, s24
	s_add_u32 s24, s25, s24
	s_addc_u32 s26, 0, s26
	s_add_u32 s23, s23, s24
	s_cselect_b64 s[24:25], -1, 0
	s_cmp_lg_u64 s[24:25], 0
	s_addc_u32 s20, s20, s26
	s_mul_i32 s24, s7, s20
	s_mul_hi_u32 s25, s7, s23
	s_add_i32 s24, s25, s24
	s_mul_i32 s15, s15, s23
	s_add_i32 s24, s24, s15
	s_mul_i32 s7, s7, s23
	s_mul_hi_u32 s25, s20, s7
	s_mul_i32 s26, s20, s7
	s_mul_i32 s28, s23, s24
	s_mul_hi_u32 s7, s23, s7
	s_mul_hi_u32 s27, s23, s24
	s_add_u32 s7, s7, s28
	s_addc_u32 s27, 0, s27
	s_add_u32 s7, s7, s26
	s_mul_hi_u32 s15, s20, s24
	s_addc_u32 s7, s27, s25
	s_addc_u32 s15, s15, 0
	s_mul_i32 s24, s20, s24
	s_add_u32 s7, s7, s24
	s_addc_u32 s15, 0, s15
	s_add_u32 s7, s23, s7
	s_cselect_b64 s[24:25], -1, 0
	s_cmp_lg_u64 s[24:25], 0
	s_addc_u32 s15, s20, s15
	s_ashr_i32 s24, s21, 31
	s_add_u32 s20, s5, s24
	s_mov_b32 s25, s24
	s_addc_u32 s21, s21, s24
	s_xor_b64 s[20:21], s[20:21], s[24:25]
	s_mul_i32 s26, s20, s15
	s_mul_hi_u32 s27, s20, s7
	s_mul_hi_u32 s23, s20, s15
	s_add_u32 s26, s27, s26
	s_addc_u32 s23, 0, s23
	s_mul_hi_u32 s28, s21, s7
	s_mul_i32 s7, s21, s7
	s_add_u32 s7, s26, s7
	s_mul_hi_u32 s27, s21, s15
	s_addc_u32 s7, s23, s28
	s_addc_u32 s23, s27, 0
	s_mul_i32 s15, s21, s15
	s_add_u32 s7, s7, s15
	s_addc_u32 s15, 0, s23
	s_mul_i32 s23, s18, s15
	s_mul_hi_u32 s26, s18, s7
	s_add_i32 s23, s26, s23
	s_mul_i32 s26, s19, s7
	s_add_i32 s23, s23, s26
	s_sub_i32 s28, s21, s23
	s_mul_i32 s26, s18, s7
	s_sub_u32 s20, s20, s26
	s_cselect_b64 s[26:27], -1, 0
	s_cmp_lg_u64 s[26:27], 0
	s_subb_u32 s30, s28, s19
	s_sub_u32 s31, s20, s18
	s_cselect_b64 s[28:29], -1, 0
	s_cmp_lg_u64 s[28:29], 0
	s_subb_u32 s28, s30, 0
	s_cmp_ge_u32 s28, s19
	s_cselect_b32 s29, -1, 0
	s_cmp_ge_u32 s31, s18
	s_cselect_b32 s30, -1, 0
	s_cmp_eq_u32 s28, s19
	s_cselect_b32 s28, s30, s29
	s_add_u32 s29, s7, 1
	s_addc_u32 s30, s15, 0
	s_add_u32 s31, s7, 2
	s_addc_u32 s33, s15, 0
	s_cmp_lg_u32 s28, 0
	s_cselect_b32 s28, s31, s29
	s_cselect_b32 s29, s33, s30
	s_cmp_lg_u64 s[26:27], 0
	s_subb_u32 s21, s21, s23
	s_cmp_ge_u32 s21, s19
	s_cselect_b32 s23, -1, 0
	s_cmp_ge_u32 s20, s18
	s_cselect_b32 s18, -1, 0
	s_cmp_eq_u32 s21, s19
	s_cselect_b32 s18, s18, s23
	s_cmp_lg_u32 s18, 0
	s_cselect_b32 s19, s29, s15
	s_cselect_b32 s18, s28, s7
	s_xor_b64 s[20:21], s[24:25], 0
	s_xor_b64 s[18:19], s[18:19], s[20:21]
	s_sub_u32 s18, s18, s20
	s_cbranch_execnz .LBB35_6
.LBB35_5:
	v_cvt_f32_u32_e32 v1, s22
	s_sub_i32 s7, 0, s22
	v_rcp_iflag_f32_e32 v1, v1
	s_nop 0
	v_mul_f32_e32 v1, 0x4f7ffffe, v1
	v_cvt_u32_f32_e32 v1, v1
	s_waitcnt lgkmcnt(0)
	v_readfirstlane_b32 s15, v1
	s_mul_i32 s7, s7, s15
	s_mul_hi_u32 s7, s15, s7
	s_add_i32 s15, s15, s7
	s_mul_hi_u32 s7, s5, s15
	s_mul_i32 s16, s7, s22
	s_sub_i32 s5, s5, s16
	s_add_i32 s15, s7, 1
	s_sub_i32 s16, s5, s22
	s_cmp_ge_u32 s5, s22
	s_cselect_b32 s7, s15, s7
	s_cselect_b32 s5, s16, s5
	s_add_i32 s15, s7, 1
	s_cmp_ge_u32 s5, s22
	s_cselect_b32 s18, s15, s7
.LBB35_6:
	s_cmp_eq_u32 s6, s18
	s_waitcnt lgkmcnt(0)
	s_mul_hi_u32 s5, s6, s12
	s_cselect_b64 s[16:17], -1, 0
	s_add_i32 s5, s5, s6
	s_lshr_b32 s7, s5, s13
	s_mul_i32 s5, s7, s14
	s_cmp_eq_u32 s5, s6
	s_mul_hi_u32 s5, s18, s12
	s_cselect_b64 s[20:21], -1, 0
	s_add_i32 s5, s5, s18
	s_lshr_b32 s5, s5, s13
	s_cmp_eq_u32 s7, s5
	s_mul_i32 s5, s5, s14
	s_cselect_b64 s[24:25], -1, 0
	s_cmp_lg_u32 s5, s18
	s_cselect_b64 s[18:19], -1, 0
	s_and_b64 s[18:19], s[24:25], s[18:19]
	s_or_b64 s[16:17], s[16:17], s[20:21]
	s_or_b64 s[16:17], s[16:17], s[18:19]
	s_and_b64 vcc, exec, s[16:17]
	s_cbranch_vccnz .LBB35_23
; %bb.7:
	s_load_dwordx8 s[24:31], s[0:1], 0x20
	s_load_dword s15, s[0:1], 0x40
	s_waitcnt lgkmcnt(0)
	s_mul_hi_u32 s5, s6, s24
	s_add_i32 s5, s5, s6
	s_lshr_b32 s5, s5, s25
	s_mul_i32 s16, s5, s26
	s_sub_i32 s16, s6, s16
	s_mul_hi_u32 s17, s16, s27
	s_add_i32 s17, s16, s17
	s_lshr_b32 s20, s17, s28
	s_mul_i32 s17, s20, s29
	s_sub_i32 s16, s16, s17
	;; [unrolled: 5-line block ×3, first 2 shown]
	s_mul_hi_u32 s16, s15, s12
	s_add_i32 s15, s15, s16
	s_lshr_b32 s23, s15, s13
	s_lshl_b32 s15, s23, 2
	s_lshl_b32 s21, s17, 1
	s_add_i32 s15, s15, s3
	s_cmp_lt_i32 s15, s8
	s_cselect_b64 s[16:17], -1, 0
	s_add_i32 s15, s21, s4
	s_cmp_lt_i32 s15, s10
	s_cselect_b64 s[18:19], -1, 0
	s_and_b64 s[16:17], s[16:17], s[18:19]
	s_andn2_b64 vcc, exec, s[16:17]
	s_cbranch_vccnz .LBB35_23
; %bb.8:
	s_load_dwordx4 s[16:19], s[0:1], 0x0
	s_mov_b32 s0, 0
	s_lshl_b32 s15, s3, 1
	s_lshl_b32 s24, s22, 5
	s_mov_b32 s25, s0
	s_add_i32 s15, s15, s4
	s_waitcnt lgkmcnt(0)
	v_mov_b32_e32 v2, s16
	v_mov_b32_e32 v3, s17
	s_lshl_b64 s[16:17], s[24:25], 2
	s_add_u32 s16, s18, s16
	s_mul_i32 s1, s5, s8
	s_addc_u32 s17, s19, s17
	s_add_i32 s1, s1, s3
	s_mul_i32 s1, s1, s9
	s_mul_i32 s20, s20, s10
	s_add_i32 s1, s1, s4
	s_add_i32 s1, s1, s20
	s_mul_i32 s5, s9, s23
	s_add_i32 s1, s1, s21
	s_lshl_b32 s5, s5, 10
	s_lshl_b32 s1, s1, 8
	s_add_i32 s5, s5, s1
	v_or_b32_e32 v4, s5, v0
	v_ashrrev_i32_e32 v5, 31, v4
	v_lshl_add_u64 v[2:3], v[4:5], 2, v[2:3]
	global_load_dword v1, v[2:3], off
	v_cvt_f32_u32_e32 v4, s22
	s_lshl_b32 s1, s2, 3
	s_add_i32 s4, s15, s1
	s_ashr_i32 s5, s4, 31
	s_lshl_b64 s[4:5], s[4:5], 3
	v_rcp_iflag_f32_e32 v4, v4
	s_add_u32 s4, s18, s4
	s_addc_u32 s5, s19, s5
	s_load_dwordx2 s[4:5], s[4:5], 0x0
	v_mul_f32_e32 v4, 0x4f7ffffe, v4
	v_cvt_u32_f32_e32 v7, v4
	s_add_i32 s24, s2, -1
	v_lshl_or_b32 v6, s15, 8, v0
	s_waitcnt lgkmcnt(0)
	v_mov_b32_e32 v0, s5
	v_mov_b32_e32 v9, s4
	s_mov_b32 s10, 0x3fb8aa3b
	s_mov_b32 s20, 0xc2ce8ed0
	;; [unrolled: 1-line block ×4, first 2 shown]
	v_mov_b32_e32 v8, 0x7f800000
	s_mul_hi_i32 s1, s24, s11
	s_cmp_lg_u64 s[0:1], 0
	s_mul_i32 s8, s24, s11
	s_cbranch_scc0 .LBB35_19
.LBB35_9:
	s_add_u32 s2, s22, 0
	s_addc_u32 s3, 0, 0
	s_xor_b64 s[2:3], s[2:3], 0
	v_cvt_f32_u32_e32 v4, s2
	v_cvt_f32_u32_e32 v5, s3
	s_sub_u32 s9, 0, s2
	s_subb_u32 s25, 0, s3
	v_fmac_f32_e32 v4, 0x4f800000, v5
	v_rcp_f32_e32 v4, v4
	s_nop 0
	v_mul_f32_e32 v4, 0x5f7ffffc, v4
	v_mul_f32_e32 v5, 0x2f800000, v4
	v_trunc_f32_e32 v5, v5
	v_fmac_f32_e32 v4, 0xcf800000, v5
	v_cvt_u32_f32_e32 v5, v5
	v_cvt_u32_f32_e32 v4, v4
	v_readfirstlane_b32 s26, v5
	v_readfirstlane_b32 s4, v4
	s_mul_i32 s5, s9, s26
	s_mul_hi_u32 s28, s9, s4
	s_mul_i32 s27, s25, s4
	s_add_i32 s5, s28, s5
	s_mul_i32 s29, s9, s4
	s_add_i32 s5, s5, s27
	s_mul_i32 s28, s4, s5
	s_mul_hi_u32 s30, s4, s29
	s_mul_hi_u32 s27, s4, s5
	s_add_u32 s28, s30, s28
	s_addc_u32 s27, 0, s27
	s_mul_hi_u32 s31, s26, s29
	s_mul_i32 s29, s26, s29
	s_add_u32 s28, s28, s29
	s_mul_hi_u32 s30, s26, s5
	s_addc_u32 s27, s27, s31
	s_addc_u32 s28, s30, 0
	s_mul_i32 s5, s26, s5
	s_add_u32 s5, s27, s5
	s_addc_u32 s27, 0, s28
	s_add_u32 s28, s4, s5
	s_cselect_b64 s[4:5], -1, 0
	s_cmp_lg_u64 s[4:5], 0
	s_addc_u32 s26, s26, s27
	s_mul_i32 s4, s9, s26
	s_mul_hi_u32 s5, s9, s28
	s_add_i32 s4, s5, s4
	s_mul_i32 s25, s25, s28
	s_add_i32 s4, s4, s25
	s_mul_i32 s9, s9, s28
	s_mul_hi_u32 s25, s26, s9
	s_mul_i32 s27, s26, s9
	s_mul_i32 s30, s28, s4
	s_mul_hi_u32 s9, s28, s9
	s_mul_hi_u32 s29, s28, s4
	s_add_u32 s9, s9, s30
	s_addc_u32 s29, 0, s29
	s_add_u32 s9, s9, s27
	s_mul_hi_u32 s5, s26, s4
	s_addc_u32 s9, s29, s25
	s_addc_u32 s5, s5, 0
	s_mul_i32 s4, s26, s4
	s_add_u32 s4, s9, s4
	s_addc_u32 s9, 0, s5
	s_add_u32 s25, s28, s4
	s_cselect_b64 s[4:5], -1, 0
	s_cmp_lg_u64 s[4:5], 0
	s_addc_u32 s9, s26, s9
	s_ashr_i32 s4, s1, 31
	s_add_u32 s26, s8, s4
	s_mov_b32 s5, s4
	s_addc_u32 s27, s1, s4
	s_xor_b64 s[26:27], s[26:27], s[4:5]
	s_mul_i32 s28, s26, s9
	s_mul_hi_u32 s29, s26, s25
	s_mul_hi_u32 s1, s26, s9
	s_add_u32 s28, s29, s28
	s_addc_u32 s1, 0, s1
	s_mul_hi_u32 s30, s27, s25
	s_mul_i32 s25, s27, s25
	s_add_u32 s25, s28, s25
	s_mul_hi_u32 s29, s27, s9
	s_addc_u32 s1, s1, s30
	s_addc_u32 s25, s29, 0
	s_mul_i32 s9, s27, s9
	s_add_u32 s1, s1, s9
	s_addc_u32 s9, 0, s25
	s_mul_i32 s25, s2, s9
	s_mul_hi_u32 s28, s2, s1
	s_add_i32 s25, s28, s25
	s_mul_i32 s28, s3, s1
	s_add_i32 s25, s25, s28
	s_sub_i32 s30, s27, s25
	s_mul_i32 s28, s2, s1
	s_sub_u32 s26, s26, s28
	s_cselect_b64 s[28:29], -1, 0
	s_cmp_lg_u64 s[28:29], 0
	s_subb_u32 s33, s30, s3
	s_sub_u32 s34, s26, s2
	s_cselect_b64 s[30:31], -1, 0
	s_cmp_lg_u64 s[30:31], 0
	s_subb_u32 s30, s33, 0
	s_cmp_ge_u32 s30, s3
	s_cselect_b32 s31, -1, 0
	s_cmp_ge_u32 s34, s2
	s_cselect_b32 s33, -1, 0
	s_cmp_eq_u32 s30, s3
	s_cselect_b32 s30, s33, s31
	s_add_u32 s31, s1, 1
	s_addc_u32 s33, s9, 0
	s_add_u32 s34, s1, 2
	s_addc_u32 s35, s9, 0
	s_cmp_lg_u32 s30, 0
	s_cselect_b32 s30, s34, s31
	s_cselect_b32 s31, s35, s33
	s_cmp_lg_u64 s[28:29], 0
	s_subb_u32 s25, s27, s25
	s_cmp_ge_u32 s25, s3
	s_cselect_b32 s27, -1, 0
	s_cmp_ge_u32 s26, s2
	s_cselect_b32 s2, -1, 0
	s_cmp_eq_u32 s25, s3
	s_cselect_b32 s2, s2, s27
	s_cmp_lg_u32 s2, 0
	s_cselect_b32 s3, s31, s9
	s_cselect_b32 s2, s30, s1
	s_xor_b64 s[4:5], s[4:5], 0
	s_xor_b64 s[2:3], s[2:3], s[4:5]
	s_sub_u32 s4, s2, s4
	s_cbranch_execnz .LBB35_11
.LBB35_10:
	s_sub_i32 s1, 0, s22
	v_readfirstlane_b32 s2, v7
	s_mul_i32 s1, s1, s2
	s_mul_hi_u32 s1, s2, s1
	s_add_i32 s2, s2, s1
	s_mul_hi_u32 s1, s8, s2
	s_mul_i32 s3, s1, s22
	s_sub_i32 s3, s8, s3
	s_add_i32 s2, s1, 1
	s_sub_i32 s4, s3, s22
	s_cmp_ge_u32 s3, s22
	s_cselect_b32 s1, s2, s1
	s_cselect_b32 s3, s4, s3
	s_add_i32 s2, s1, 1
	s_cmp_ge_u32 s3, s22
	s_cselect_b32 s4, s2, s1
.LBB35_11:
	s_cmp_lg_u32 s6, s4
	s_cbranch_scc0 .LBB35_15
; %bb.12:
	s_add_i32 s1, s24, s22
	s_lshl_b32 s1, s1, 3
	s_add_i32 s2, s1, s15
	s_mov_b32 s3, s0
	s_lshl_b64 s[2:3], s[2:3], 3
	s_add_u32 s8, s18, s2
	s_mul_hi_u32 s1, s4, s12
	s_addc_u32 s9, s19, s3
	s_add_i32 s1, s1, s4
	s_lshr_b32 s1, s1, s13
	s_mul_i32 s2, s1, s14
	s_cmp_eq_u32 s2, s4
	s_cselect_b64 s[2:3], -1, 0
	s_cmp_lt_u32 s1, s7
	s_cselect_b64 s[26:27], -1, 0
	s_or_b64 s[26:27], s[26:27], s[2:3]
	s_mov_b64 s[2:3], -1
	s_and_b64 vcc, exec, s[26:27]
	s_mov_b32 s1, s24
	s_mov_b32 s25, s6
	s_cbranch_vccnz .LBB35_14
; %bb.13:
	s_add_i32 s1, s24, -1
	s_mov_b64 s[2:3], 0
	s_mov_b32 s25, s4
.LBB35_14:
	v_lshl_add_u32 v4, s24, 11, v6
	v_ashrrev_i32_e32 v5, 31, v4
	v_lshl_add_u64 v[4:5], v[4:5], 2, s[16:17]
	global_load_dword v5, v[4:5], off
	s_load_dwordx2 s[4:5], s[8:9], 0x0
	v_max_f32_e32 v4, v9, v9
	s_waitcnt lgkmcnt(0)
	v_max_f32_e64 v10, s4, s4
	v_max_f32_e32 v10, v4, v10
	v_sub_f32_e32 v11, v9, v10
	v_sub_f32_e32 v13, s4, v10
	v_mul_f32_e32 v4, 0x3fb8aa3b, v11
	v_mul_f32_e32 v12, 0x3fb8aa3b, v13
	v_fma_f32 v14, v11, s10, -v4
	v_rndne_f32_e32 v15, v4
	v_fma_f32 v16, v13, s10, -v12
	v_rndne_f32_e32 v17, v12
	v_fmac_f32_e32 v14, 0x32a5705f, v11
	v_sub_f32_e32 v4, v4, v15
	v_fmac_f32_e32 v16, 0x32a5705f, v13
	v_sub_f32_e32 v12, v12, v17
	v_add_f32_e32 v4, v4, v14
	v_cvt_i32_f32_e32 v15, v15
	v_add_f32_e32 v12, v12, v16
	v_exp_f32_e32 v14, v4
	v_cvt_i32_f32_e32 v17, v17
	v_exp_f32_e32 v12, v12
	v_cmp_ngt_f32_e32 vcc, s20, v11
	v_ldexp_f32 v14, v14, v15
	v_mov_b32_e32 v4, s5
	v_ldexp_f32 v12, v12, v17
	v_cndmask_b32_e32 v14, 0, v14, vcc
	v_cmp_ngt_f32_e32 vcc, s20, v13
	s_nop 1
	v_cndmask_b32_e32 v12, 0, v12, vcc
	v_cmp_nlt_f32_e32 vcc, s21, v11
	s_nop 1
	v_cndmask_b32_e32 v14, v8, v14, vcc
	v_cmp_nlt_f32_e32 vcc, s21, v13
	s_nop 1
	v_cndmask_b32_e32 v15, v8, v12, vcc
	v_cmp_le_f32_e32 vcc, s23, v11
	s_nop 1
	v_cndmask_b32_e32 v12, 0, v14, vcc
	v_cmp_le_f32_e32 vcc, s23, v13
	s_nop 1
	v_cndmask_b32_e32 v14, 0, v15, vcc
	s_waitcnt vmcnt(0)
	v_pk_mul_f32 v[4:5], v[4:5], v[14:15] op_sel_hi:[1,0]
	s_nop 0
	v_pk_fma_f32 v[4:5], v[0:1], v[12:13], v[4:5] op_sel_hi:[1,0,1]
	s_cbranch_execz .LBB35_16
	s_branch .LBB35_17
.LBB35_15:
                                        ; implicit-def: $vgpr4_vgpr5
                                        ; implicit-def: $sgpr2_sgpr3
                                        ; implicit-def: $vgpr10
                                        ; implicit-def: $sgpr1
                                        ; implicit-def: $sgpr25
.LBB35_16:
	s_add_i32 s1, s24, -1
	s_mov_b64 s[2:3], 0
	s_mov_b32 s25, s6
	v_mov_b32_e32 v10, v9
	s_waitcnt vmcnt(0)
	v_mov_b64_e32 v[4:5], v[0:1]
.LBB35_17:
	s_andn2_b64 vcc, exec, s[2:3]
	s_cbranch_vccz .LBB35_22
; %bb.18:
	s_mov_b32 s6, s25
	s_mov_b32 s24, s1
	v_mov_b32_e32 v9, v10
	s_waitcnt vmcnt(0)
	v_mov_b64_e32 v[0:1], v[4:5]
	s_mul_hi_i32 s1, s24, s11
	s_cmp_lg_u64 s[0:1], 0
	s_mul_i32 s8, s24, s11
	s_cbranch_scc1 .LBB35_9
.LBB35_19:
                                        ; implicit-def: $sgpr4_sgpr5
	s_branch .LBB35_10
.LBB35_20:
                                        ; implicit-def: $sgpr6_sgpr7
	s_load_dwordx4 s[12:15], s[0:1], 0x44
	s_branch .LBB35_2
.LBB35_21:
                                        ; implicit-def: $sgpr18_sgpr19
	s_branch .LBB35_5
.LBB35_22:
	v_div_scale_f32 v0, s[0:1], v4, v4, v5
	s_waitcnt vmcnt(0)
	v_rcp_f32_e32 v1, v0
	v_div_scale_f32 v6, vcc, v5, v4, v5
	v_fma_f32 v7, -v0, v1, 1.0
	v_fmac_f32_e32 v1, v7, v1
	v_mul_f32_e32 v7, v6, v1
	v_fma_f32 v8, -v0, v7, v6
	v_fmac_f32_e32 v7, v8, v1
	v_fma_f32 v0, -v0, v7, v6
	v_div_fmas_f32 v0, v0, v1, v7
	v_div_fixup_f32 v0, v0, v4, v5
	global_store_dword v[2:3], v0, off
.LBB35_23:
	s_endpgm
	.section	.rodata,"a",@progbits
	.p2align	6, 0x0
	.amdhsa_kernel _ZL33flash_attn_stream_k_fixup_generalILi256ELi4ELi2EEvPfPK15HIP_vector_typeIfLj2EEiiiiS1_IjLj3EES5_S5_S5_
		.amdhsa_group_segment_fixed_size 0
		.amdhsa_private_segment_fixed_size 0
		.amdhsa_kernarg_size 336
		.amdhsa_user_sgpr_count 2
		.amdhsa_user_sgpr_dispatch_ptr 0
		.amdhsa_user_sgpr_queue_ptr 0
		.amdhsa_user_sgpr_kernarg_segment_ptr 1
		.amdhsa_user_sgpr_dispatch_id 0
		.amdhsa_user_sgpr_kernarg_preload_length 0
		.amdhsa_user_sgpr_kernarg_preload_offset 0
		.amdhsa_user_sgpr_private_segment_size 0
		.amdhsa_uses_dynamic_stack 0
		.amdhsa_enable_private_segment 0
		.amdhsa_system_sgpr_workgroup_id_x 1
		.amdhsa_system_sgpr_workgroup_id_y 1
		.amdhsa_system_sgpr_workgroup_id_z 1
		.amdhsa_system_sgpr_workgroup_info 0
		.amdhsa_system_vgpr_workitem_id 0
		.amdhsa_next_free_vgpr 18
		.amdhsa_next_free_sgpr 36
		.amdhsa_accum_offset 20
		.amdhsa_reserve_vcc 1
		.amdhsa_float_round_mode_32 0
		.amdhsa_float_round_mode_16_64 0
		.amdhsa_float_denorm_mode_32 3
		.amdhsa_float_denorm_mode_16_64 3
		.amdhsa_dx10_clamp 1
		.amdhsa_ieee_mode 1
		.amdhsa_fp16_overflow 0
		.amdhsa_tg_split 0
		.amdhsa_exception_fp_ieee_invalid_op 0
		.amdhsa_exception_fp_denorm_src 0
		.amdhsa_exception_fp_ieee_div_zero 0
		.amdhsa_exception_fp_ieee_overflow 0
		.amdhsa_exception_fp_ieee_underflow 0
		.amdhsa_exception_fp_ieee_inexact 0
		.amdhsa_exception_int_div_zero 0
	.end_amdhsa_kernel
	.section	.text._ZL33flash_attn_stream_k_fixup_generalILi256ELi4ELi2EEvPfPK15HIP_vector_typeIfLj2EEiiiiS1_IjLj3EES5_S5_S5_,"axG",@progbits,_ZL33flash_attn_stream_k_fixup_generalILi256ELi4ELi2EEvPfPK15HIP_vector_typeIfLj2EEiiiiS1_IjLj3EES5_S5_S5_,comdat
.Lfunc_end35:
	.size	_ZL33flash_attn_stream_k_fixup_generalILi256ELi4ELi2EEvPfPK15HIP_vector_typeIfLj2EEiiiiS1_IjLj3EES5_S5_S5_, .Lfunc_end35-_ZL33flash_attn_stream_k_fixup_generalILi256ELi4ELi2EEvPfPK15HIP_vector_typeIfLj2EEiiiiS1_IjLj3EES5_S5_S5_
                                        ; -- End function
	.set _ZL33flash_attn_stream_k_fixup_generalILi256ELi4ELi2EEvPfPK15HIP_vector_typeIfLj2EEiiiiS1_IjLj3EES5_S5_S5_.num_vgpr, 18
	.set _ZL33flash_attn_stream_k_fixup_generalILi256ELi4ELi2EEvPfPK15HIP_vector_typeIfLj2EEiiiiS1_IjLj3EES5_S5_S5_.num_agpr, 0
	.set _ZL33flash_attn_stream_k_fixup_generalILi256ELi4ELi2EEvPfPK15HIP_vector_typeIfLj2EEiiiiS1_IjLj3EES5_S5_S5_.numbered_sgpr, 36
	.set _ZL33flash_attn_stream_k_fixup_generalILi256ELi4ELi2EEvPfPK15HIP_vector_typeIfLj2EEiiiiS1_IjLj3EES5_S5_S5_.num_named_barrier, 0
	.set _ZL33flash_attn_stream_k_fixup_generalILi256ELi4ELi2EEvPfPK15HIP_vector_typeIfLj2EEiiiiS1_IjLj3EES5_S5_S5_.private_seg_size, 0
	.set _ZL33flash_attn_stream_k_fixup_generalILi256ELi4ELi2EEvPfPK15HIP_vector_typeIfLj2EEiiiiS1_IjLj3EES5_S5_S5_.uses_vcc, 1
	.set _ZL33flash_attn_stream_k_fixup_generalILi256ELi4ELi2EEvPfPK15HIP_vector_typeIfLj2EEiiiiS1_IjLj3EES5_S5_S5_.uses_flat_scratch, 0
	.set _ZL33flash_attn_stream_k_fixup_generalILi256ELi4ELi2EEvPfPK15HIP_vector_typeIfLj2EEiiiiS1_IjLj3EES5_S5_S5_.has_dyn_sized_stack, 0
	.set _ZL33flash_attn_stream_k_fixup_generalILi256ELi4ELi2EEvPfPK15HIP_vector_typeIfLj2EEiiiiS1_IjLj3EES5_S5_S5_.has_recursion, 0
	.set _ZL33flash_attn_stream_k_fixup_generalILi256ELi4ELi2EEvPfPK15HIP_vector_typeIfLj2EEiiiiS1_IjLj3EES5_S5_S5_.has_indirect_call, 0
	.section	.AMDGPU.csdata,"",@progbits
; Kernel info:
; codeLenInByte = 2940
; TotalNumSgprs: 42
; NumVgprs: 18
; NumAgprs: 0
; TotalNumVgprs: 18
; ScratchSize: 0
; MemoryBound: 0
; FloatMode: 240
; IeeeMode: 1
; LDSByteSize: 0 bytes/workgroup (compile time only)
; SGPRBlocks: 5
; VGPRBlocks: 2
; NumSGPRsForWavesPerEU: 42
; NumVGPRsForWavesPerEU: 18
; AccumOffset: 20
; Occupancy: 8
; WaveLimiterHint : 0
; COMPUTE_PGM_RSRC2:SCRATCH_EN: 0
; COMPUTE_PGM_RSRC2:USER_SGPR: 2
; COMPUTE_PGM_RSRC2:TRAP_HANDLER: 0
; COMPUTE_PGM_RSRC2:TGID_X_EN: 1
; COMPUTE_PGM_RSRC2:TGID_Y_EN: 1
; COMPUTE_PGM_RSRC2:TGID_Z_EN: 1
; COMPUTE_PGM_RSRC2:TIDIG_COMP_CNT: 0
; COMPUTE_PGM_RSRC3_GFX90A:ACCUM_OFFSET: 4
; COMPUTE_PGM_RSRC3_GFX90A:TG_SPLIT: 0
	.section	.text._ZL15flash_attn_tileILi256ELi256ELi2ELi2ELb0EEvPKcS1_S1_S1_S1_PKiPfP15HIP_vector_typeIfLj2EEffffjfiS5_IjLj3EEiiiiiiiiiiiliiliiiiil,"axG",@progbits,_ZL15flash_attn_tileILi256ELi256ELi2ELi2ELb0EEvPKcS1_S1_S1_S1_PKiPfP15HIP_vector_typeIfLj2EEffffjfiS5_IjLj3EEiiiiiiiiiiiliiliiiiil,comdat
	.globl	_ZL15flash_attn_tileILi256ELi256ELi2ELi2ELb0EEvPKcS1_S1_S1_S1_PKiPfP15HIP_vector_typeIfLj2EEffffjfiS5_IjLj3EEiiiiiiiiiiiliiliiiiil ; -- Begin function _ZL15flash_attn_tileILi256ELi256ELi2ELi2ELb0EEvPKcS1_S1_S1_S1_PKiPfP15HIP_vector_typeIfLj2EEffffjfiS5_IjLj3EEiiiiiiiiiiiliiliiiiil
	.p2align	8
	.type	_ZL15flash_attn_tileILi256ELi256ELi2ELi2ELb0EEvPKcS1_S1_S1_S1_PKiPfP15HIP_vector_typeIfLj2EEffffjfiS5_IjLj3EEiiiiiiiiiiiliiliiiiil,@function
_ZL15flash_attn_tileILi256ELi256ELi2ELi2ELb0EEvPKcS1_S1_S1_S1_PKiPfP15HIP_vector_typeIfLj2EEffffjfiS5_IjLj3EEiiiiiiiiiiiliiliiiiil: ; @_ZL15flash_attn_tileILi256ELi256ELi2ELi2ELb0EEvPKcS1_S1_S1_S1_PKiPfP15HIP_vector_typeIfLj2EEffffjfiS5_IjLj3EEiiiiiiiiiiiliiliiiiil
; %bb.0:
	s_load_dwordx4 s[20:23], s[0:1], 0x5c
	s_load_dwordx2 s[24:25], s[0:1], 0x80
	s_load_dwordx2 s[28:29], s[0:1], 0xb8
	s_mov_b64 s[26:27], 0
	s_waitcnt lgkmcnt(0)
	s_lshr_b32 s5, s23, 31
	s_add_i32 s5, s23, s5
	s_ashr_i32 s5, s5, 1
	v_cvt_f32_u32_e32 v1, s5
	s_sub_i32 s6, 0, s5
	v_rcp_iflag_f32_e32 v1, v1
	s_nop 0
	v_mul_f32_e32 v1, 0x4f7ffffe, v1
	v_cvt_u32_f32_e32 v1, v1
	s_nop 0
	v_readfirstlane_b32 s7, v1
	s_mul_i32 s6, s6, s7
	s_mul_hi_u32 s6, s7, s6
	s_add_i32 s7, s7, s6
	s_mul_hi_u32 s6, s4, s7
	s_mul_i32 s7, s6, s5
	s_sub_i32 s7, s4, s7
	s_add_i32 s8, s6, 1
	s_sub_i32 s9, s7, s5
	s_cmp_ge_u32 s7, s5
	s_cselect_b32 s6, s8, s6
	s_cselect_b32 s7, s9, s7
	s_add_i32 s8, s6, 1
	s_cmp_ge_u32 s7, s5
	s_cselect_b32 s30, s8, s6
	s_abs_i32 s5, s25
	v_cvt_f32_u32_e32 v1, s5
	s_lshl_b32 s4, s4, 1
	s_mul_i32 s8, s30, s23
	s_xor_b32 s6, s23, s25
	v_rcp_iflag_f32_e32 v1, v1
	s_sub_i32 s9, 0, s5
	s_sub_i32 s25, s4, s8
	s_abs_i32 s7, s23
	v_mul_f32_e32 v1, 0x4f7ffffe, v1
	v_cvt_u32_f32_e32 v1, v1
	s_ashr_i32 s6, s6, 31
	v_readfirstlane_b32 s4, v1
	s_mul_i32 s9, s9, s4
	s_mul_hi_u32 s8, s4, s9
	s_add_i32 s4, s4, s8
	s_mul_hi_u32 s4, s7, s4
	s_mul_i32 s8, s4, s5
	s_sub_i32 s7, s7, s8
	s_add_i32 s9, s4, 1
	s_sub_i32 s8, s7, s5
	s_cmp_ge_u32 s7, s5
	s_cselect_b32 s4, s9, s4
	s_cselect_b32 s7, s8, s7
	s_add_i32 s8, s4, 1
	s_cmp_ge_u32 s7, s5
	s_cselect_b32 s4, s8, s4
	s_xor_b32 s4, s4, s6
	s_sub_i32 s33, s4, s6
	s_abs_i32 s31, s33
	v_cvt_f32_u32_e32 v1, s31
	s_load_dwordx16 s[4:19], s[0:1], 0x0
	v_rcp_iflag_f32_e32 v1, v1
	s_waitcnt lgkmcnt(0)
	s_cmp_eq_u64 s[10:11], 0
	v_mul_f32_e32 v1, 0x4f7ffffe, v1
	v_cvt_u32_f32_e32 v1, v1
	s_nop 0
	v_readfirstlane_b32 s34, v1
	s_cbranch_scc1 .LBB36_2
; %bb.1:
	s_abs_i32 s28, s28
	v_cvt_f32_u32_e32 v1, s28
	s_sub_i32 s37, 0, s28
	s_abs_i32 s36, s30
	s_ashr_i32 s35, s30, 31
	v_rcp_iflag_f32_e32 v1, v1
	s_load_dwordx2 s[26:27], s[0:1], 0xc8
	v_mul_f32_e32 v1, 0x4f7ffffe, v1
	v_cvt_u32_f32_e32 v1, v1
	s_nop 0
	v_readfirstlane_b32 s38, v1
	s_mul_i32 s37, s37, s38
	s_mul_hi_u32 s37, s38, s37
	s_add_i32 s38, s38, s37
	s_mul_hi_u32 s37, s36, s38
	s_mul_i32 s37, s37, s28
	s_sub_i32 s36, s36, s37
	s_sub_i32 s37, s36, s28
	s_cmp_ge_u32 s36, s28
	s_cselect_b32 s36, s37, s36
	s_sub_i32 s37, s36, s28
	s_cmp_ge_u32 s36, s28
	s_cselect_b32 s28, s37, s36
	s_xor_b32 s28, s28, s35
	s_sub_i32 s28, s28, s35
	s_ashr_i32 s35, s28, 31
	s_waitcnt lgkmcnt(0)
	s_mul_hi_u32 s36, s26, s28
	s_mul_i32 s35, s26, s35
	s_mul_i32 s27, s27, s28
	s_add_i32 s35, s36, s35
	s_add_i32 s35, s35, s27
	s_mul_i32 s26, s26, s28
	s_add_u32 s26, s10, s26
	s_addc_u32 s27, s11, s35
.LBB36_2:
	s_load_dwordx4 s[36:39], s[0:1], 0x70
	v_lshrrev_b32_e32 v10, 10, v0
	v_bfe_u32 v1, v10, 2, 8
	v_lshl_add_u32 v37, s2, 1, v1
	v_mul_hi_u32 v1, s20, v37
	s_waitcnt lgkmcnt(0)
	s_mul_i32 s10, s30, s38
	s_ashr_i32 s28, s10, 31
	s_mul_i32 s11, s25, s37
	s_add_u32 s4, s4, s10
	s_addc_u32 s5, s5, s28
	s_ashr_i32 s10, s11, 31
	s_add_u32 s4, s4, s11
	v_add_u32_e32 v1, v37, v1
	v_bfe_u32 v40, v0, 10, 10
	s_addc_u32 s5, s5, s10
	s_ashr_i32 s11, s37, 31
	s_mov_b32 s10, s37
	v_lshrrev_b32_e32 v1, s21, v1
	v_bfe_u32 v36, v40, 1, 1
	s_lshr_b64 s[38:39], s[10:11], 2
	s_lshr_b32 s10, s11, 2
	v_mul_lo_u32 v1, v1, s22
	s_ashr_i32 s37, s36, 31
	v_mul_lo_u32 v3, s10, v36
	v_sub_u32_e32 v1, v37, v1
	s_lshr_b64 s[10:11], s[36:37], 2
	v_mad_u64_u32 v[6:7], s[10:11], s10, v1, 0
	v_mov_b32_e32 v4, v7
	s_lshr_b32 s10, s37, 2
	v_mul_lo_u32 v2, s38, v36
	v_mad_u64_u32 v[4:5], s[10:11], s10, v1, v[4:5]
	v_mov_b32_e32 v7, v4
	v_and_b32_e32 v38, 0x3ff, v0
	v_lshl_add_u64 v[2:3], v[2:3], 2, s[4:5]
	v_lshlrev_b32_e32 v0, 9, v40
	v_mov_b32_e32 v5, 0
	v_lshl_add_u64 v[2:3], v[6:7], 2, v[2:3]
	v_and_b32_e32 v4, 0x200, v0
	v_lshl_add_u64 v[2:3], v[2:3], 0, v[4:5]
	v_lshlrev_b32_e32 v4, 4, v38
	v_lshl_add_u64 v[2:3], v[2:3], 0, v[4:5]
	global_load_dwordx4 v[6:9], v[2:3], off
	s_load_dword s4, s[0:1], 0x40
	v_lshlrev_b32_e32 v3, 8, v40
	v_bfe_u32 v2, v10, 1, 9
	v_and_b32_e32 v3, 0x100, v3
	v_lshlrev_b32_e32 v0, 3, v38
	v_lshl_or_b32 v2, v2, 9, v3
	v_add_u32_e32 v5, v2, v0
	s_cmp_eq_u64 s[14:15], 0
	s_waitcnt vmcnt(0) lgkmcnt(0)
	v_fma_mixlo_f16 v2, s4, v6, 0
	v_fma_mixlo_f16 v3, s4, v8, 0
	v_mov_b32_e32 v6, v9
	v_and_b32_e32 v8, 0xffff, v2
	v_and_b32_e32 v9, 0xffff, v3
	v_pk_mul_f32 v[2:3], s[4:5], v[6:7] op_sel_hi:[0,1]
	v_cvt_pk_f16_f32 v2, v2, v3
	v_lshlrev_b32_e32 v3, 16, v2
	v_and_b32_e32 v2, 0xffff0000, v2
	v_or_b32_e32 v2, v2, v8
	v_or3_b32 v3, v3, v9, 0
	v_or3_b32 v2, 0, 0, v2
	ds_write_b64 v5, v[2:3] offset:17408
	s_waitcnt lgkmcnt(0)
	s_barrier
	s_cbranch_scc1 .LBB36_4
; %bb.3:
	s_load_dword s4, s[0:1], 0xd0
	s_mov_b32 s5, 0
	s_waitcnt lgkmcnt(0)
	s_mul_i32 s4, s4, s30
	s_add_i32 s4, s4, s2
	s_lshl_b64 s[4:5], s[4:5], 2
	s_add_u32 s4, s14, s4
	s_addc_u32 s5, s15, s5
	s_load_dword s24, s[4:5], 0x0
.LBB36_4:
	s_lshl_b32 s2, s3, 6
	v_lshlrev_b32_e32 v39, 2, v38
	s_waitcnt lgkmcnt(0)
	s_cmp_lt_i32 s2, s24
	v_mbcnt_lo_u32_b32 v2, -1, 0
	v_and_b32_e32 v5, 1, v40
	s_cbranch_scc1 .LBB36_7
; %bb.5:
	v_mbcnt_hi_u32_b32 v17, -1, v2
	v_and_b32_e32 v3, 0x60, v17
	v_add_u32_e32 v41, 32, v3
	v_xor_b32_e32 v46, 16, v17
	v_xor_b32_e32 v45, 8, v17
	;; [unrolled: 1-line block ×5, first 2 shown]
	v_and_b32_e32 v6, 1, v40
	s_cbranch_execz .LBB36_8
; %bb.6:
	v_mov_b32_e32 v3, 0
	v_mov_b32_e32 v52, 0
	;; [unrolled: 1-line block ×6, first 2 shown]
	s_branch .LBB36_14
.LBB36_7:
                                        ; implicit-def: $vgpr17
                                        ; implicit-def: $vgpr41
                                        ; implicit-def: $vgpr46
                                        ; implicit-def: $vgpr45
                                        ; implicit-def: $vgpr44
                                        ; implicit-def: $vgpr43
                                        ; implicit-def: $vgpr42
                                        ; implicit-def: $vgpr6
.LBB36_8:
	s_sub_i32 s4, 0, s31
	s_mul_i32 s4, s4, s34
	s_mul_hi_u32 s4, s34, s4
	s_add_i32 s34, s34, s4
	s_load_dwordx2 s[4:5], s[0:1], 0x8c
	s_load_dwordx4 s[36:39], s[0:1], 0x98
	s_abs_i32 s14, s25
	s_mul_hi_u32 s15, s14, s34
	s_ashr_i32 s34, s29, 1
	s_waitcnt lgkmcnt(0)
	s_ashr_i32 s21, s4, 2
	s_ashr_i32 s4, s30, 31
	s_mul_hi_u32 s29, s36, s30
	s_mul_i32 s35, s36, s4
	s_add_i32 s29, s29, s35
	s_mul_i32 s35, s37, s30
	s_ashr_i32 s28, s25, 31
	s_ashr_i32 s33, s33, 31
	;; [unrolled: 1-line block ×3, first 2 shown]
	s_add_i32 s29, s29, s35
	s_mul_i32 s35, s36, s30
	s_add_u32 s6, s6, s35
	s_addc_u32 s7, s7, s29
	s_mul_i32 s29, s15, s31
	s_sub_i32 s14, s14, s29
	s_xor_b32 s28, s28, s33
	s_add_i32 s29, s15, 1
	s_sub_i32 s33, s14, s31
	s_cmp_ge_u32 s14, s31
	s_cselect_b32 s15, s29, s15
	s_cselect_b32 s14, s33, s14
	s_add_i32 s29, s15, 1
	s_cmp_ge_u32 s14, s31
	s_load_dwordx2 s[10:11], s[0:1], 0xa8
	s_cselect_b32 s14, s29, s15
	s_xor_b32 s14, s14, s28
	s_sub_i32 s14, s14, s28
	s_mul_i32 s5, s14, s5
	s_ashr_i32 s15, s5, 31
	s_add_u32 s28, s6, s5
	s_waitcnt lgkmcnt(0)
	s_mul_hi_u32 s5, s10, s30
	s_mul_i32 s4, s10, s4
	s_addc_u32 s29, s7, s15
	s_add_i32 s4, s5, s4
	s_mul_i32 s5, s11, s30
	s_add_i32 s4, s4, s5
	s_mul_i32 s5, s10, s30
	s_add_u32 s5, s8, s5
	s_mul_i32 s14, s14, s39
	s_addc_u32 s4, s9, s4
	s_ashr_i32 s6, s14, 31
	s_add_u32 s31, s5, s14
	v_lshrrev_b32_e32 v6, 4, v38
	v_and_b32_e32 v18, 60, v39
	s_addc_u32 s33, s4, s6
	v_lshl_add_u32 v6, v40, 1, v6
	v_lshlrev_b32_e32 v8, 2, v18
	s_movk_i32 s4, 0x110
	v_mad_u32_u24 v47, v6, s4, v8
	v_mul_lo_u32 v8, s21, v6
	s_lshl_b32 s4, s21, 4
	v_lshlrev_b32_e32 v6, 5, v40
	v_lshlrev_b32_e32 v3, 6, v40
	v_add_u32_e32 v10, s4, v8
	v_and_b32_e32 v19, 32, v6
	v_mov_b32_e32 v7, 0
	v_add_u32_e32 v12, s4, v10
	v_add_u32_e32 v6, v19, v38
	v_and_b32_e32 v3, 0xff80, v3
	v_mov_b32_e32 v16, 0x4400
	v_add_u32_e32 v14, s4, v12
	v_lshl_add_u32 v53, v3, 2, v16
	v_mad_u64_u32 v[16:17], s[4:5], v1, s34, v[6:7]
	v_mul_u32_u24_e32 v51, 0x110, v6
	v_and_b32_e32 v6, 1, v38
	s_movk_i32 s4, 0x3fe
	v_and_or_b32 v6, v40, s4, v6
	v_mul_lo_u32 v20, s20, v40
	s_lshl_b32 s4, s20, 3
	v_add_u32_e32 v22, s4, v20
	v_mov_b32_e32 v1, 0x4e00
	v_add_u32_e32 v24, s4, v22
	v_lshl_add_u32 v54, v40, 2, v1
	v_lshl_add_u32 v55, v6, 2, v1
	v_add_u32_e32 v1, 0x4c00, v3
	v_lshlrev_b32_e32 v6, 2, v39
	v_add_u32_e32 v26, s4, v24
	v_mbcnt_hi_u32_b32 v17, -1, v2
	v_lshl_or_b32 v3, v19, 1, v1
	v_lshl_add_u32 v57, v40, 9, v6
	v_ashrrev_i32_e32 v21, 31, v20
	v_ashrrev_i32_e32 v23, 31, v22
	;; [unrolled: 1-line block ×4, first 2 shown]
	v_lshl_add_u32 v62, v5, 9, v0
	s_add_u32 s14, s0, 0xd0
	v_and_b32_e32 v0, 0x60, v17
	v_ashrrev_i32_e32 v9, 31, v8
	v_add_u32_e32 v48, 0x1100, v47
	v_ashrrev_i32_e32 v11, 31, v10
	v_add_u32_e32 v49, 0x2200, v47
	;; [unrolled: 2-line block ×3, first 2 shown]
	v_ashrrev_i32_e32 v15, 31, v14
	v_cmp_eq_u32_e32 vcc, 0, v38
	v_lshl_add_u32 v56, v38, 1, v3
	v_add_u32_e32 v58, 0x1000, v57
	v_add_u32_e32 v59, 0x2000, v57
	;; [unrolled: 1-line block ×3, first 2 shown]
	v_lshl_or_b32 v61, v5, 1, v1
	s_addc_u32 s15, s1, 0
	v_mov_b32_e32 v64, 0xfeffffff
	v_lshlrev_b32_e32 v18, 2, v18
	v_mov_b32_e32 v19, v7
	v_add_u32_e32 v41, 32, v0
	v_xor_b32_e32 v46, 16, v17
	v_xor_b32_e32 v45, 8, v17
	;; [unrolled: 1-line block ×5, first 2 shown]
	s_mov_b32 s34, 0x3fb8aa3b
	s_mov_b32 s35, 0xc2ce8ed0
	;; [unrolled: 1-line block ×3, first 2 shown]
	v_lshlrev_b64 v[20:21], 2, v[20:21]
	v_lshlrev_b64 v[22:23], 2, v[22:23]
	;; [unrolled: 1-line block ×4, first 2 shown]
	v_mov_b32_e32 v63, 0x7f800000
	v_mov_b32_e32 v0, v7
	;; [unrolled: 1-line block ×6, first 2 shown]
.LBB36_9:                               ; =>This Inner Loop Header: Depth=1
	s_mul_hi_i32 s5, s2, s21
	s_mul_i32 s4, s2, s21
	s_lshl_b64 s[4:5], s[4:5], 2
	s_add_u32 s4, s28, s4
	s_addc_u32 s5, s29, s5
	v_lshl_add_u64 v[28:29], v[8:9], 2, s[4:5]
	v_lshl_add_u64 v[32:33], v[12:13], 2, s[4:5]
	;; [unrolled: 1-line block ×7, first 2 shown]
	global_load_dwordx4 v[66:69], v[28:29], off
	global_load_dwordx4 v[70:73], v[30:31], off
	v_lshl_add_u64 v[34:35], v[34:35], 0, v[18:19]
	global_load_dwordx4 v[74:77], v[32:33], off
	global_load_dwordx4 v[78:81], v[34:35], off
	v_mov_b32_e32 v65, 0
	v_cmp_lt_i32_e64 s[4:5], v46, v41
	s_waitcnt vmcnt(3)
	ds_write_b128 v47, v[66:69]
	s_waitcnt vmcnt(2)
	ds_write_b128 v48, v[70:73]
	;; [unrolled: 2-line block ×4, first 2 shown]
	s_waitcnt lgkmcnt(0)
	s_barrier
	ds_read_b128 v[66:69], v51
	ds_read_b128 v[70:73], v53
	s_waitcnt lgkmcnt(0)
	;;#ASMSTART
	v_dot2_f32_f16 v65, v66, v70, v65
	;;#ASMEND
	s_nop 0
	;;#ASMSTART
	v_dot2_f32_f16 v65, v67, v71, v65
	;;#ASMEND
	s_nop 0
	;;#ASMSTART
	v_dot2_f32_f16 v65, v68, v72, v65
	;;#ASMEND
	s_nop 0
	;;#ASMSTART
	v_dot2_f32_f16 v65, v69, v73, v65
	;;#ASMEND
	ds_read_b128 v[66:69], v51 offset:16
	ds_read_b128 v[70:73], v53 offset:16
	s_waitcnt lgkmcnt(0)
	;;#ASMSTART
	v_dot2_f32_f16 v65, v66, v70, v65
	;;#ASMEND
	s_nop 0
	;;#ASMSTART
	v_dot2_f32_f16 v65, v67, v71, v65
	;;#ASMEND
	s_nop 0
	;;#ASMSTART
	v_dot2_f32_f16 v65, v68, v72, v65
	;;#ASMEND
	s_nop 0
	;;#ASMSTART
	v_dot2_f32_f16 v65, v69, v73, v65
	;;#ASMEND
	ds_read_b128 v[66:69], v51 offset:32
	ds_read_b128 v[70:73], v53 offset:32
	;; [unrolled: 18-line block ×15, first 2 shown]
	s_waitcnt lgkmcnt(0)
	;;#ASMSTART
	v_dot2_f32_f16 v65, v66, v70, v65
	;;#ASMEND
	s_nop 0
	;;#ASMSTART
	v_dot2_f32_f16 v65, v67, v71, v65
	;;#ASMEND
	s_nop 0
	;; [unrolled: 4-line block ×3, first 2 shown]
	;;#ASMSTART
	v_dot2_f32_f16 v65, v69, v73, v65
	;;#ASMEND
	s_barrier
	global_load_dwordx4 v[66:69], v[28:29], off offset:256
	global_load_dwordx4 v[70:73], v[30:31], off offset:256
	;; [unrolled: 1-line block ×4, first 2 shown]
	s_waitcnt vmcnt(3)
	ds_write_b128 v47, v[66:69]
	s_waitcnt vmcnt(2)
	ds_write_b128 v48, v[70:73]
	;; [unrolled: 2-line block ×4, first 2 shown]
	s_waitcnt lgkmcnt(0)
	s_barrier
	ds_read_b128 v[28:31], v51
	ds_read_b128 v[32:35], v53 offset:256
	s_waitcnt lgkmcnt(0)
	;;#ASMSTART
	v_dot2_f32_f16 v65, v28, v32, v65
	;;#ASMEND
	s_nop 0
	;;#ASMSTART
	v_dot2_f32_f16 v65, v29, v33, v65
	;;#ASMEND
	v_add_u32_e32 v66, s2, v16
	;;#ASMSTART
	v_dot2_f32_f16 v65, v30, v34, v65
	;;#ASMEND
	v_ashrrev_i32_e32 v67, 31, v66
	;;#ASMSTART
	v_dot2_f32_f16 v65, v31, v35, v65
	;;#ASMEND
	ds_read_b128 v[28:31], v51 offset:16
	ds_read_b128 v[32:35], v53 offset:272
	s_waitcnt lgkmcnt(0)
	;;#ASMSTART
	v_dot2_f32_f16 v65, v28, v32, v65
	;;#ASMEND
	s_nop 0
	;;#ASMSTART
	v_dot2_f32_f16 v65, v29, v33, v65
	;;#ASMEND
	v_lshl_add_u64 v[66:67], v[66:67], 1, s[26:27]
	;;#ASMSTART
	v_dot2_f32_f16 v65, v30, v34, v65
	;;#ASMEND
	s_nop 0
	;;#ASMSTART
	v_dot2_f32_f16 v65, v31, v35, v65
	;;#ASMEND
	ds_read_b128 v[28:31], v51 offset:32
	ds_read_b128 v[32:35], v53 offset:288
	s_waitcnt lgkmcnt(0)
	;;#ASMSTART
	v_dot2_f32_f16 v65, v28, v32, v65
	;;#ASMEND
	s_nop 0
	;;#ASMSTART
	v_dot2_f32_f16 v65, v29, v33, v65
	;;#ASMEND
	s_nop 0
	;;#ASMSTART
	v_dot2_f32_f16 v65, v30, v34, v65
	;;#ASMEND
	s_nop 0
	;;#ASMSTART
	v_dot2_f32_f16 v65, v31, v35, v65
	;;#ASMEND
	ds_read_b128 v[28:31], v51 offset:48
	ds_read_b128 v[32:35], v53 offset:304
	s_waitcnt lgkmcnt(0)
	;;#ASMSTART
	v_dot2_f32_f16 v65, v28, v32, v65
	;;#ASMEND
	s_nop 0
	;;#ASMSTART
	v_dot2_f32_f16 v65, v29, v33, v65
	;;#ASMEND
	s_nop 0
	;; [unrolled: 18-line block ×13, first 2 shown]
	;;#ASMSTART
	v_dot2_f32_f16 v65, v30, v34, v65
	;;#ASMEND
	s_nop 0
	;;#ASMSTART
	v_dot2_f32_f16 v65, v31, v35, v65
	;;#ASMEND
	ds_read_b128 v[28:31], v51 offset:240
	ds_read_b128 v[32:35], v53 offset:496
	s_waitcnt lgkmcnt(0)
	;;#ASMSTART
	v_dot2_f32_f16 v65, v28, v32, v65
	;;#ASMEND
	s_nop 0
	;;#ASMSTART
	v_dot2_f32_f16 v65, v29, v33, v65
	;;#ASMEND
	v_cndmask_b32_e64 v29, v17, v46, s[4:5]
	;;#ASMSTART
	v_dot2_f32_f16 v65, v30, v34, v65
	;;#ASMEND
	v_lshlrev_b32_e32 v30, 2, v29
	;;#ASMSTART
	v_dot2_f32_f16 v65, v31, v35, v65
	;;#ASMEND
	global_load_ushort v28, v[66:67], off
	v_max_f32_e32 v31, v64, v64
	v_cmp_lt_i32_e64 s[4:5], v45, v41
	s_waitcnt vmcnt(0)
	v_cvt_f32_f16_e32 v28, v28
	v_add_f32_e32 v29, v65, v28
	v_add_f32_e32 v28, 0x40051340, v29
	v_max_f32_e32 v28, v31, v28
	ds_bpermute_b32 v30, v30, v28
	v_cndmask_b32_e64 v31, v17, v45, s[4:5]
	v_lshlrev_b32_e32 v31, 2, v31
	v_cmp_lt_i32_e64 s[4:5], v44, v41
	s_waitcnt lgkmcnt(0)
	v_max_f32_e32 v30, v30, v30
	v_max_f32_e32 v28, v28, v30
	ds_bpermute_b32 v30, v31, v28
	v_cndmask_b32_e64 v31, v17, v44, s[4:5]
	v_lshlrev_b32_e32 v31, 2, v31
	v_cmp_lt_i32_e64 s[4:5], v43, v41
	s_waitcnt lgkmcnt(0)
	v_max_f32_e32 v30, v30, v30
	;; [unrolled: 7-line block ×3, first 2 shown]
	v_max_f32_e32 v28, v28, v30
	ds_bpermute_b32 v30, v31, v28
	v_cndmask_b32_e64 v31, v17, v42, s[4:5]
	v_lshlrev_b32_e32 v31, 2, v31
	s_waitcnt lgkmcnt(0)
	v_max_f32_e32 v30, v30, v30
	v_max_f32_e32 v28, v28, v30
	ds_bpermute_b32 v30, v31, v28
	s_and_saveexec_b64 s[4:5], vcc
	s_cbranch_execz .LBB36_11
; %bb.10:                               ;   in Loop: Header=BB36_9 Depth=1
	s_waitcnt lgkmcnt(0)
	v_max_f32_e32 v30, v30, v30
	v_max_f32_e32 v28, v28, v28
	;; [unrolled: 1-line block ×3, first 2 shown]
	ds_write_b32 v54, v28
.LBB36_11:                              ;   in Loop: Header=BB36_9 Depth=1
	s_or_b64 exec, exec, s[4:5]
	s_mul_hi_i32 s5, s2, s20
	s_mul_i32 s4, s2, s20
	s_lshl_b64 s[4:5], s[4:5], 2
	s_add_u32 s4, s31, s4
	s_addc_u32 s5, s33, s5
	s_waitcnt lgkmcnt(0)
	v_lshl_add_u64 v[30:31], s[4:5], 0, v[20:21]
	v_lshl_add_u64 v[34:35], v[30:31], 0, v[6:7]
	;; [unrolled: 1-line block ×3, first 2 shown]
	s_barrier
	v_lshl_add_u64 v[70:71], v[30:31], 0, v[6:7]
	global_load_dwordx4 v[30:33], v[34:35], off
	global_load_dwordx4 v[66:69], v[70:71], off
	v_lshl_add_u64 v[34:35], s[4:5], 0, v[24:25]
	v_lshl_add_u64 v[34:35], v[34:35], 0, v[6:7]
	;; [unrolled: 1-line block ×4, first 2 shown]
	global_load_dwordx4 v[70:73], v[34:35], off
	global_load_dwordx4 v[74:77], v[78:79], off
	ds_read_b32 v28, v55
	v_and_b32_e32 v34, 0x7e, v17
	v_add_u32_e32 v34, 2, v34
	v_cmp_lt_i32_e64 s[4:5], v42, v34
	v_add_u32_e32 v107, 0x800, v62
	v_add_u32_e32 v108, 0x1000, v62
	v_cndmask_b32_e64 v34, v17, v42, s[4:5]
	v_lshlrev_b32_e32 v34, 2, v34
	s_waitcnt lgkmcnt(0)
	ds_bpermute_b32 v34, v34, v28
	v_max_f32_e32 v28, v28, v28
	v_add_u32_e32 v109, 0x1800, v62
	v_add_u32_e32 v114, 0x2000, v62
	;; [unrolled: 1-line block ×3, first 2 shown]
	s_waitcnt lgkmcnt(0)
	v_max_f32_e32 v34, v34, v34
	v_max_f32_e32 v28, v28, v34
	v_sub_f32_e32 v29, v29, v28
	v_mul_f32_e32 v35, 0x3fb8aa3b, v29
	v_sub_f32_e32 v34, v64, v28
	v_fma_f32 v65, v29, s34, -v35
	v_rndne_f32_e32 v78, v35
	v_mul_f32_e32 v64, 0x3fb8aa3b, v34
	v_fmac_f32_e32 v65, 0x32a5705f, v29
	v_sub_f32_e32 v35, v35, v78
	v_fma_f32 v79, v34, s34, -v64
	v_rndne_f32_e32 v80, v64
	v_add_f32_e32 v35, v35, v65
	v_cvt_i32_f32_e32 v78, v78
	v_fmac_f32_e32 v79, 0x32a5705f, v34
	v_sub_f32_e32 v64, v64, v80
	v_exp_f32_e32 v35, v35
	v_add_f32_e32 v64, v64, v79
	v_cvt_i32_f32_e32 v80, v80
	v_exp_f32_e32 v64, v64
	v_cmp_ngt_f32_e64 s[4:5], s35, v29
	v_cmp_nlt_f32_e64 s[8:9], s36, v29
	v_ldexp_f32 v29, v35, v78
	v_cndmask_b32_e64 v29, 0, v29, s[4:5]
	v_cmp_ngt_f32_e64 s[6:7], s35, v34
	v_cmp_nlt_f32_e64 s[10:11], s36, v34
	v_ldexp_f32 v34, v64, v80
	v_cndmask_b32_e64 v29, v63, v29, s[8:9]
	v_cndmask_b32_e64 v34, 0, v34, s[6:7]
	v_cvt_f16_f32_e32 v35, v29
	v_cndmask_b32_e64 v98, v63, v34, s[10:11]
	v_cvt_f16_f32_e32 v34, v98
	s_or_b32 s4, s2, 32
	ds_write_b16 v56, v35
	s_mul_hi_i32 s5, s4, s20
	v_mul_u32_u24_e32 v34, 0x10001, v34
	v_pk_mul_f16 v2, v2, v34
	v_pk_mul_f16 v3, v3, v34
	s_mul_i32 s4, s4, s20
	s_lshl_b64 s[4:5], s[4:5], 2
	s_add_u32 s4, s31, s4
	s_addc_u32 s5, s33, s5
	v_add_u32_e32 v116, 0x3000, v62
	v_add_u32_e32 v117, 0x3800, v62
	v_lshl_add_u64 v[88:89], s[4:5], 0, v[22:23]
	v_lshl_add_u64 v[96:97], v[88:89], 0, v[6:7]
	v_fma_f32 v52, v52, v98, v29
	s_waitcnt vmcnt(3)
	ds_write_b128 v57, v[30:33]
	s_waitcnt vmcnt(2)
	ds_write_b128 v58, v[66:69]
	;; [unrolled: 2-line block ×4, first 2 shown]
	s_waitcnt lgkmcnt(0)
	s_barrier
	ds_read2_b64 v[30:33], v62 offset1:32
	ds_read_u16 v35, v61
	ds_read_u16 v68, v61 offset:4
	ds_read_u16 v69, v61 offset:8
	;; [unrolled: 1-line block ×15, first 2 shown]
	ds_read2_b64 v[64:67], v62 offset0:128 offset1:160
	s_waitcnt lgkmcnt(14)
	v_mul_u32_u24_e32 v35, 0x10001, v35
	v_pk_mul_f16 v30, v30, v35
	v_pk_mul_f16 v31, v31, v35
	v_pk_fma_f16 v0, v0, v34, v30
	v_pk_fma_f16 v30, v1, v34, v31
	;; [unrolled: 1-line block ×4, first 2 shown]
	v_mul_u32_u24_e32 v33, 0x10001, v68
	s_waitcnt lgkmcnt(0)
	v_pk_fma_f16 v34, v64, v33, v0
	ds_read2_b64 v[0:3], v107 offset1:32
	v_pk_fma_f16 v35, v65, v33, v30
	v_pk_fma_f16 v64, v66, v33, v31
	;; [unrolled: 1-line block ×3, first 2 shown]
	ds_read2_b64 v[30:33], v107 offset0:128 offset1:160
	v_mul_u32_u24_e32 v66, 0x10001, v69
	s_waitcnt lgkmcnt(1)
	v_pk_fma_f16 v0, v0, v66, v34
	v_pk_fma_f16 v34, v1, v66, v35
	;; [unrolled: 1-line block ×4, first 2 shown]
	v_mul_u32_u24_e32 v65, 0x10001, v70
	s_waitcnt lgkmcnt(0)
	v_pk_fma_f16 v30, v30, v65, v0
	ds_read2_b64 v[0:3], v108 offset1:32
	v_pk_fma_f16 v34, v31, v65, v34
	v_pk_fma_f16 v35, v32, v65, v35
	;; [unrolled: 1-line block ×3, first 2 shown]
	v_mul_u32_u24_e32 v65, 0x10001, v71
	s_waitcnt lgkmcnt(0)
	v_pk_fma_f16 v0, v0, v65, v30
	ds_read2_b64 v[30:33], v108 offset0:128 offset1:160
	v_pk_fma_f16 v34, v1, v65, v34
	v_pk_fma_f16 v35, v2, v65, v35
	;; [unrolled: 1-line block ×3, first 2 shown]
	v_mul_u32_u24_e32 v65, 0x10001, v72
	s_waitcnt lgkmcnt(0)
	v_pk_fma_f16 v30, v30, v65, v0
	ds_read2_b64 v[0:3], v109 offset1:32
	v_pk_fma_f16 v34, v31, v65, v34
	v_pk_fma_f16 v35, v32, v65, v35
	;; [unrolled: 1-line block ×3, first 2 shown]
	v_mul_u32_u24_e32 v65, 0x10001, v73
	s_waitcnt lgkmcnt(0)
	v_pk_fma_f16 v0, v0, v65, v30
	ds_read2_b64 v[30:33], v109 offset0:128 offset1:160
	v_pk_fma_f16 v1, v1, v65, v34
	v_pk_fma_f16 v2, v2, v65, v35
	;; [unrolled: 1-line block ×3, first 2 shown]
	v_mul_u32_u24_e32 v34, 0x10001, v74
	s_waitcnt lgkmcnt(0)
	v_pk_fma_f16 v110, v30, v34, v0
	v_pk_fma_f16 v111, v31, v34, v1
	;; [unrolled: 1-line block ×4, first 2 shown]
	ds_read2_b64 v[0:3], v114 offset1:32
	ds_read2_b64 v[30:33], v114 offset0:128 offset1:160
	v_lshl_add_u64 v[34:35], s[4:5], 0, v[20:21]
	v_lshl_add_u64 v[34:35], v[34:35], 0, v[6:7]
	ds_read2_b64 v[64:67], v115 offset1:32
	ds_read2_b64 v[68:71], v115 offset0:128 offset1:160
	ds_read2_b64 v[72:75], v116 offset1:32
	ds_read2_b64 v[76:79], v116 offset0:128 offset1:160
	;; [unrolled: 2-line block ×3, first 2 shown]
	s_waitcnt lgkmcnt(0)
	s_barrier
	global_load_dwordx4 v[88:91], v[34:35], off
	global_load_dwordx4 v[92:95], v[96:97], off
	v_mul_u32_u24_e32 v34, 0x10001, v99
	v_pk_fma_f16 v99, v0, v34, v110
	v_pk_fma_f16 v110, v1, v34, v111
	v_lshl_add_u64 v[0:1], s[4:5], 0, v[24:25]
	v_pk_fma_f16 v2, v2, v34, v112
	v_pk_fma_f16 v3, v3, v34, v113
	v_lshl_add_u64 v[34:35], v[0:1], 0, v[6:7]
	v_lshl_add_u64 v[0:1], s[4:5], 0, v[26:27]
	;; [unrolled: 1-line block ×3, first 2 shown]
	v_mul_u32_u24_e32 v0, 0x10001, v100
	v_pk_fma_f16 v99, v30, v0, v99
	v_pk_fma_f16 v100, v31, v0, v110
	;; [unrolled: 1-line block ×4, first 2 shown]
	global_load_dwordx4 v[0:3], v[34:35], off
	global_load_dwordx4 v[30:33], v[96:97], off
	v_mul_u32_u24_e32 v29, 0x10001, v101
	v_pk_fma_f16 v34, v64, v29, v99
	v_pk_fma_f16 v35, v65, v29, v100
	v_pk_fma_f16 v64, v66, v29, v110
	v_pk_fma_f16 v29, v67, v29, v111
	v_mul_u32_u24_e32 v65, 0x10001, v102
	v_pk_fma_f16 v34, v68, v65, v34
	v_pk_fma_f16 v35, v69, v65, v35
	v_pk_fma_f16 v64, v70, v65, v64
	v_pk_fma_f16 v29, v71, v65, v29
	;; [unrolled: 5-line block ×6, first 2 shown]
	s_waitcnt vmcnt(3)
	ds_write_b128 v57, v[88:91]
	s_waitcnt vmcnt(2)
	ds_write_b128 v58, v[92:95]
	;; [unrolled: 2-line block ×4, first 2 shown]
	s_waitcnt lgkmcnt(0)
	s_barrier
	ds_read2_b64 v[0:3], v62 offset1:32
	ds_read_u16 v30, v61 offset:64
	ds_read_u16 v65, v61 offset:68
	ds_read_u16 v66, v61 offset:72
	ds_read_u16 v67, v61 offset:76
	ds_read_u16 v68, v61 offset:80
	ds_read_u16 v69, v61 offset:84
	ds_read_u16 v70, v61 offset:88
	ds_read_u16 v71, v61 offset:92
	ds_read_u16 v72, v61 offset:96
	ds_read_u16 v73, v61 offset:100
	ds_read_u16 v74, v61 offset:104
	ds_read_u16 v75, v61 offset:108
	ds_read_u16 v76, v61 offset:112
	ds_read_u16 v77, v61 offset:116
	ds_read_u16 v78, v61 offset:120
	ds_read_u16 v79, v61 offset:124
	s_waitcnt lgkmcnt(14)
	v_mul_u32_u24_e32 v80, 0x10001, v30
	ds_read2_b64 v[30:33], v62 offset0:128 offset1:160
	v_pk_fma_f16 v0, v0, v80, v34
	v_pk_fma_f16 v34, v1, v80, v35
	;; [unrolled: 1-line block ×3, first 2 shown]
	v_mul_u32_u24_e32 v64, 0x10001, v65
	v_pk_fma_f16 v29, v3, v80, v29
	s_waitcnt lgkmcnt(0)
	v_pk_fma_f16 v30, v30, v64, v0
	ds_read2_b64 v[0:3], v107 offset1:32
	v_pk_fma_f16 v34, v31, v64, v34
	v_pk_fma_f16 v35, v32, v64, v35
	v_pk_fma_f16 v29, v33, v64, v29
	v_mul_u32_u24_e32 v64, 0x10001, v66
	s_waitcnt lgkmcnt(0)
	v_pk_fma_f16 v0, v0, v64, v30
	ds_read2_b64 v[30:33], v107 offset0:128 offset1:160
	v_pk_fma_f16 v34, v1, v64, v34
	v_pk_fma_f16 v35, v2, v64, v35
	v_pk_fma_f16 v29, v3, v64, v29
	v_mul_u32_u24_e32 v64, 0x10001, v67
	s_waitcnt lgkmcnt(0)
	v_pk_fma_f16 v30, v30, v64, v0
	ds_read2_b64 v[0:3], v108 offset1:32
	v_pk_fma_f16 v34, v31, v64, v34
	v_pk_fma_f16 v35, v32, v64, v35
	v_pk_fma_f16 v29, v33, v64, v29
	v_mul_u32_u24_e32 v64, 0x10001, v68
	s_waitcnt lgkmcnt(0)
	v_pk_fma_f16 v0, v0, v64, v30
	ds_read2_b64 v[30:33], v108 offset0:128 offset1:160
	v_pk_fma_f16 v34, v1, v64, v34
	v_pk_fma_f16 v35, v2, v64, v35
	v_pk_fma_f16 v29, v3, v64, v29
	v_mul_u32_u24_e32 v64, 0x10001, v69
	;; [unrolled: 14-line block ×6, first 2 shown]
	s_waitcnt lgkmcnt(0)
	v_pk_fma_f16 v30, v30, v64, v0
	ds_read2_b64 v[0:3], v117 offset1:32
	v_pk_fma_f16 v31, v31, v64, v34
	v_pk_fma_f16 v32, v32, v64, v35
	v_pk_fma_f16 v29, v33, v64, v29
	v_mul_u32_u24_e32 v33, 0x10001, v78
	s_waitcnt lgkmcnt(0)
	v_pk_fma_f16 v30, v0, v33, v30
	v_pk_fma_f16 v31, v1, v33, v31
	;; [unrolled: 1-line block ×4, first 2 shown]
	ds_read2_b64 v[0:3], v117 offset0:128 offset1:160
	s_waitcnt lgkmcnt(0)
	s_barrier
	s_load_dword s4, s[14:15], 0x4
	v_mul_u32_u24_e32 v33, 0x10001, v79
	v_pk_fma_f16 v0, v0, v33, v30
	v_pk_fma_f16 v1, v1, v33, v31
	;; [unrolled: 1-line block ×3, first 2 shown]
	s_waitcnt lgkmcnt(0)
	s_lshl_b32 s4, s4, 6
	s_add_i32 s2, s4, s2
	s_cmp_ge_i32 s2, s24
	v_pk_fma_f16 v3, v3, v33, v29
	s_cbranch_scc1 .LBB36_13
; %bb.12:                               ;   in Loop: Header=BB36_9 Depth=1
	v_mov_b32_e32 v64, v28
	s_branch .LBB36_9
.LBB36_13:
	v_mov_b32_e32 v6, v5
.LBB36_14:
	v_cmp_lt_i32_e32 vcc, v46, v41
	v_cmp_ne_u32_e64 s[4:5], 0, v6
	s_nop 0
	v_cndmask_b32_e32 v5, v17, v46, vcc
	v_lshlrev_b32_e32 v5, 2, v5
	ds_bpermute_b32 v5, v5, v52
	v_cmp_lt_i32_e32 vcc, v45, v41
	s_waitcnt lgkmcnt(0)
	v_add_f32_e32 v5, v52, v5
	v_cndmask_b32_e32 v7, v17, v45, vcc
	v_lshlrev_b32_e32 v7, 2, v7
	ds_bpermute_b32 v7, v7, v5
	v_cmp_lt_i32_e32 vcc, v44, v41
	s_waitcnt lgkmcnt(0)
	v_add_f32_e32 v5, v5, v7
	v_cndmask_b32_e32 v8, v17, v44, vcc
	v_lshlrev_b32_e32 v8, 2, v8
	ds_bpermute_b32 v7, v8, v5
	v_cmp_lt_i32_e32 vcc, v43, v41
	s_waitcnt lgkmcnt(0)
	v_add_f32_e32 v5, v5, v7
	v_cndmask_b32_e32 v8, v17, v43, vcc
	v_lshlrev_b32_e32 v8, 2, v8
	ds_bpermute_b32 v7, v8, v5
	v_cmp_lt_i32_e32 vcc, v42, v41
	s_waitcnt lgkmcnt(0)
	v_add_f32_e32 v5, v5, v7
	v_cndmask_b32_e32 v8, v17, v42, vcc
	v_lshlrev_b32_e32 v8, 2, v8
	ds_bpermute_b32 v7, v8, v5
	v_cmp_eq_u32_e32 vcc, 0, v6
	s_waitcnt lgkmcnt(0)
	v_add_f32_e32 v29, v5, v7
	s_and_saveexec_b64 s[6:7], s[4:5]
	s_xor_b64 s[6:7], exec, s[6:7]
	s_cbranch_execnz .LBB36_18
; %bb.15:
	s_andn2_saveexec_b64 s[4:5], s[6:7]
	s_cbranch_execnz .LBB36_21
.LBB36_16:
	s_or_b64 exec, exec, s[4:5]
	s_and_saveexec_b64 s[4:5], vcc
	s_cbranch_execnz .LBB36_22
.LBB36_17:
	s_endpgm
.LBB36_18:
	v_lshl_add_u32 v4, v40, 9, v4
	v_cmp_eq_u32_e64 s[4:5], 0, v38
	ds_write_b128 v4, v[0:3]
	s_and_saveexec_b64 s[8:9], s[4:5]
; %bb.19:
	v_lshlrev_b32_e32 v4, 2, v40
	ds_write_b32 v4, v29 offset:17408
; %bb.20:
	s_or_b64 exec, exec, s[8:9]
                                        ; implicit-def: $vgpr40
                                        ; implicit-def: $vgpr4
	s_andn2_saveexec_b64 s[4:5], s[6:7]
	s_cbranch_execz .LBB36_16
.LBB36_21:
	v_lshl_add_u32 v4, v40, 9, v4
	v_lshlrev_b32_e32 v8, 2, v40
	s_waitcnt lgkmcnt(0)
	s_barrier
	ds_read_b128 v[4:7], v4 offset:512
	ds_read_b32 v8, v8 offset:17412
	s_waitcnt lgkmcnt(1)
	v_pk_add_f16 v0, v4, v0
	v_pk_add_f16 v1, v5, v1
	;; [unrolled: 1-line block ×4, first 2 shown]
	s_waitcnt lgkmcnt(0)
	v_add_f32_e32 v29, v29, v8
	s_or_b64 exec, exec, s[4:5]
	s_and_saveexec_b64 s[4:5], vcc
	s_cbranch_execz .LBB36_17
.LBB36_22:
	s_cmp_eq_u64 s[12:13], 0
	s_cselect_b64 s[4:5], -1, 0
	s_cmp_lg_u32 s3, 0
	s_cselect_b64 s[6:7], -1, 0
	s_or_b64 s[4:5], s[6:7], s[4:5]
	s_and_b64 vcc, exec, s[4:5]
	s_cbranch_vccnz .LBB36_24
; %bb.23:
	v_add_u32_e32 v4, s25, v36
	v_ashrrev_i32_e32 v5, 31, v4
	v_lshl_add_u64 v[4:5], v[4:5], 2, s[12:13]
	global_load_dword v5, v[4:5], off
	v_max_f32_e32 v4, v28, v28
	s_mov_b32 s2, 0x3fb8aa3b
	s_mov_b32 s4, 0xc2ce8ed0
	s_waitcnt vmcnt(0)
	v_max_f32_e32 v6, v5, v5
	v_max_f32_e32 v4, v4, v6
	v_sub_f32_e32 v6, v28, v4
	v_sub_f32_e32 v5, v5, v4
	v_mul_f32_e32 v7, 0x3fb8aa3b, v6
	v_mul_f32_e32 v8, 0x3fb8aa3b, v5
	v_fma_f32 v9, v6, s2, -v7
	v_rndne_f32_e32 v10, v7
	v_fma_f32 v11, v5, s2, -v8
	v_rndne_f32_e32 v12, v8
	v_fmac_f32_e32 v9, 0x32a5705f, v6
	v_sub_f32_e32 v7, v7, v10
	v_fmac_f32_e32 v11, 0x32a5705f, v5
	v_sub_f32_e32 v8, v8, v12
	v_add_f32_e32 v7, v7, v9
	v_cvt_i32_f32_e32 v10, v10
	v_add_f32_e32 v8, v8, v11
	v_exp_f32_e32 v7, v7
	v_cvt_i32_f32_e32 v12, v12
	v_exp_f32_e32 v8, v8
	v_cmp_ngt_f32_e32 vcc, s4, v6
	v_ldexp_f32 v7, v7, v10
	s_mov_b32 s2, 0x42b17218
	v_ldexp_f32 v8, v8, v12
	v_cndmask_b32_e32 v7, 0, v7, vcc
	v_cmp_ngt_f32_e32 vcc, s4, v5
	v_mov_b32_e32 v9, 0x7f800000
	s_nop 0
	v_cndmask_b32_e32 v8, 0, v8, vcc
	v_cmp_nlt_f32_e32 vcc, s2, v6
	s_nop 1
	v_cndmask_b32_e32 v6, v9, v7, vcc
	v_cvt_f16_f32_e32 v7, v6
	v_cmp_nlt_f32_e32 vcc, s2, v5
	s_nop 1
	v_cndmask_b32_e32 v5, v9, v8, vcc
	v_fmac_f32_e32 v5, v29, v6
	v_mul_u32_u24_e32 v6, 0x10001, v7
	v_pk_mul_f16 v0, v0, v6
	v_pk_mul_f16 v1, v1, v6
	;; [unrolled: 1-line block ×4, first 2 shown]
	v_mov_b64_e32 v[28:29], v[4:5]
	v_cmp_gt_i32_e32 vcc, s22, v37
	s_and_b64 exec, exec, vcc
	s_cbranch_execz .LBB36_17
	s_branch .LBB36_25
.LBB36_24:
	v_mov_b32_e32 v5, v29
	v_cmp_gt_i32_e32 vcc, s22, v37
	s_and_b64 exec, exec, vcc
	s_cbranch_execz .LBB36_17
.LBB36_25:
	s_load_dword s2, s[0:1], 0xd4
	v_div_scale_f32 v4, s[0:1], v5, v5, 1.0
	v_rcp_f32_e32 v6, v4
	s_mul_i32 s30, s30, s22
	s_waitcnt lgkmcnt(0)
	s_cmp_lg_u32 s2, 1
	s_cselect_b64 s[0:1], -1, 0
	v_fma_f32 v7, -v4, v6, 1.0
	v_fmac_f32_e32 v6, v7, v6
	v_div_scale_f32 v7, vcc, 1.0, v5, 1.0
	v_mul_f32_e32 v8, v7, v6
	v_fma_f32 v9, -v4, v8, v7
	v_fmac_f32_e32 v8, v9, v6
	v_fma_f32 v4, -v4, v8, v7
	v_div_fmas_f32 v4, v4, v6, v8
	v_div_fixup_f32 v4, v4, v5, 1.0
	v_cndmask_b32_e64 v10, v4, 1.0, s[0:1]
	v_add_u32_e32 v4, s30, v37
	v_mul_lo_u32 v4, v4, s23
	v_add3_u32 v4, s25, v36, v4
	v_cvt_f32_f16_sdwa v7, v0 dst_sel:DWORD dst_unused:UNUSED_PAD src0_sel:WORD_1
	v_cvt_f32_f16_e32 v6, v0
	v_cvt_f32_f16_sdwa v9, v1 dst_sel:DWORD dst_unused:UNUSED_PAD src0_sel:WORD_1
	v_cvt_f32_f16_e32 v8, v1
	v_mul_lo_u32 v4, s2, v4
	v_add_u32_e32 v4, s3, v4
	v_lshl_add_u32 v12, v4, 8, v39
	v_mov_b32_e32 v13, 0
	v_lshl_add_u64 v[0:1], v[12:13], 2, s[16:17]
	v_pk_mul_f32 v[6:7], v[10:11], v[6:7] op_sel_hi:[0,1]
	v_pk_mul_f32 v[8:9], v[10:11], v[8:9] op_sel_hi:[0,1]
	global_store_dwordx4 v[0:1], v[6:9], off
	v_cvt_f32_f16_sdwa v1, v2 dst_sel:DWORD dst_unused:UNUSED_PAD src0_sel:WORD_1
	v_cvt_f32_f16_e32 v0, v2
	v_cvt_f32_f16_sdwa v7, v3 dst_sel:DWORD dst_unused:UNUSED_PAD src0_sel:WORD_1
	v_cvt_f32_f16_e32 v6, v3
	v_cmp_eq_u32_e32 vcc, 0, v38
	v_add_u32_e32 v12, 0x80, v12
	s_and_b64 s[0:1], vcc, s[0:1]
	v_lshl_add_u64 v[8:9], v[12:13], 2, s[16:17]
	v_pk_mul_f32 v[0:1], v[10:11], v[0:1] op_sel_hi:[0,1]
	v_pk_mul_f32 v[2:3], v[10:11], v[6:7] op_sel_hi:[0,1]
	global_store_dwordx4 v[8:9], v[0:3], off
	s_and_b64 exec, exec, s[0:1]
	s_cbranch_execz .LBB36_17
; %bb.26:
	v_mov_b32_e32 v0, s18
	v_mov_b32_e32 v1, s19
	v_ashrrev_i32_e32 v5, 31, v4
	v_lshl_add_u64 v[0:1], v[4:5], 3, v[0:1]
	global_store_dwordx2 v[0:1], v[28:29], off
	s_endpgm
	.section	.rodata,"a",@progbits
	.p2align	6, 0x0
	.amdhsa_kernel _ZL15flash_attn_tileILi256ELi256ELi2ELi2ELb0EEvPKcS1_S1_S1_S1_PKiPfP15HIP_vector_typeIfLj2EEffffjfiS5_IjLj3EEiiiiiiiiiiiliiliiiiil
		.amdhsa_group_segment_fixed_size 20000
		.amdhsa_private_segment_fixed_size 0
		.amdhsa_kernarg_size 464
		.amdhsa_user_sgpr_count 2
		.amdhsa_user_sgpr_dispatch_ptr 0
		.amdhsa_user_sgpr_queue_ptr 0
		.amdhsa_user_sgpr_kernarg_segment_ptr 1
		.amdhsa_user_sgpr_dispatch_id 0
		.amdhsa_user_sgpr_kernarg_preload_length 0
		.amdhsa_user_sgpr_kernarg_preload_offset 0
		.amdhsa_user_sgpr_private_segment_size 0
		.amdhsa_uses_dynamic_stack 0
		.amdhsa_enable_private_segment 0
		.amdhsa_system_sgpr_workgroup_id_x 1
		.amdhsa_system_sgpr_workgroup_id_y 1
		.amdhsa_system_sgpr_workgroup_id_z 1
		.amdhsa_system_sgpr_workgroup_info 0
		.amdhsa_system_vgpr_workitem_id 1
		.amdhsa_next_free_vgpr 118
		.amdhsa_next_free_sgpr 40
		.amdhsa_accum_offset 120
		.amdhsa_reserve_vcc 1
		.amdhsa_float_round_mode_32 0
		.amdhsa_float_round_mode_16_64 0
		.amdhsa_float_denorm_mode_32 3
		.amdhsa_float_denorm_mode_16_64 3
		.amdhsa_dx10_clamp 1
		.amdhsa_ieee_mode 1
		.amdhsa_fp16_overflow 0
		.amdhsa_tg_split 0
		.amdhsa_exception_fp_ieee_invalid_op 0
		.amdhsa_exception_fp_denorm_src 0
		.amdhsa_exception_fp_ieee_div_zero 0
		.amdhsa_exception_fp_ieee_overflow 0
		.amdhsa_exception_fp_ieee_underflow 0
		.amdhsa_exception_fp_ieee_inexact 0
		.amdhsa_exception_int_div_zero 0
	.end_amdhsa_kernel
	.section	.text._ZL15flash_attn_tileILi256ELi256ELi2ELi2ELb0EEvPKcS1_S1_S1_S1_PKiPfP15HIP_vector_typeIfLj2EEffffjfiS5_IjLj3EEiiiiiiiiiiiliiliiiiil,"axG",@progbits,_ZL15flash_attn_tileILi256ELi256ELi2ELi2ELb0EEvPKcS1_S1_S1_S1_PKiPfP15HIP_vector_typeIfLj2EEffffjfiS5_IjLj3EEiiiiiiiiiiiliiliiiiil,comdat
.Lfunc_end36:
	.size	_ZL15flash_attn_tileILi256ELi256ELi2ELi2ELb0EEvPKcS1_S1_S1_S1_PKiPfP15HIP_vector_typeIfLj2EEffffjfiS5_IjLj3EEiiiiiiiiiiiliiliiiiil, .Lfunc_end36-_ZL15flash_attn_tileILi256ELi256ELi2ELi2ELb0EEvPKcS1_S1_S1_S1_PKiPfP15HIP_vector_typeIfLj2EEffffjfiS5_IjLj3EEiiiiiiiiiiiliiliiiiil
                                        ; -- End function
	.set _ZL15flash_attn_tileILi256ELi256ELi2ELi2ELb0EEvPKcS1_S1_S1_S1_PKiPfP15HIP_vector_typeIfLj2EEffffjfiS5_IjLj3EEiiiiiiiiiiiliiliiiiil.num_vgpr, 118
	.set _ZL15flash_attn_tileILi256ELi256ELi2ELi2ELb0EEvPKcS1_S1_S1_S1_PKiPfP15HIP_vector_typeIfLj2EEffffjfiS5_IjLj3EEiiiiiiiiiiiliiliiiiil.num_agpr, 0
	.set _ZL15flash_attn_tileILi256ELi256ELi2ELi2ELb0EEvPKcS1_S1_S1_S1_PKiPfP15HIP_vector_typeIfLj2EEffffjfiS5_IjLj3EEiiiiiiiiiiiliiliiiiil.numbered_sgpr, 40
	.set _ZL15flash_attn_tileILi256ELi256ELi2ELi2ELb0EEvPKcS1_S1_S1_S1_PKiPfP15HIP_vector_typeIfLj2EEffffjfiS5_IjLj3EEiiiiiiiiiiiliiliiiiil.num_named_barrier, 0
	.set _ZL15flash_attn_tileILi256ELi256ELi2ELi2ELb0EEvPKcS1_S1_S1_S1_PKiPfP15HIP_vector_typeIfLj2EEffffjfiS5_IjLj3EEiiiiiiiiiiiliiliiiiil.private_seg_size, 0
	.set _ZL15flash_attn_tileILi256ELi256ELi2ELi2ELb0EEvPKcS1_S1_S1_S1_PKiPfP15HIP_vector_typeIfLj2EEffffjfiS5_IjLj3EEiiiiiiiiiiiliiliiiiil.uses_vcc, 1
	.set _ZL15flash_attn_tileILi256ELi256ELi2ELi2ELb0EEvPKcS1_S1_S1_S1_PKiPfP15HIP_vector_typeIfLj2EEffffjfiS5_IjLj3EEiiiiiiiiiiiliiliiiiil.uses_flat_scratch, 0
	.set _ZL15flash_attn_tileILi256ELi256ELi2ELi2ELb0EEvPKcS1_S1_S1_S1_PKiPfP15HIP_vector_typeIfLj2EEffffjfiS5_IjLj3EEiiiiiiiiiiiliiliiiiil.has_dyn_sized_stack, 0
	.set _ZL15flash_attn_tileILi256ELi256ELi2ELi2ELb0EEvPKcS1_S1_S1_S1_PKiPfP15HIP_vector_typeIfLj2EEffffjfiS5_IjLj3EEiiiiiiiiiiiliiliiiiil.has_recursion, 0
	.set _ZL15flash_attn_tileILi256ELi256ELi2ELi2ELb0EEvPKcS1_S1_S1_S1_PKiPfP15HIP_vector_typeIfLj2EEffffjfiS5_IjLj3EEiiiiiiiiiiiliiliiiiil.has_indirect_call, 0
	.section	.AMDGPU.csdata,"",@progbits
; Kernel info:
; codeLenInByte = 8956
; TotalNumSgprs: 46
; NumVgprs: 118
; NumAgprs: 0
; TotalNumVgprs: 118
; ScratchSize: 0
; MemoryBound: 0
; FloatMode: 240
; IeeeMode: 1
; LDSByteSize: 20000 bytes/workgroup (compile time only)
; SGPRBlocks: 5
; VGPRBlocks: 14
; NumSGPRsForWavesPerEU: 46
; NumVGPRsForWavesPerEU: 118
; AccumOffset: 120
; Occupancy: 4
; WaveLimiterHint : 1
; COMPUTE_PGM_RSRC2:SCRATCH_EN: 0
; COMPUTE_PGM_RSRC2:USER_SGPR: 2
; COMPUTE_PGM_RSRC2:TRAP_HANDLER: 0
; COMPUTE_PGM_RSRC2:TGID_X_EN: 1
; COMPUTE_PGM_RSRC2:TGID_Y_EN: 1
; COMPUTE_PGM_RSRC2:TGID_Z_EN: 1
; COMPUTE_PGM_RSRC2:TIDIG_COMP_CNT: 1
; COMPUTE_PGM_RSRC3_GFX90A:ACCUM_OFFSET: 29
; COMPUTE_PGM_RSRC3_GFX90A:TG_SPLIT: 0
	.section	.text._ZL33flash_attn_stream_k_fixup_uniformILi256ELi2ELi2EEvPfPK15HIP_vector_typeIfLj2EEiiiiiiS1_IjLj3EES5_S5_,"axG",@progbits,_ZL33flash_attn_stream_k_fixup_uniformILi256ELi2ELi2EEvPfPK15HIP_vector_typeIfLj2EEiiiiiiS1_IjLj3EES5_S5_,comdat
	.globl	_ZL33flash_attn_stream_k_fixup_uniformILi256ELi2ELi2EEvPfPK15HIP_vector_typeIfLj2EEiiiiiiS1_IjLj3EES5_S5_ ; -- Begin function _ZL33flash_attn_stream_k_fixup_uniformILi256ELi2ELi2EEvPfPK15HIP_vector_typeIfLj2EEiiiiiiS1_IjLj3EES5_S5_
	.p2align	8
	.type	_ZL33flash_attn_stream_k_fixup_uniformILi256ELi2ELi2EEvPfPK15HIP_vector_typeIfLj2EEiiiiiiS1_IjLj3EES5_S5_,@function
_ZL33flash_attn_stream_k_fixup_uniformILi256ELi2ELi2EEvPfPK15HIP_vector_typeIfLj2EEiiiiiiS1_IjLj3EES5_S5_: ; @_ZL33flash_attn_stream_k_fixup_uniformILi256ELi2ELi2EEvPfPK15HIP_vector_typeIfLj2EEiiiiiiS1_IjLj3EES5_S5_
; %bb.0:
	s_load_dwordx8 s[8:15], s[0:1], 0x1c
	s_load_dwordx2 s[6:7], s[0:1], 0x10
	s_load_dwordx4 s[20:23], s[0:1], 0x3c
	s_waitcnt lgkmcnt(0)
	s_mul_hi_u32 s5, s11, s2
	s_add_i32 s5, s2, s5
	s_lshr_b32 s5, s5, s12
	s_mul_i32 s11, s5, s13
	s_sub_i32 s11, s2, s11
	s_mul_hi_u32 s12, s11, s14
	s_add_i32 s12, s11, s12
	s_lshr_b32 s16, s12, s15
	s_mul_i32 s12, s16, s20
	s_sub_i32 s11, s11, s12
	;; [unrolled: 5-line block ×3, first 2 shown]
	s_lshl_b32 s11, s12, 1
	s_lshl_b32 s12, s17, 1
	s_add_i32 s12, s12, s3
	s_cmp_lt_i32 s12, s6
	s_cselect_b64 s[12:13], -1, 0
	s_add_i32 s14, s11, s4
	s_cmp_lt_i32 s14, s9
	s_cselect_b64 s[14:15], -1, 0
	s_and_b64 s[12:13], s[12:13], s[14:15]
	s_andn2_b64 vcc, exec, s[12:13]
	s_cbranch_vccnz .LBB37_6
; %bb.1:
	s_load_dwordx4 s[12:15], s[0:1], 0x0
	s_mul_i32 s0, s5, s6
	s_add_i32 s0, s0, s3
	s_mul_i32 s0, s0, s7
	s_mul_i32 s16, s16, s9
	s_add_i32 s0, s0, s4
	s_add_i32 s0, s0, s16
	s_mul_i32 s1, s7, s17
	s_add_i32 s0, s0, s11
	s_lshl_b32 s1, s1, 9
	s_lshl_b32 s0, s0, 8
	s_add_i32 s1, s1, s0
	v_or_b32_e32 v4, s1, v0
	s_waitcnt lgkmcnt(0)
	v_mov_b32_e32 v2, s12
	v_mov_b32_e32 v3, s13
	v_ashrrev_i32_e32 v5, 31, v4
	v_lshl_add_u64 v[2:3], v[4:5], 2, v[2:3]
	global_load_dword v5, v[2:3], off
	s_mul_i32 s5, s10, s2
	s_lshl_b32 s11, s3, 1
	s_add_i32 s9, s5, s10
	s_add_i32 s0, s11, s4
	s_lshl_b32 s1, s9, 2
	s_add_i32 s0, s0, s1
	s_add_i32 s0, s0, -4
	s_ashr_i32 s1, s0, 31
	s_lshl_b64 s[0:1], s[0:1], 3
	s_add_u32 s0, s14, s0
	s_addc_u32 s1, s15, s1
	s_load_dword s12, s[0:1], 0x4
	s_add_i32 s6, s9, -2
	s_cmp_lt_i32 s6, s5
	s_cbranch_scc1 .LBB37_4
; %bb.2:
	s_lshl_b32 s6, s8, 4
	s_ashr_i32 s7, s6, 31
	s_lshl_b64 s[6:7], s[6:7], 2
	s_add_u32 s6, s14, s6
	s_addc_u32 s7, s15, s7
	s_add_i32 s2, s2, 1
	s_load_dword s0, s[0:1], 0x0
	s_mul_i32 s1, s10, s2
	s_lshl_b32 s3, s3, 9
	s_lshl_b32 s10, s4, 8
	;; [unrolled: 1-line block ×3, first 2 shown]
	s_add_i32 s3, s10, s3
	s_lshl_b32 s1, s1, 2
	s_add_i32 s3, s3, s2
	s_add_i32 s1, s4, s1
	s_lshl_b32 s2, s8, 2
	s_add_i32 s1, s1, s2
	v_or_b32_e32 v0, s3, v0
	s_add_i32 s1, s1, s11
	s_add_i32 s9, s9, -1
	v_add_u32_e32 v0, 0xfffff800, v0
	s_add_i32 s2, s1, -8
	s_waitcnt lgkmcnt(0)
	v_mov_b32_e32 v7, s0
	v_mov_b32_e32 v4, s12
	s_mov_b32 s4, 0x3fb8aa3b
	s_mov_b32 s8, 0xc2ce8ed0
	;; [unrolled: 1-line block ×3, first 2 shown]
	v_mov_b32_e32 v6, 0x7f800000
	s_mov_b32 s11, 0xc1a00000
.LBB37_3:                               ; =>This Inner Loop Header: Depth=1
	v_ashrrev_i32_e32 v1, 31, v0
	v_lshl_add_u64 v[8:9], v[0:1], 2, s[6:7]
	global_load_dword v9, v[8:9], off
	s_ashr_i32 s3, s2, 31
	s_lshl_b64 s[0:1], s[2:3], 3
	s_add_u32 s0, s14, s0
	s_addc_u32 s1, s15, s1
	s_load_dwordx2 s[0:1], s[0:1], 0x0
	v_max_f32_e32 v1, v7, v7
	s_add_i32 s9, s9, -1
	s_add_i32 s2, s2, -4
	v_add_u32_e32 v0, 0xfffffc00, v0
	s_waitcnt lgkmcnt(0)
	v_max_f32_e64 v10, s0, s0
	v_max_f32_e32 v1, v1, v10
	v_sub_f32_e32 v11, s0, v1
	v_sub_f32_e32 v10, v7, v1
	v_mul_f32_e32 v12, 0x3fb8aa3b, v11
	v_mov_b32_e32 v7, v1
	v_mul_f32_e32 v1, 0x3fb8aa3b, v10
	v_fma_f32 v15, v11, s4, -v12
	v_rndne_f32_e32 v16, v12
	v_fma_f32 v13, v10, s4, -v1
	v_rndne_f32_e32 v14, v1
	v_fmac_f32_e32 v15, 0x32a5705f, v11
	v_sub_f32_e32 v12, v12, v16
	v_fmac_f32_e32 v13, 0x32a5705f, v10
	v_sub_f32_e32 v1, v1, v14
	v_add_f32_e32 v12, v12, v15
	v_cvt_i32_f32_e32 v16, v16
	v_add_f32_e32 v1, v1, v13
	v_exp_f32_e32 v12, v12
	v_cvt_i32_f32_e32 v14, v14
	v_exp_f32_e32 v1, v1
	v_cmp_ngt_f32_e32 vcc, s8, v11
	v_ldexp_f32 v12, v12, v16
	v_mov_b32_e32 v8, s1
	v_ldexp_f32 v1, v1, v14
	v_cmp_ngt_f32_e64 s[0:1], s8, v10
	v_cndmask_b32_e32 v12, 0, v12, vcc
	v_cmp_nlt_f32_e32 vcc, s10, v11
	v_cndmask_b32_e64 v1, 0, v1, s[0:1]
	v_cmp_nlt_f32_e64 s[0:1], s10, v10
	v_cndmask_b32_e32 v12, v6, v12, vcc
	v_cmp_le_f32_e32 vcc, s11, v11
	v_cndmask_b32_e64 v1, v6, v1, s[0:1]
	v_cmp_le_f32_e64 s[0:1], s11, v10
	v_cndmask_b32_e32 v12, 0, v12, vcc
	s_cmp_le_i32 s9, s5
	v_cndmask_b32_e64 v10, 0, v1, s[0:1]
	s_waitcnt vmcnt(0)
	v_pk_mul_f32 v[8:9], v[8:9], v[12:13] op_sel_hi:[1,0]
	s_nop 0
	v_pk_fma_f32 v[4:5], v[4:5], v[10:11], v[8:9] op_sel_hi:[1,0,1]
	s_cbranch_scc0 .LBB37_3
	s_branch .LBB37_5
.LBB37_4:
	s_waitcnt lgkmcnt(0)
	v_mov_b32_e32 v4, s12
.LBB37_5:
	s_waitcnt vmcnt(0)
	v_div_scale_f32 v0, s[0:1], v4, v4, v5
	v_rcp_f32_e32 v1, v0
	v_div_scale_f32 v6, vcc, v5, v4, v5
	v_fma_f32 v7, -v0, v1, 1.0
	v_fmac_f32_e32 v1, v7, v1
	v_mul_f32_e32 v7, v6, v1
	v_fma_f32 v8, -v0, v7, v6
	v_fmac_f32_e32 v7, v8, v1
	v_fma_f32 v0, -v0, v7, v6
	v_div_fmas_f32 v0, v0, v1, v7
	v_div_fixup_f32 v0, v0, v4, v5
	global_store_dword v[2:3], v0, off
.LBB37_6:
	s_endpgm
	.section	.rodata,"a",@progbits
	.p2align	6, 0x0
	.amdhsa_kernel _ZL33flash_attn_stream_k_fixup_uniformILi256ELi2ELi2EEvPfPK15HIP_vector_typeIfLj2EEiiiiiiS1_IjLj3EES5_S5_
		.amdhsa_group_segment_fixed_size 0
		.amdhsa_private_segment_fixed_size 0
		.amdhsa_kernarg_size 76
		.amdhsa_user_sgpr_count 2
		.amdhsa_user_sgpr_dispatch_ptr 0
		.amdhsa_user_sgpr_queue_ptr 0
		.amdhsa_user_sgpr_kernarg_segment_ptr 1
		.amdhsa_user_sgpr_dispatch_id 0
		.amdhsa_user_sgpr_kernarg_preload_length 0
		.amdhsa_user_sgpr_kernarg_preload_offset 0
		.amdhsa_user_sgpr_private_segment_size 0
		.amdhsa_uses_dynamic_stack 0
		.amdhsa_enable_private_segment 0
		.amdhsa_system_sgpr_workgroup_id_x 1
		.amdhsa_system_sgpr_workgroup_id_y 1
		.amdhsa_system_sgpr_workgroup_id_z 1
		.amdhsa_system_sgpr_workgroup_info 0
		.amdhsa_system_vgpr_workitem_id 0
		.amdhsa_next_free_vgpr 17
		.amdhsa_next_free_sgpr 24
		.amdhsa_accum_offset 20
		.amdhsa_reserve_vcc 1
		.amdhsa_float_round_mode_32 0
		.amdhsa_float_round_mode_16_64 0
		.amdhsa_float_denorm_mode_32 3
		.amdhsa_float_denorm_mode_16_64 3
		.amdhsa_dx10_clamp 1
		.amdhsa_ieee_mode 1
		.amdhsa_fp16_overflow 0
		.amdhsa_tg_split 0
		.amdhsa_exception_fp_ieee_invalid_op 0
		.amdhsa_exception_fp_denorm_src 0
		.amdhsa_exception_fp_ieee_div_zero 0
		.amdhsa_exception_fp_ieee_overflow 0
		.amdhsa_exception_fp_ieee_underflow 0
		.amdhsa_exception_fp_ieee_inexact 0
		.amdhsa_exception_int_div_zero 0
	.end_amdhsa_kernel
	.section	.text._ZL33flash_attn_stream_k_fixup_uniformILi256ELi2ELi2EEvPfPK15HIP_vector_typeIfLj2EEiiiiiiS1_IjLj3EES5_S5_,"axG",@progbits,_ZL33flash_attn_stream_k_fixup_uniformILi256ELi2ELi2EEvPfPK15HIP_vector_typeIfLj2EEiiiiiiS1_IjLj3EES5_S5_,comdat
.Lfunc_end37:
	.size	_ZL33flash_attn_stream_k_fixup_uniformILi256ELi2ELi2EEvPfPK15HIP_vector_typeIfLj2EEiiiiiiS1_IjLj3EES5_S5_, .Lfunc_end37-_ZL33flash_attn_stream_k_fixup_uniformILi256ELi2ELi2EEvPfPK15HIP_vector_typeIfLj2EEiiiiiiS1_IjLj3EES5_S5_
                                        ; -- End function
	.set _ZL33flash_attn_stream_k_fixup_uniformILi256ELi2ELi2EEvPfPK15HIP_vector_typeIfLj2EEiiiiiiS1_IjLj3EES5_S5_.num_vgpr, 17
	.set _ZL33flash_attn_stream_k_fixup_uniformILi256ELi2ELi2EEvPfPK15HIP_vector_typeIfLj2EEiiiiiiS1_IjLj3EES5_S5_.num_agpr, 0
	.set _ZL33flash_attn_stream_k_fixup_uniformILi256ELi2ELi2EEvPfPK15HIP_vector_typeIfLj2EEiiiiiiS1_IjLj3EES5_S5_.numbered_sgpr, 24
	.set _ZL33flash_attn_stream_k_fixup_uniformILi256ELi2ELi2EEvPfPK15HIP_vector_typeIfLj2EEiiiiiiS1_IjLj3EES5_S5_.num_named_barrier, 0
	.set _ZL33flash_attn_stream_k_fixup_uniformILi256ELi2ELi2EEvPfPK15HIP_vector_typeIfLj2EEiiiiiiS1_IjLj3EES5_S5_.private_seg_size, 0
	.set _ZL33flash_attn_stream_k_fixup_uniformILi256ELi2ELi2EEvPfPK15HIP_vector_typeIfLj2EEiiiiiiS1_IjLj3EES5_S5_.uses_vcc, 1
	.set _ZL33flash_attn_stream_k_fixup_uniformILi256ELi2ELi2EEvPfPK15HIP_vector_typeIfLj2EEiiiiiiS1_IjLj3EES5_S5_.uses_flat_scratch, 0
	.set _ZL33flash_attn_stream_k_fixup_uniformILi256ELi2ELi2EEvPfPK15HIP_vector_typeIfLj2EEiiiiiiS1_IjLj3EES5_S5_.has_dyn_sized_stack, 0
	.set _ZL33flash_attn_stream_k_fixup_uniformILi256ELi2ELi2EEvPfPK15HIP_vector_typeIfLj2EEiiiiiiS1_IjLj3EES5_S5_.has_recursion, 0
	.set _ZL33flash_attn_stream_k_fixup_uniformILi256ELi2ELi2EEvPfPK15HIP_vector_typeIfLj2EEiiiiiiS1_IjLj3EES5_S5_.has_indirect_call, 0
	.section	.AMDGPU.csdata,"",@progbits
; Kernel info:
; codeLenInByte = 836
; TotalNumSgprs: 30
; NumVgprs: 17
; NumAgprs: 0
; TotalNumVgprs: 17
; ScratchSize: 0
; MemoryBound: 0
; FloatMode: 240
; IeeeMode: 1
; LDSByteSize: 0 bytes/workgroup (compile time only)
; SGPRBlocks: 3
; VGPRBlocks: 2
; NumSGPRsForWavesPerEU: 30
; NumVGPRsForWavesPerEU: 17
; AccumOffset: 20
; Occupancy: 8
; WaveLimiterHint : 0
; COMPUTE_PGM_RSRC2:SCRATCH_EN: 0
; COMPUTE_PGM_RSRC2:USER_SGPR: 2
; COMPUTE_PGM_RSRC2:TRAP_HANDLER: 0
; COMPUTE_PGM_RSRC2:TGID_X_EN: 1
; COMPUTE_PGM_RSRC2:TGID_Y_EN: 1
; COMPUTE_PGM_RSRC2:TGID_Z_EN: 1
; COMPUTE_PGM_RSRC2:TIDIG_COMP_CNT: 0
; COMPUTE_PGM_RSRC3_GFX90A:ACCUM_OFFSET: 4
; COMPUTE_PGM_RSRC3_GFX90A:TG_SPLIT: 0
	.section	.text._ZL33flash_attn_stream_k_fixup_generalILi256ELi2ELi2EEvPfPK15HIP_vector_typeIfLj2EEiiiiS1_IjLj3EES5_S5_S5_,"axG",@progbits,_ZL33flash_attn_stream_k_fixup_generalILi256ELi2ELi2EEvPfPK15HIP_vector_typeIfLj2EEiiiiS1_IjLj3EES5_S5_S5_,comdat
	.globl	_ZL33flash_attn_stream_k_fixup_generalILi256ELi2ELi2EEvPfPK15HIP_vector_typeIfLj2EEiiiiS1_IjLj3EES5_S5_S5_ ; -- Begin function _ZL33flash_attn_stream_k_fixup_generalILi256ELi2ELi2EEvPfPK15HIP_vector_typeIfLj2EEiiiiS1_IjLj3EES5_S5_S5_
	.p2align	8
	.type	_ZL33flash_attn_stream_k_fixup_generalILi256ELi2ELi2EEvPfPK15HIP_vector_typeIfLj2EEiiiiS1_IjLj3EES5_S5_S5_,@function
_ZL33flash_attn_stream_k_fixup_generalILi256ELi2ELi2EEvPfPK15HIP_vector_typeIfLj2EEiiiiS1_IjLj3EES5_S5_S5_: ; @_ZL33flash_attn_stream_k_fixup_generalILi256ELi2ELi2EEvPfPK15HIP_vector_typeIfLj2EEiiiiS1_IjLj3EES5_S5_S5_
; %bb.0:
	s_load_dwordx4 s[8:11], s[0:1], 0x10
	s_load_dword s22, s[0:1], 0x50
	s_mov_b32 s12, 0
	s_waitcnt lgkmcnt(0)
	s_mul_hi_i32 s13, s11, s2
	s_cmp_lg_u64 s[12:13], 0
	s_mul_i32 s5, s11, s2
	s_cbranch_scc0 .LBB38_20
; %bb.1:
	s_add_u32 s6, s22, 0
	s_addc_u32 s7, 0, 0
	s_xor_b64 s[6:7], s[6:7], 0
	v_cvt_f32_u32_e32 v1, s6
	v_cvt_f32_u32_e32 v2, s7
	s_sub_u32 s12, 0, s6
	s_subb_u32 s18, 0, s7
	v_fmamk_f32 v1, v2, 0x4f800000, v1
	v_rcp_f32_e32 v1, v1
	s_nop 0
	v_mul_f32_e32 v1, 0x5f7ffffc, v1
	v_mul_f32_e32 v2, 0x2f800000, v1
	v_trunc_f32_e32 v2, v2
	v_fmamk_f32 v1, v2, 0xcf800000, v1
	v_cvt_u32_f32_e32 v2, v2
	v_cvt_u32_f32_e32 v1, v1
	v_readfirstlane_b32 s19, v2
	v_readfirstlane_b32 s14, v1
	s_mul_i32 s15, s12, s19
	s_mul_hi_u32 s21, s12, s14
	s_mul_i32 s20, s18, s14
	s_add_i32 s15, s21, s15
	s_add_i32 s15, s15, s20
	s_mul_i32 s23, s12, s14
	s_mul_i32 s21, s14, s15
	s_mul_hi_u32 s24, s14, s23
	s_mul_hi_u32 s20, s14, s15
	s_add_u32 s21, s24, s21
	s_addc_u32 s20, 0, s20
	s_mul_hi_u32 s25, s19, s23
	s_mul_i32 s23, s19, s23
	s_add_u32 s21, s21, s23
	s_mul_hi_u32 s24, s19, s15
	s_addc_u32 s20, s20, s25
	s_addc_u32 s21, s24, 0
	s_mul_i32 s15, s19, s15
	s_add_u32 s15, s20, s15
	s_addc_u32 s20, 0, s21
	s_add_u32 s21, s14, s15
	s_cselect_b64 s[14:15], -1, 0
	s_cmp_lg_u64 s[14:15], 0
	s_addc_u32 s19, s19, s20
	s_mul_i32 s14, s12, s19
	s_mul_hi_u32 s15, s12, s21
	s_add_i32 s14, s15, s14
	s_mul_i32 s18, s18, s21
	s_add_i32 s14, s14, s18
	s_mul_i32 s12, s12, s21
	s_mul_hi_u32 s18, s19, s12
	s_mul_i32 s20, s19, s12
	s_mul_i32 s24, s21, s14
	s_mul_hi_u32 s12, s21, s12
	s_mul_hi_u32 s23, s21, s14
	s_add_u32 s12, s12, s24
	s_addc_u32 s23, 0, s23
	s_add_u32 s12, s12, s20
	s_mul_hi_u32 s15, s19, s14
	s_addc_u32 s12, s23, s18
	s_addc_u32 s15, s15, 0
	s_mul_i32 s14, s19, s14
	s_add_u32 s12, s12, s14
	s_addc_u32 s18, 0, s15
	s_add_u32 s20, s21, s12
	s_cselect_b64 s[14:15], -1, 0
	s_cmp_lg_u64 s[14:15], 0
	s_addc_u32 s18, s19, s18
	s_ashr_i32 s14, s13, 31
	s_add_u32 s12, s5, s14
	s_mov_b32 s15, s14
	s_addc_u32 s13, s13, s14
	s_xor_b64 s[12:13], s[12:13], s[14:15]
	s_mul_i32 s21, s12, s18
	s_mul_hi_u32 s23, s12, s20
	s_mul_hi_u32 s19, s12, s18
	s_add_u32 s21, s23, s21
	s_addc_u32 s19, 0, s19
	s_mul_hi_u32 s24, s13, s20
	s_mul_i32 s20, s13, s20
	s_add_u32 s20, s21, s20
	s_mul_hi_u32 s23, s13, s18
	s_addc_u32 s19, s19, s24
	s_addc_u32 s20, s23, 0
	s_mul_i32 s18, s13, s18
	s_add_u32 s23, s19, s18
	s_addc_u32 s24, 0, s20
	s_mul_i32 s18, s6, s24
	s_mul_hi_u32 s19, s6, s23
	s_add_i32 s18, s19, s18
	s_mul_i32 s19, s7, s23
	s_add_i32 s25, s18, s19
	s_sub_i32 s20, s13, s25
	s_mul_i32 s18, s6, s23
	s_sub_u32 s12, s12, s18
	s_cselect_b64 s[18:19], -1, 0
	s_cmp_lg_u64 s[18:19], 0
	s_subb_u32 s26, s20, s7
	s_sub_u32 s27, s12, s6
	s_cselect_b64 s[20:21], -1, 0
	s_cmp_lg_u64 s[20:21], 0
	s_subb_u32 s20, s26, 0
	s_cmp_ge_u32 s20, s7
	s_cselect_b32 s21, -1, 0
	s_cmp_ge_u32 s27, s6
	s_cselect_b32 s26, -1, 0
	s_cmp_eq_u32 s20, s7
	s_cselect_b32 s20, s26, s21
	s_add_u32 s21, s23, 1
	s_addc_u32 s26, s24, 0
	s_add_u32 s27, s23, 2
	s_addc_u32 s28, s24, 0
	s_cmp_lg_u32 s20, 0
	s_cselect_b32 s20, s27, s21
	s_cselect_b32 s21, s28, s26
	s_cmp_lg_u64 s[18:19], 0
	s_subb_u32 s13, s13, s25
	s_cmp_ge_u32 s13, s7
	s_cselect_b32 s18, -1, 0
	s_cmp_ge_u32 s12, s6
	s_cselect_b32 s6, -1, 0
	s_cmp_eq_u32 s13, s7
	s_cselect_b32 s6, s6, s18
	s_cmp_lg_u32 s6, 0
	s_cselect_b32 s7, s21, s24
	s_cselect_b32 s6, s20, s23
	s_xor_b64 s[12:13], s[14:15], 0
	s_xor_b64 s[6:7], s[6:7], s[12:13]
	s_sub_u32 s6, s6, s12
	s_load_dwordx4 s[12:15], s[0:1], 0x44
	s_cbranch_execnz .LBB38_3
.LBB38_2:
	v_cvt_f32_u32_e32 v1, s22
	s_sub_i32 s6, 0, s22
	v_rcp_iflag_f32_e32 v1, v1
	s_nop 0
	v_mul_f32_e32 v1, 0x4f7ffffe, v1
	v_cvt_u32_f32_e32 v1, v1
	s_nop 0
	v_readfirstlane_b32 s7, v1
	s_mul_i32 s6, s6, s7
	s_mul_hi_u32 s6, s7, s6
	s_add_i32 s7, s7, s6
	s_mul_hi_u32 s6, s5, s7
	s_waitcnt lgkmcnt(0)
	s_mul_i32 s15, s6, s22
	s_sub_i32 s5, s5, s15
	s_add_i32 s7, s6, 1
	s_sub_i32 s15, s5, s22
	s_cmp_ge_u32 s5, s22
	s_cselect_b32 s6, s7, s6
	s_cselect_b32 s5, s15, s5
	s_add_i32 s7, s6, 1
	s_cmp_ge_u32 s5, s22
	s_cselect_b32 s6, s7, s6
.LBB38_3:
	s_add_i32 s5, s2, 1
	s_mul_hi_i32 s21, s11, s5
	s_mov_b32 s20, 0
	s_cmp_lg_u64 s[20:21], 0
	s_mul_i32 s5, s11, s5
	s_cbranch_scc0 .LBB38_21
; %bb.4:
	s_add_u32 s16, s22, 0
	s_addc_u32 s17, 0, 0
	s_xor_b64 s[18:19], s[16:17], 0
	v_cvt_f32_u32_e32 v1, s18
	v_cvt_f32_u32_e32 v2, s19
	s_sub_u32 s7, 0, s18
	s_waitcnt lgkmcnt(0)
	s_subb_u32 s15, 0, s19
	v_fmamk_f32 v1, v2, 0x4f800000, v1
	v_rcp_f32_e32 v1, v1
	s_nop 0
	v_mul_f32_e32 v1, 0x5f7ffffc, v1
	v_mul_f32_e32 v2, 0x2f800000, v1
	v_trunc_f32_e32 v2, v2
	v_fmamk_f32 v1, v2, 0xcf800000, v1
	v_cvt_u32_f32_e32 v2, v2
	v_cvt_u32_f32_e32 v1, v1
	v_readfirstlane_b32 s20, v2
	v_readfirstlane_b32 s23, v1
	s_mul_i32 s24, s7, s20
	s_mul_hi_u32 s26, s7, s23
	s_mul_i32 s25, s15, s23
	s_add_i32 s24, s26, s24
	s_add_i32 s24, s24, s25
	s_mul_i32 s27, s7, s23
	s_mul_i32 s26, s23, s24
	s_mul_hi_u32 s28, s23, s27
	s_mul_hi_u32 s25, s23, s24
	s_add_u32 s26, s28, s26
	s_addc_u32 s25, 0, s25
	s_mul_hi_u32 s29, s20, s27
	s_mul_i32 s27, s20, s27
	s_add_u32 s26, s26, s27
	s_mul_hi_u32 s28, s20, s24
	s_addc_u32 s25, s25, s29
	s_addc_u32 s26, s28, 0
	s_mul_i32 s24, s20, s24
	s_add_u32 s24, s25, s24
	s_addc_u32 s26, 0, s26
	s_add_u32 s23, s23, s24
	s_cselect_b64 s[24:25], -1, 0
	s_cmp_lg_u64 s[24:25], 0
	s_addc_u32 s20, s20, s26
	s_mul_i32 s24, s7, s20
	s_mul_hi_u32 s25, s7, s23
	s_add_i32 s24, s25, s24
	s_mul_i32 s15, s15, s23
	s_add_i32 s24, s24, s15
	s_mul_i32 s7, s7, s23
	s_mul_hi_u32 s25, s20, s7
	s_mul_i32 s26, s20, s7
	s_mul_i32 s28, s23, s24
	s_mul_hi_u32 s7, s23, s7
	s_mul_hi_u32 s27, s23, s24
	s_add_u32 s7, s7, s28
	s_addc_u32 s27, 0, s27
	s_add_u32 s7, s7, s26
	s_mul_hi_u32 s15, s20, s24
	s_addc_u32 s7, s27, s25
	s_addc_u32 s15, s15, 0
	s_mul_i32 s24, s20, s24
	s_add_u32 s7, s7, s24
	s_addc_u32 s15, 0, s15
	s_add_u32 s7, s23, s7
	s_cselect_b64 s[24:25], -1, 0
	s_cmp_lg_u64 s[24:25], 0
	s_addc_u32 s15, s20, s15
	s_ashr_i32 s24, s21, 31
	s_add_u32 s20, s5, s24
	s_mov_b32 s25, s24
	s_addc_u32 s21, s21, s24
	s_xor_b64 s[20:21], s[20:21], s[24:25]
	s_mul_i32 s26, s20, s15
	s_mul_hi_u32 s27, s20, s7
	s_mul_hi_u32 s23, s20, s15
	s_add_u32 s26, s27, s26
	s_addc_u32 s23, 0, s23
	s_mul_hi_u32 s28, s21, s7
	s_mul_i32 s7, s21, s7
	s_add_u32 s7, s26, s7
	s_mul_hi_u32 s27, s21, s15
	s_addc_u32 s7, s23, s28
	s_addc_u32 s23, s27, 0
	s_mul_i32 s15, s21, s15
	s_add_u32 s7, s7, s15
	s_addc_u32 s15, 0, s23
	s_mul_i32 s23, s18, s15
	s_mul_hi_u32 s26, s18, s7
	s_add_i32 s23, s26, s23
	s_mul_i32 s26, s19, s7
	s_add_i32 s23, s23, s26
	s_sub_i32 s28, s21, s23
	s_mul_i32 s26, s18, s7
	s_sub_u32 s20, s20, s26
	s_cselect_b64 s[26:27], -1, 0
	s_cmp_lg_u64 s[26:27], 0
	s_subb_u32 s30, s28, s19
	s_sub_u32 s31, s20, s18
	s_cselect_b64 s[28:29], -1, 0
	s_cmp_lg_u64 s[28:29], 0
	s_subb_u32 s28, s30, 0
	s_cmp_ge_u32 s28, s19
	s_cselect_b32 s29, -1, 0
	s_cmp_ge_u32 s31, s18
	s_cselect_b32 s30, -1, 0
	s_cmp_eq_u32 s28, s19
	s_cselect_b32 s28, s30, s29
	s_add_u32 s29, s7, 1
	s_addc_u32 s30, s15, 0
	s_add_u32 s31, s7, 2
	s_addc_u32 s33, s15, 0
	s_cmp_lg_u32 s28, 0
	s_cselect_b32 s28, s31, s29
	s_cselect_b32 s29, s33, s30
	s_cmp_lg_u64 s[26:27], 0
	s_subb_u32 s21, s21, s23
	s_cmp_ge_u32 s21, s19
	s_cselect_b32 s23, -1, 0
	s_cmp_ge_u32 s20, s18
	s_cselect_b32 s18, -1, 0
	s_cmp_eq_u32 s21, s19
	s_cselect_b32 s18, s18, s23
	s_cmp_lg_u32 s18, 0
	s_cselect_b32 s19, s29, s15
	s_cselect_b32 s18, s28, s7
	s_xor_b64 s[20:21], s[24:25], 0
	s_xor_b64 s[18:19], s[18:19], s[20:21]
	s_sub_u32 s18, s18, s20
	s_cbranch_execnz .LBB38_6
.LBB38_5:
	v_cvt_f32_u32_e32 v1, s22
	s_sub_i32 s7, 0, s22
	v_rcp_iflag_f32_e32 v1, v1
	s_nop 0
	v_mul_f32_e32 v1, 0x4f7ffffe, v1
	v_cvt_u32_f32_e32 v1, v1
	s_waitcnt lgkmcnt(0)
	v_readfirstlane_b32 s15, v1
	s_mul_i32 s7, s7, s15
	s_mul_hi_u32 s7, s15, s7
	s_add_i32 s15, s15, s7
	s_mul_hi_u32 s7, s5, s15
	s_mul_i32 s16, s7, s22
	s_sub_i32 s5, s5, s16
	s_add_i32 s15, s7, 1
	s_sub_i32 s16, s5, s22
	s_cmp_ge_u32 s5, s22
	s_cselect_b32 s7, s15, s7
	s_cselect_b32 s5, s16, s5
	s_add_i32 s15, s7, 1
	s_cmp_ge_u32 s5, s22
	s_cselect_b32 s18, s15, s7
.LBB38_6:
	s_cmp_eq_u32 s6, s18
	s_waitcnt lgkmcnt(0)
	s_mul_hi_u32 s5, s6, s12
	s_cselect_b64 s[16:17], -1, 0
	s_add_i32 s5, s5, s6
	s_lshr_b32 s7, s5, s13
	s_mul_i32 s5, s7, s14
	s_cmp_eq_u32 s5, s6
	s_mul_hi_u32 s5, s18, s12
	s_cselect_b64 s[20:21], -1, 0
	s_add_i32 s5, s5, s18
	s_lshr_b32 s5, s5, s13
	s_cmp_eq_u32 s7, s5
	s_mul_i32 s5, s5, s14
	s_cselect_b64 s[24:25], -1, 0
	s_cmp_lg_u32 s5, s18
	s_cselect_b64 s[18:19], -1, 0
	s_and_b64 s[18:19], s[24:25], s[18:19]
	s_or_b64 s[16:17], s[16:17], s[20:21]
	s_or_b64 s[16:17], s[16:17], s[18:19]
	s_and_b64 vcc, exec, s[16:17]
	s_cbranch_vccnz .LBB38_23
; %bb.7:
	s_load_dwordx8 s[24:31], s[0:1], 0x20
	s_load_dword s15, s[0:1], 0x40
	s_waitcnt lgkmcnt(0)
	s_mul_hi_u32 s5, s6, s24
	s_add_i32 s5, s5, s6
	s_lshr_b32 s5, s5, s25
	s_mul_i32 s16, s5, s26
	s_sub_i32 s16, s6, s16
	s_mul_hi_u32 s17, s16, s27
	s_add_i32 s17, s16, s17
	s_lshr_b32 s20, s17, s28
	s_mul_i32 s17, s20, s29
	s_sub_i32 s16, s16, s17
	;; [unrolled: 5-line block ×3, first 2 shown]
	s_mul_hi_u32 s16, s15, s12
	s_add_i32 s15, s15, s16
	s_lshr_b32 s23, s15, s13
	s_lshl_b32 s15, s23, 1
	s_lshl_b32 s21, s17, 1
	s_add_i32 s15, s15, s3
	s_cmp_lt_i32 s15, s8
	s_cselect_b64 s[16:17], -1, 0
	s_add_i32 s15, s21, s4
	s_cmp_lt_i32 s15, s10
	s_cselect_b64 s[18:19], -1, 0
	s_and_b64 s[16:17], s[16:17], s[18:19]
	s_andn2_b64 vcc, exec, s[16:17]
	s_cbranch_vccnz .LBB38_23
; %bb.8:
	s_load_dwordx4 s[16:19], s[0:1], 0x0
	s_mov_b32 s0, 0
	s_lshl_b32 s15, s3, 1
	s_lshl_b32 s24, s22, 4
	s_mov_b32 s25, s0
	s_add_i32 s15, s15, s4
	s_waitcnt lgkmcnt(0)
	v_mov_b32_e32 v2, s16
	v_mov_b32_e32 v3, s17
	s_lshl_b64 s[16:17], s[24:25], 2
	s_add_u32 s16, s18, s16
	s_mul_i32 s1, s5, s8
	s_addc_u32 s17, s19, s17
	s_add_i32 s1, s1, s3
	s_mul_i32 s1, s1, s9
	s_mul_i32 s20, s20, s10
	s_add_i32 s1, s1, s4
	s_add_i32 s1, s1, s20
	s_mul_i32 s5, s9, s23
	s_add_i32 s1, s1, s21
	s_lshl_b32 s5, s5, 9
	s_lshl_b32 s1, s1, 8
	s_add_i32 s5, s5, s1
	v_or_b32_e32 v4, s5, v0
	v_ashrrev_i32_e32 v5, 31, v4
	v_lshl_add_u64 v[2:3], v[4:5], 2, v[2:3]
	global_load_dword v1, v[2:3], off
	v_cvt_f32_u32_e32 v4, s22
	s_lshl_b32 s1, s2, 2
	s_add_i32 s4, s15, s1
	s_ashr_i32 s5, s4, 31
	s_lshl_b64 s[4:5], s[4:5], 3
	v_rcp_iflag_f32_e32 v4, v4
	s_add_u32 s4, s18, s4
	s_addc_u32 s5, s19, s5
	s_load_dwordx2 s[4:5], s[4:5], 0x0
	v_mul_f32_e32 v4, 0x4f7ffffe, v4
	v_cvt_u32_f32_e32 v7, v4
	s_add_i32 s24, s2, -1
	v_lshl_or_b32 v6, s15, 8, v0
	s_waitcnt lgkmcnt(0)
	v_mov_b32_e32 v0, s5
	v_mov_b32_e32 v9, s4
	s_mov_b32 s10, 0x3fb8aa3b
	s_mov_b32 s20, 0xc2ce8ed0
	;; [unrolled: 1-line block ×4, first 2 shown]
	v_mov_b32_e32 v8, 0x7f800000
	s_mul_hi_i32 s1, s24, s11
	s_cmp_lg_u64 s[0:1], 0
	s_mul_i32 s8, s24, s11
	s_cbranch_scc0 .LBB38_19
.LBB38_9:
	s_add_u32 s2, s22, 0
	s_addc_u32 s3, 0, 0
	s_xor_b64 s[2:3], s[2:3], 0
	v_cvt_f32_u32_e32 v4, s2
	v_cvt_f32_u32_e32 v5, s3
	s_sub_u32 s9, 0, s2
	s_subb_u32 s25, 0, s3
	v_fmac_f32_e32 v4, 0x4f800000, v5
	v_rcp_f32_e32 v4, v4
	s_nop 0
	v_mul_f32_e32 v4, 0x5f7ffffc, v4
	v_mul_f32_e32 v5, 0x2f800000, v4
	v_trunc_f32_e32 v5, v5
	v_fmac_f32_e32 v4, 0xcf800000, v5
	v_cvt_u32_f32_e32 v5, v5
	v_cvt_u32_f32_e32 v4, v4
	v_readfirstlane_b32 s26, v5
	v_readfirstlane_b32 s4, v4
	s_mul_i32 s5, s9, s26
	s_mul_hi_u32 s28, s9, s4
	s_mul_i32 s27, s25, s4
	s_add_i32 s5, s28, s5
	s_mul_i32 s29, s9, s4
	s_add_i32 s5, s5, s27
	s_mul_i32 s28, s4, s5
	s_mul_hi_u32 s30, s4, s29
	s_mul_hi_u32 s27, s4, s5
	s_add_u32 s28, s30, s28
	s_addc_u32 s27, 0, s27
	s_mul_hi_u32 s31, s26, s29
	s_mul_i32 s29, s26, s29
	s_add_u32 s28, s28, s29
	s_mul_hi_u32 s30, s26, s5
	s_addc_u32 s27, s27, s31
	s_addc_u32 s28, s30, 0
	s_mul_i32 s5, s26, s5
	s_add_u32 s5, s27, s5
	s_addc_u32 s27, 0, s28
	s_add_u32 s28, s4, s5
	s_cselect_b64 s[4:5], -1, 0
	s_cmp_lg_u64 s[4:5], 0
	s_addc_u32 s26, s26, s27
	s_mul_i32 s4, s9, s26
	s_mul_hi_u32 s5, s9, s28
	s_add_i32 s4, s5, s4
	s_mul_i32 s25, s25, s28
	s_add_i32 s4, s4, s25
	s_mul_i32 s9, s9, s28
	s_mul_hi_u32 s25, s26, s9
	s_mul_i32 s27, s26, s9
	s_mul_i32 s30, s28, s4
	s_mul_hi_u32 s9, s28, s9
	s_mul_hi_u32 s29, s28, s4
	s_add_u32 s9, s9, s30
	s_addc_u32 s29, 0, s29
	s_add_u32 s9, s9, s27
	s_mul_hi_u32 s5, s26, s4
	s_addc_u32 s9, s29, s25
	s_addc_u32 s5, s5, 0
	s_mul_i32 s4, s26, s4
	s_add_u32 s4, s9, s4
	s_addc_u32 s9, 0, s5
	s_add_u32 s25, s28, s4
	s_cselect_b64 s[4:5], -1, 0
	s_cmp_lg_u64 s[4:5], 0
	s_addc_u32 s9, s26, s9
	s_ashr_i32 s4, s1, 31
	s_add_u32 s26, s8, s4
	s_mov_b32 s5, s4
	s_addc_u32 s27, s1, s4
	s_xor_b64 s[26:27], s[26:27], s[4:5]
	s_mul_i32 s28, s26, s9
	s_mul_hi_u32 s29, s26, s25
	s_mul_hi_u32 s1, s26, s9
	s_add_u32 s28, s29, s28
	s_addc_u32 s1, 0, s1
	s_mul_hi_u32 s30, s27, s25
	s_mul_i32 s25, s27, s25
	s_add_u32 s25, s28, s25
	s_mul_hi_u32 s29, s27, s9
	s_addc_u32 s1, s1, s30
	s_addc_u32 s25, s29, 0
	s_mul_i32 s9, s27, s9
	s_add_u32 s1, s1, s9
	s_addc_u32 s9, 0, s25
	s_mul_i32 s25, s2, s9
	s_mul_hi_u32 s28, s2, s1
	s_add_i32 s25, s28, s25
	s_mul_i32 s28, s3, s1
	s_add_i32 s25, s25, s28
	s_sub_i32 s30, s27, s25
	s_mul_i32 s28, s2, s1
	s_sub_u32 s26, s26, s28
	s_cselect_b64 s[28:29], -1, 0
	s_cmp_lg_u64 s[28:29], 0
	s_subb_u32 s33, s30, s3
	s_sub_u32 s34, s26, s2
	s_cselect_b64 s[30:31], -1, 0
	s_cmp_lg_u64 s[30:31], 0
	s_subb_u32 s30, s33, 0
	s_cmp_ge_u32 s30, s3
	s_cselect_b32 s31, -1, 0
	s_cmp_ge_u32 s34, s2
	s_cselect_b32 s33, -1, 0
	s_cmp_eq_u32 s30, s3
	s_cselect_b32 s30, s33, s31
	s_add_u32 s31, s1, 1
	s_addc_u32 s33, s9, 0
	s_add_u32 s34, s1, 2
	s_addc_u32 s35, s9, 0
	s_cmp_lg_u32 s30, 0
	s_cselect_b32 s30, s34, s31
	s_cselect_b32 s31, s35, s33
	s_cmp_lg_u64 s[28:29], 0
	s_subb_u32 s25, s27, s25
	s_cmp_ge_u32 s25, s3
	s_cselect_b32 s27, -1, 0
	s_cmp_ge_u32 s26, s2
	s_cselect_b32 s2, -1, 0
	s_cmp_eq_u32 s25, s3
	s_cselect_b32 s2, s2, s27
	s_cmp_lg_u32 s2, 0
	s_cselect_b32 s3, s31, s9
	s_cselect_b32 s2, s30, s1
	s_xor_b64 s[4:5], s[4:5], 0
	s_xor_b64 s[2:3], s[2:3], s[4:5]
	s_sub_u32 s4, s2, s4
	s_cbranch_execnz .LBB38_11
.LBB38_10:
	s_sub_i32 s1, 0, s22
	v_readfirstlane_b32 s2, v7
	s_mul_i32 s1, s1, s2
	s_mul_hi_u32 s1, s2, s1
	s_add_i32 s2, s2, s1
	s_mul_hi_u32 s1, s8, s2
	s_mul_i32 s3, s1, s22
	s_sub_i32 s3, s8, s3
	s_add_i32 s2, s1, 1
	s_sub_i32 s4, s3, s22
	s_cmp_ge_u32 s3, s22
	s_cselect_b32 s1, s2, s1
	s_cselect_b32 s3, s4, s3
	s_add_i32 s2, s1, 1
	s_cmp_ge_u32 s3, s22
	s_cselect_b32 s4, s2, s1
.LBB38_11:
	s_cmp_lg_u32 s6, s4
	s_cbranch_scc0 .LBB38_15
; %bb.12:
	s_add_i32 s1, s24, s22
	s_lshl_b32 s1, s1, 2
	s_add_i32 s2, s1, s15
	s_mov_b32 s3, s0
	s_lshl_b64 s[2:3], s[2:3], 3
	s_add_u32 s8, s18, s2
	s_mul_hi_u32 s1, s4, s12
	s_addc_u32 s9, s19, s3
	s_add_i32 s1, s1, s4
	s_lshr_b32 s1, s1, s13
	s_mul_i32 s2, s1, s14
	s_cmp_eq_u32 s2, s4
	s_cselect_b64 s[2:3], -1, 0
	s_cmp_lt_u32 s1, s7
	s_cselect_b64 s[26:27], -1, 0
	s_or_b64 s[26:27], s[26:27], s[2:3]
	s_mov_b64 s[2:3], -1
	s_and_b64 vcc, exec, s[26:27]
	s_mov_b32 s1, s24
	s_mov_b32 s25, s6
	s_cbranch_vccnz .LBB38_14
; %bb.13:
	s_add_i32 s1, s24, -1
	s_mov_b64 s[2:3], 0
	s_mov_b32 s25, s4
.LBB38_14:
	v_lshl_add_u32 v4, s24, 10, v6
	v_ashrrev_i32_e32 v5, 31, v4
	v_lshl_add_u64 v[4:5], v[4:5], 2, s[16:17]
	global_load_dword v5, v[4:5], off
	s_load_dwordx2 s[4:5], s[8:9], 0x0
	v_max_f32_e32 v4, v9, v9
	s_waitcnt lgkmcnt(0)
	v_max_f32_e64 v10, s4, s4
	v_max_f32_e32 v10, v4, v10
	v_sub_f32_e32 v11, v9, v10
	v_sub_f32_e32 v13, s4, v10
	v_mul_f32_e32 v4, 0x3fb8aa3b, v11
	v_mul_f32_e32 v12, 0x3fb8aa3b, v13
	v_fma_f32 v14, v11, s10, -v4
	v_rndne_f32_e32 v15, v4
	v_fma_f32 v16, v13, s10, -v12
	v_rndne_f32_e32 v17, v12
	v_fmac_f32_e32 v14, 0x32a5705f, v11
	v_sub_f32_e32 v4, v4, v15
	v_fmac_f32_e32 v16, 0x32a5705f, v13
	v_sub_f32_e32 v12, v12, v17
	v_add_f32_e32 v4, v4, v14
	v_cvt_i32_f32_e32 v15, v15
	v_add_f32_e32 v12, v12, v16
	v_exp_f32_e32 v14, v4
	v_cvt_i32_f32_e32 v17, v17
	v_exp_f32_e32 v12, v12
	v_cmp_ngt_f32_e32 vcc, s20, v11
	v_ldexp_f32 v14, v14, v15
	v_mov_b32_e32 v4, s5
	v_ldexp_f32 v12, v12, v17
	v_cndmask_b32_e32 v14, 0, v14, vcc
	v_cmp_ngt_f32_e32 vcc, s20, v13
	s_nop 1
	v_cndmask_b32_e32 v12, 0, v12, vcc
	v_cmp_nlt_f32_e32 vcc, s21, v11
	s_nop 1
	v_cndmask_b32_e32 v14, v8, v14, vcc
	v_cmp_nlt_f32_e32 vcc, s21, v13
	s_nop 1
	v_cndmask_b32_e32 v15, v8, v12, vcc
	v_cmp_le_f32_e32 vcc, s23, v11
	s_nop 1
	v_cndmask_b32_e32 v12, 0, v14, vcc
	v_cmp_le_f32_e32 vcc, s23, v13
	s_nop 1
	v_cndmask_b32_e32 v14, 0, v15, vcc
	s_waitcnt vmcnt(0)
	v_pk_mul_f32 v[4:5], v[4:5], v[14:15] op_sel_hi:[1,0]
	s_nop 0
	v_pk_fma_f32 v[4:5], v[0:1], v[12:13], v[4:5] op_sel_hi:[1,0,1]
	s_cbranch_execz .LBB38_16
	s_branch .LBB38_17
.LBB38_15:
                                        ; implicit-def: $vgpr4_vgpr5
                                        ; implicit-def: $sgpr2_sgpr3
                                        ; implicit-def: $vgpr10
                                        ; implicit-def: $sgpr1
                                        ; implicit-def: $sgpr25
.LBB38_16:
	s_add_i32 s1, s24, -1
	s_mov_b64 s[2:3], 0
	s_mov_b32 s25, s6
	v_mov_b32_e32 v10, v9
	s_waitcnt vmcnt(0)
	v_mov_b64_e32 v[4:5], v[0:1]
.LBB38_17:
	s_andn2_b64 vcc, exec, s[2:3]
	s_cbranch_vccz .LBB38_22
; %bb.18:
	s_mov_b32 s6, s25
	s_mov_b32 s24, s1
	v_mov_b32_e32 v9, v10
	s_waitcnt vmcnt(0)
	v_mov_b64_e32 v[0:1], v[4:5]
	s_mul_hi_i32 s1, s24, s11
	s_cmp_lg_u64 s[0:1], 0
	s_mul_i32 s8, s24, s11
	s_cbranch_scc1 .LBB38_9
.LBB38_19:
                                        ; implicit-def: $sgpr4_sgpr5
	s_branch .LBB38_10
.LBB38_20:
                                        ; implicit-def: $sgpr6_sgpr7
	s_load_dwordx4 s[12:15], s[0:1], 0x44
	s_branch .LBB38_2
.LBB38_21:
                                        ; implicit-def: $sgpr18_sgpr19
	s_branch .LBB38_5
.LBB38_22:
	v_div_scale_f32 v0, s[0:1], v4, v4, v5
	s_waitcnt vmcnt(0)
	v_rcp_f32_e32 v1, v0
	v_div_scale_f32 v6, vcc, v5, v4, v5
	v_fma_f32 v7, -v0, v1, 1.0
	v_fmac_f32_e32 v1, v7, v1
	v_mul_f32_e32 v7, v6, v1
	v_fma_f32 v8, -v0, v7, v6
	v_fmac_f32_e32 v7, v8, v1
	v_fma_f32 v0, -v0, v7, v6
	v_div_fmas_f32 v0, v0, v1, v7
	v_div_fixup_f32 v0, v0, v4, v5
	global_store_dword v[2:3], v0, off
.LBB38_23:
	s_endpgm
	.section	.rodata,"a",@progbits
	.p2align	6, 0x0
	.amdhsa_kernel _ZL33flash_attn_stream_k_fixup_generalILi256ELi2ELi2EEvPfPK15HIP_vector_typeIfLj2EEiiiiS1_IjLj3EES5_S5_S5_
		.amdhsa_group_segment_fixed_size 0
		.amdhsa_private_segment_fixed_size 0
		.amdhsa_kernarg_size 336
		.amdhsa_user_sgpr_count 2
		.amdhsa_user_sgpr_dispatch_ptr 0
		.amdhsa_user_sgpr_queue_ptr 0
		.amdhsa_user_sgpr_kernarg_segment_ptr 1
		.amdhsa_user_sgpr_dispatch_id 0
		.amdhsa_user_sgpr_kernarg_preload_length 0
		.amdhsa_user_sgpr_kernarg_preload_offset 0
		.amdhsa_user_sgpr_private_segment_size 0
		.amdhsa_uses_dynamic_stack 0
		.amdhsa_enable_private_segment 0
		.amdhsa_system_sgpr_workgroup_id_x 1
		.amdhsa_system_sgpr_workgroup_id_y 1
		.amdhsa_system_sgpr_workgroup_id_z 1
		.amdhsa_system_sgpr_workgroup_info 0
		.amdhsa_system_vgpr_workitem_id 0
		.amdhsa_next_free_vgpr 18
		.amdhsa_next_free_sgpr 36
		.amdhsa_accum_offset 20
		.amdhsa_reserve_vcc 1
		.amdhsa_float_round_mode_32 0
		.amdhsa_float_round_mode_16_64 0
		.amdhsa_float_denorm_mode_32 3
		.amdhsa_float_denorm_mode_16_64 3
		.amdhsa_dx10_clamp 1
		.amdhsa_ieee_mode 1
		.amdhsa_fp16_overflow 0
		.amdhsa_tg_split 0
		.amdhsa_exception_fp_ieee_invalid_op 0
		.amdhsa_exception_fp_denorm_src 0
		.amdhsa_exception_fp_ieee_div_zero 0
		.amdhsa_exception_fp_ieee_overflow 0
		.amdhsa_exception_fp_ieee_underflow 0
		.amdhsa_exception_fp_ieee_inexact 0
		.amdhsa_exception_int_div_zero 0
	.end_amdhsa_kernel
	.section	.text._ZL33flash_attn_stream_k_fixup_generalILi256ELi2ELi2EEvPfPK15HIP_vector_typeIfLj2EEiiiiS1_IjLj3EES5_S5_S5_,"axG",@progbits,_ZL33flash_attn_stream_k_fixup_generalILi256ELi2ELi2EEvPfPK15HIP_vector_typeIfLj2EEiiiiS1_IjLj3EES5_S5_S5_,comdat
.Lfunc_end38:
	.size	_ZL33flash_attn_stream_k_fixup_generalILi256ELi2ELi2EEvPfPK15HIP_vector_typeIfLj2EEiiiiS1_IjLj3EES5_S5_S5_, .Lfunc_end38-_ZL33flash_attn_stream_k_fixup_generalILi256ELi2ELi2EEvPfPK15HIP_vector_typeIfLj2EEiiiiS1_IjLj3EES5_S5_S5_
                                        ; -- End function
	.set _ZL33flash_attn_stream_k_fixup_generalILi256ELi2ELi2EEvPfPK15HIP_vector_typeIfLj2EEiiiiS1_IjLj3EES5_S5_S5_.num_vgpr, 18
	.set _ZL33flash_attn_stream_k_fixup_generalILi256ELi2ELi2EEvPfPK15HIP_vector_typeIfLj2EEiiiiS1_IjLj3EES5_S5_S5_.num_agpr, 0
	.set _ZL33flash_attn_stream_k_fixup_generalILi256ELi2ELi2EEvPfPK15HIP_vector_typeIfLj2EEiiiiS1_IjLj3EES5_S5_S5_.numbered_sgpr, 36
	.set _ZL33flash_attn_stream_k_fixup_generalILi256ELi2ELi2EEvPfPK15HIP_vector_typeIfLj2EEiiiiS1_IjLj3EES5_S5_S5_.num_named_barrier, 0
	.set _ZL33flash_attn_stream_k_fixup_generalILi256ELi2ELi2EEvPfPK15HIP_vector_typeIfLj2EEiiiiS1_IjLj3EES5_S5_S5_.private_seg_size, 0
	.set _ZL33flash_attn_stream_k_fixup_generalILi256ELi2ELi2EEvPfPK15HIP_vector_typeIfLj2EEiiiiS1_IjLj3EES5_S5_S5_.uses_vcc, 1
	.set _ZL33flash_attn_stream_k_fixup_generalILi256ELi2ELi2EEvPfPK15HIP_vector_typeIfLj2EEiiiiS1_IjLj3EES5_S5_S5_.uses_flat_scratch, 0
	.set _ZL33flash_attn_stream_k_fixup_generalILi256ELi2ELi2EEvPfPK15HIP_vector_typeIfLj2EEiiiiS1_IjLj3EES5_S5_S5_.has_dyn_sized_stack, 0
	.set _ZL33flash_attn_stream_k_fixup_generalILi256ELi2ELi2EEvPfPK15HIP_vector_typeIfLj2EEiiiiS1_IjLj3EES5_S5_S5_.has_recursion, 0
	.set _ZL33flash_attn_stream_k_fixup_generalILi256ELi2ELi2EEvPfPK15HIP_vector_typeIfLj2EEiiiiS1_IjLj3EES5_S5_S5_.has_indirect_call, 0
	.section	.AMDGPU.csdata,"",@progbits
; Kernel info:
; codeLenInByte = 2940
; TotalNumSgprs: 42
; NumVgprs: 18
; NumAgprs: 0
; TotalNumVgprs: 18
; ScratchSize: 0
; MemoryBound: 0
; FloatMode: 240
; IeeeMode: 1
; LDSByteSize: 0 bytes/workgroup (compile time only)
; SGPRBlocks: 5
; VGPRBlocks: 2
; NumSGPRsForWavesPerEU: 42
; NumVGPRsForWavesPerEU: 18
; AccumOffset: 20
; Occupancy: 8
; WaveLimiterHint : 0
; COMPUTE_PGM_RSRC2:SCRATCH_EN: 0
; COMPUTE_PGM_RSRC2:USER_SGPR: 2
; COMPUTE_PGM_RSRC2:TRAP_HANDLER: 0
; COMPUTE_PGM_RSRC2:TGID_X_EN: 1
; COMPUTE_PGM_RSRC2:TGID_Y_EN: 1
; COMPUTE_PGM_RSRC2:TGID_Z_EN: 1
; COMPUTE_PGM_RSRC2:TIDIG_COMP_CNT: 0
; COMPUTE_PGM_RSRC3_GFX90A:ACCUM_OFFSET: 4
; COMPUTE_PGM_RSRC3_GFX90A:TG_SPLIT: 0
	.section	.text._ZL15flash_attn_tileILi256ELi256ELi1ELi2ELb0EEvPKcS1_S1_S1_S1_PKiPfP15HIP_vector_typeIfLj2EEffffjfiS5_IjLj3EEiiiiiiiiiiiliiliiiiil,"axG",@progbits,_ZL15flash_attn_tileILi256ELi256ELi1ELi2ELb0EEvPKcS1_S1_S1_S1_PKiPfP15HIP_vector_typeIfLj2EEffffjfiS5_IjLj3EEiiiiiiiiiiiliiliiiiil,comdat
	.globl	_ZL15flash_attn_tileILi256ELi256ELi1ELi2ELb0EEvPKcS1_S1_S1_S1_PKiPfP15HIP_vector_typeIfLj2EEffffjfiS5_IjLj3EEiiiiiiiiiiiliiliiiiil ; -- Begin function _ZL15flash_attn_tileILi256ELi256ELi1ELi2ELb0EEvPKcS1_S1_S1_S1_PKiPfP15HIP_vector_typeIfLj2EEffffjfiS5_IjLj3EEiiiiiiiiiiiliiliiiiil
	.p2align	8
	.type	_ZL15flash_attn_tileILi256ELi256ELi1ELi2ELb0EEvPKcS1_S1_S1_S1_PKiPfP15HIP_vector_typeIfLj2EEffffjfiS5_IjLj3EEiiiiiiiiiiiliiliiiiil,@function
_ZL15flash_attn_tileILi256ELi256ELi1ELi2ELb0EEvPKcS1_S1_S1_S1_PKiPfP15HIP_vector_typeIfLj2EEffffjfiS5_IjLj3EEiiiiiiiiiiiliiliiiiil: ; @_ZL15flash_attn_tileILi256ELi256ELi1ELi2ELb0EEvPKcS1_S1_S1_S1_PKiPfP15HIP_vector_typeIfLj2EEffffjfiS5_IjLj3EEiiiiiiiiiiiliiliiiiil
; %bb.0:
	s_load_dwordx4 s[20:23], s[0:1], 0x5c
	s_load_dwordx2 s[24:25], s[0:1], 0x80
	s_load_dwordx2 s[28:29], s[0:1], 0xb8
	s_mov_b64 s[26:27], 0
	s_waitcnt lgkmcnt(0)
	s_lshr_b32 s5, s23, 31
	s_add_i32 s5, s23, s5
	s_ashr_i32 s5, s5, 1
	v_cvt_f32_u32_e32 v1, s5
	s_sub_i32 s6, 0, s5
	v_rcp_iflag_f32_e32 v1, v1
	s_nop 0
	v_mul_f32_e32 v1, 0x4f7ffffe, v1
	v_cvt_u32_f32_e32 v1, v1
	s_nop 0
	v_readfirstlane_b32 s7, v1
	s_mul_i32 s6, s6, s7
	s_mul_hi_u32 s6, s7, s6
	s_add_i32 s7, s7, s6
	s_mul_hi_u32 s6, s4, s7
	s_mul_i32 s7, s6, s5
	s_sub_i32 s7, s4, s7
	s_add_i32 s8, s6, 1
	s_sub_i32 s9, s7, s5
	s_cmp_ge_u32 s7, s5
	s_cselect_b32 s6, s8, s6
	s_cselect_b32 s7, s9, s7
	s_add_i32 s8, s6, 1
	s_cmp_ge_u32 s7, s5
	s_cselect_b32 s30, s8, s6
	s_abs_i32 s5, s25
	v_cvt_f32_u32_e32 v1, s5
	s_sub_i32 s7, 0, s5
	s_abs_i32 s6, s23
	s_lshl_b32 s35, s4, 1
	v_rcp_iflag_f32_e32 v1, v1
	s_xor_b32 s4, s23, s25
	s_ashr_i32 s4, s4, 31
	s_mul_i32 s25, s30, s23
	v_mul_f32_e32 v1, 0x4f7ffffe, v1
	v_cvt_u32_f32_e32 v1, v1
	s_nop 0
	v_readfirstlane_b32 s8, v1
	s_mul_i32 s7, s7, s8
	s_mul_hi_u32 s7, s8, s7
	s_add_i32 s8, s8, s7
	s_mul_hi_u32 s7, s6, s8
	s_mul_i32 s8, s7, s5
	s_sub_i32 s6, s6, s8
	s_add_i32 s9, s7, 1
	s_sub_i32 s8, s6, s5
	s_cmp_ge_u32 s6, s5
	s_cselect_b32 s7, s9, s7
	s_cselect_b32 s6, s8, s6
	s_add_i32 s8, s7, 1
	s_cmp_ge_u32 s6, s5
	s_cselect_b32 s5, s8, s7
	s_xor_b32 s5, s5, s4
	s_sub_i32 s31, s5, s4
	s_abs_i32 s33, s31
	v_cvt_f32_u32_e32 v1, s33
	s_load_dwordx16 s[4:19], s[0:1], 0x0
	v_rcp_iflag_f32_e32 v1, v1
	s_waitcnt lgkmcnt(0)
	s_cmp_eq_u64 s[10:11], 0
	v_mul_f32_e32 v1, 0x4f7ffffe, v1
	v_cvt_u32_f32_e32 v1, v1
	s_nop 0
	v_readfirstlane_b32 s34, v1
	s_cbranch_scc1 .LBB39_2
; %bb.1:
	s_abs_i32 s28, s28
	v_cvt_f32_u32_e32 v1, s28
	s_sub_i32 s38, 0, s28
	s_abs_i32 s37, s30
	s_ashr_i32 s36, s30, 31
	v_rcp_iflag_f32_e32 v1, v1
	s_load_dwordx2 s[26:27], s[0:1], 0xc8
	v_mul_f32_e32 v1, 0x4f7ffffe, v1
	v_cvt_u32_f32_e32 v1, v1
	s_nop 0
	v_readfirstlane_b32 s39, v1
	s_mul_i32 s38, s38, s39
	s_mul_hi_u32 s38, s39, s38
	s_add_i32 s39, s39, s38
	s_mul_hi_u32 s38, s37, s39
	s_mul_i32 s38, s38, s28
	s_sub_i32 s37, s37, s38
	s_sub_i32 s38, s37, s28
	s_cmp_ge_u32 s37, s28
	s_cselect_b32 s37, s38, s37
	s_sub_i32 s38, s37, s28
	s_cmp_ge_u32 s37, s28
	s_cselect_b32 s28, s38, s37
	s_xor_b32 s28, s28, s36
	s_sub_i32 s28, s28, s36
	s_ashr_i32 s36, s28, 31
	s_waitcnt lgkmcnt(0)
	s_mul_hi_u32 s37, s26, s28
	s_mul_i32 s36, s26, s36
	s_mul_i32 s27, s27, s28
	s_add_i32 s36, s37, s36
	s_add_i32 s36, s36, s27
	s_mul_i32 s26, s26, s28
	s_add_u32 s26, s10, s26
	s_addc_u32 s27, s11, s36
.LBB39_2:
	v_bfe_u32 v52, v0, 10, 10
	v_lshlrev_b32_e32 v1, 7, v52
	v_and_b32_e32 v25, 0x3ff, v0
	v_and_b32_e32 v1, 0x180, v1
	v_lshlrev_b32_e32 v24, 2, v25
	v_add_u32_e32 v0, v1, v24
	s_movk_i32 s10, 0x100
	s_sub_i32 s25, s35, s25
	v_cmp_gt_u32_e32 vcc, s10, v0
	v_lshlrev_b32_e32 v2, 3, v25
	v_bfe_u32 v51, v52, 2, 1
	v_lshrrev_b32_e32 v50, 3, v52
	v_lshlrev_b32_e32 v0, 2, v24
	s_and_saveexec_b64 s[10:11], vcc
	s_cbranch_execz .LBB39_4
; %bb.3:
	s_load_dwordx4 s[36:39], s[0:1], 0x70
	v_add_u32_e32 v3, s2, v50
	v_mul_hi_u32 v6, s20, v3
	v_add_u32_e32 v6, v3, v6
	v_lshrrev_b32_e32 v6, s21, v6
	s_waitcnt lgkmcnt(0)
	s_mul_i32 s28, s30, s38
	s_ashr_i32 s39, s28, 31
	s_mul_i32 s35, s25, s37
	s_add_u32 s4, s4, s28
	s_addc_u32 s5, s5, s39
	s_ashr_i32 s28, s35, 31
	s_add_u32 s4, s4, s35
	s_mov_b32 s38, s37
	s_addc_u32 s5, s5, s28
	s_ashr_i32 s39, s37, 31
	s_lshr_b64 s[40:41], s[38:39], 2
	s_lshr_b32 s28, s39, 2
	v_mul_lo_u32 v5, s28, v51
	v_mul_lo_u32 v4, s40, v51
	s_ashr_i32 s37, s36, 31
	v_mul_lo_u32 v6, v6, s22
	v_lshl_add_u64 v[4:5], v[4:5], 2, s[4:5]
	s_lshr_b64 s[4:5], s[36:37], 2
	v_sub_u32_e32 v3, v3, v6
	v_mad_u64_u32 v[6:7], s[4:5], s4, v3, 0
	v_mov_b32_e32 v8, v7
	s_lshr_b32 s4, s37, 2
	v_mad_u64_u32 v[8:9], s[4:5], s4, v3, v[8:9]
	v_mov_b32_e32 v7, v8
	v_lshl_add_u64 v[4:5], v[6:7], 2, v[4:5]
	v_lshlrev_b32_e32 v6, 2, v1
	v_mov_b32_e32 v7, 0
	v_lshl_add_u64 v[4:5], v[4:5], 0, v[6:7]
	v_mov_b32_e32 v1, v7
	v_lshl_add_u64 v[4:5], v[4:5], 0, v[0:1]
	global_load_dwordx4 v[4:7], v[4:5], off
	s_load_dword s4, s[0:1], 0x40
	v_lshrrev_b32_e32 v1, 2, v52
	v_lshlrev_b32_e32 v3, 8, v52
	v_lshlrev_b32_e32 v1, 9, v1
	v_and_b32_e32 v3, 0x300, v3
	v_add3_u32 v1, v1, v3, v2
	s_waitcnt vmcnt(0) lgkmcnt(0)
	v_fma_mixlo_f16 v3, s4, v4, 0
	v_mov_b32_e32 v4, v7
	v_pk_mul_f32 v[4:5], s[4:5], v[4:5] op_sel_hi:[0,1]
	v_cvt_pk_f16_f32 v4, v4, v5
	v_fma_mixlo_f16 v6, s4, v6, 0
	v_and_b32_e32 v3, 0xffff, v3
	v_lshlrev_b32_e32 v5, 16, v4
	v_and_b32_e32 v4, 0xffff0000, v4
	v_and_b32_e32 v6, 0xffff, v6
	v_or_b32_e32 v3, v4, v3
	v_or3_b32 v5, v5, v6, 0
	v_or3_b32 v4, 0, 0, v3
	ds_write_b64 v1, v[4:5] offset:18432
.LBB39_4:
	s_or_b64 exec, exec, s[10:11]
	s_cmp_eq_u64 s[14:15], 0
	s_waitcnt lgkmcnt(0)
	s_barrier
	s_cbranch_scc1 .LBB39_6
; %bb.5:
	s_load_dword s4, s[0:1], 0xd0
	s_mov_b32 s5, 0
	s_waitcnt lgkmcnt(0)
	s_mul_i32 s4, s4, s30
	s_add_i32 s4, s4, s2
	s_lshl_b64 s[4:5], s[4:5], 2
	s_add_u32 s4, s14, s4
	s_addc_u32 s5, s15, s5
	s_load_dword s24, s[4:5], 0x0
.LBB39_6:
	s_lshl_b32 s28, s3, 7
	s_waitcnt lgkmcnt(0)
	s_cmp_lt_i32 s28, s24
	v_mbcnt_lo_u32_b32 v1, -1, 0
	v_and_b32_e32 v49, 3, v52
	s_cbranch_scc1 .LBB39_9
; %bb.7:
	v_mbcnt_hi_u32_b32 v37, -1, v1
	v_and_b32_e32 v3, 0x60, v37
	v_add_u32_e32 v54, 32, v3
	v_xor_b32_e32 v59, 16, v37
	v_xor_b32_e32 v58, 8, v37
	v_xor_b32_e32 v57, 4, v37
	v_xor_b32_e32 v56, 2, v37
	v_xor_b32_e32 v55, 1, v37
	v_and_b32_e32 v4, 3, v52
	v_lshlrev_b32_e32 v53, 2, v52
	v_cmp_eq_u32_e64 s[4:5], 0, v25
	s_cbranch_execz .LBB39_10
; %bb.8:
	v_mov_b32_e32 v3, 0
	v_mov_b32_e32 v66, 0
	;; [unrolled: 1-line block ×6, first 2 shown]
	s_branch .LBB39_16
.LBB39_9:
                                        ; implicit-def: $vgpr37
                                        ; implicit-def: $vgpr54
                                        ; implicit-def: $vgpr59
                                        ; implicit-def: $vgpr58
                                        ; implicit-def: $vgpr57
                                        ; implicit-def: $vgpr56
                                        ; implicit-def: $vgpr55
                                        ; implicit-def: $vgpr4
	v_lshlrev_b32_e32 v53, 2, v52
	v_cmp_eq_u32_e64 s[4:5], 0, v25
.LBB39_10:
	s_sub_i32 s10, 0, s33
	s_mul_i32 s10, s10, s34
	s_mul_hi_u32 s10, s34, s10
	s_add_i32 s34, s34, s10
	s_load_dwordx2 s[10:11], s[0:1], 0x8c
	s_load_dwordx4 s[36:39], s[0:1], 0x98
	s_ashr_i32 s41, s31, 31
	s_abs_i32 s35, s25
	s_mul_hi_u32 s34, s35, s34
	s_ashr_i32 s40, s25, 31
	s_waitcnt lgkmcnt(0)
	s_ashr_i32 s31, s38, 2
	s_ashr_i32 s38, s29, 1
	;; [unrolled: 1-line block ×4, first 2 shown]
	s_mul_hi_u32 s42, s36, s30
	s_mul_i32 s43, s36, s10
	s_add_i32 s42, s42, s43
	s_mul_i32 s37, s37, s30
	s_add_i32 s42, s42, s37
	s_mul_i32 s36, s36, s30
	s_add_u32 s6, s6, s36
	s_mul_i32 s37, s34, s33
	s_addc_u32 s7, s7, s42
	s_sub_i32 s35, s35, s37
	s_xor_b32 s36, s40, s41
	s_add_i32 s37, s34, 1
	s_sub_i32 s40, s35, s33
	s_cmp_ge_u32 s35, s33
	s_cselect_b32 s34, s37, s34
	s_cselect_b32 s35, s40, s35
	s_add_i32 s37, s34, 1
	s_cmp_ge_u32 s35, s33
	s_cselect_b32 s33, s37, s34
	s_load_dwordx2 s[14:15], s[0:1], 0xa8
	s_xor_b32 s33, s33, s36
	s_sub_i32 s35, s33, s36
	s_mul_i32 s11, s35, s11
	s_ashr_i32 s34, s11, 31
	s_add_u32 s33, s6, s11
	s_addc_u32 s34, s7, s34
	s_waitcnt lgkmcnt(0)
	s_mul_hi_u32 s6, s14, s30
	s_mul_i32 s7, s14, s10
	s_add_i32 s6, s6, s7
	s_mul_i32 s7, s15, s30
	s_add_i32 s6, s6, s7
	s_mul_i32 s7, s14, s30
	s_add_u32 s7, s8, s7
	s_mul_i32 s35, s35, s39
	s_addc_u32 s6, s9, s6
	s_ashr_i32 s8, s35, 31
	s_add_u32 s35, s7, s35
	v_lshrrev_b32_e32 v3, 3, v25
	v_and_b32_e32 v4, 28, v24
	s_addc_u32 s36, s6, s8
	v_add_u32_e32 v3, v3, v53
	v_lshlrev_b32_e32 v5, 2, v4
	s_movk_i32 s6, 0x90
	v_mad_u32_u24 v60, v3, s6, v5
	v_mul_lo_u32 v28, s29, v3
	v_lshlrev_b32_e32 v3, 5, v52
	v_and_b32_e32 v5, 0x60, v3
	v_and_b32_e32 v3, 0x7f80, v3
	v_mov_b32_e32 v7, 0x4800
	v_lshl_add_u32 v65, v3, 2, v7
	v_add_u32_e32 v7, s2, v50
	v_mul_hi_u32 v8, s20, v7
	v_add_u32_e32 v8, v7, v8
	s_lshl_b32 s6, s29, 5
	v_lshrrev_b32_e32 v8, s21, v8
	v_add_u32_e32 v30, s6, v28
	v_mul_lo_u32 v8, v8, s22
	v_add_u32_e32 v32, s6, v30
	v_add_u32_e32 v6, v5, v25
	v_sub_u32_e32 v7, v7, v8
	v_add_u32_e32 v34, s6, v32
	v_mad_u64_u32 v[36:37], s[6:7], v7, s38, v[6:7]
	v_mul_u32_u24_e32 v64, 0x90, v6
	v_and_b32_e32 v6, 3, v25
	s_movk_i32 s6, 0x3fc
	v_and_or_b32 v6, v52, s6, v6
	v_mov_b32_e32 v7, 0x4e00
	v_lshl_add_u32 v68, v6, 2, v7
	v_mov_b32_e32 v6, 0x4c00
	v_lshl_add_u32 v3, v3, 1, v6
	v_mul_lo_u32 v6, s31, v52
	s_lshl_b32 s6, s31, 3
	v_add_u32_e32 v8, s6, v6
	v_add_u32_e32 v10, s6, v8
	;; [unrolled: 1-line block ×3, first 2 shown]
	v_mbcnt_hi_u32_b32 v37, -1, v1
	v_mov_b32_e32 v27, 0
	v_lshl_or_b32 v5, v5, 1, v3
	v_lshl_add_u32 v70, v52, 9, v0
	v_ashrrev_i32_e32 v7, 31, v6
	v_ashrrev_i32_e32 v9, 31, v8
	;; [unrolled: 1-line block ×4, first 2 shown]
	s_add_u32 s14, s0, 0xd0
	v_and_b32_e32 v0, 0x60, v37
	v_ashrrev_i32_e32 v29, 31, v28
	v_add_u32_e32 v61, 0x1200, v60
	v_ashrrev_i32_e32 v31, 31, v30
	v_add_u32_e32 v62, 0x2400, v60
	;; [unrolled: 2-line block ×4, first 2 shown]
	v_lshl_add_u32 v69, v25, 1, v5
	v_add_u32_e32 v71, 0x1000, v70
	v_add_u32_e32 v72, 0x2000, v70
	;; [unrolled: 1-line block ×3, first 2 shown]
	v_lshl_or_b32 v74, v49, 1, v3
	v_lshl_add_u32 v75, v49, 9, v2
	s_addc_u32 s15, s1, 0
	v_mov_b32_e32 v12, 0xfeffffff
	v_lshlrev_b32_e32 v38, 2, v4
	v_mov_b32_e32 v39, v27
	v_add_u32_e32 v54, 32, v0
	v_xor_b32_e32 v59, 16, v37
	v_xor_b32_e32 v58, 8, v37
	;; [unrolled: 1-line block ×5, first 2 shown]
	s_mov_b32 s20, 0x3fb8aa3b
	s_mov_b32 s21, 0xc2ce8ed0
	;; [unrolled: 1-line block ×3, first 2 shown]
	v_lshlrev_b64 v[40:41], 2, v[6:7]
	v_lshlrev_b32_e32 v26, 2, v24
	v_lshlrev_b64 v[42:43], 2, v[8:9]
	v_lshlrev_b64 v[44:45], 2, v[10:11]
	v_lshlrev_b64 v[46:47], 2, v[14:15]
	v_mov_b32_e32 v76, 0x7f800000
	v_mov_b32_e32 v1, v27
	;; [unrolled: 1-line block ×6, first 2 shown]
.LBB39_11:                              ; =>This Inner Loop Header: Depth=1
	s_mul_hi_i32 s7, s28, s29
	s_mul_i32 s6, s28, s29
	s_lshl_b64 s[6:7], s[6:7], 2
	s_add_u32 s6, s33, s6
	s_addc_u32 s7, s34, s7
	v_lshl_add_u64 v[4:5], v[28:29], 2, s[6:7]
	v_lshl_add_u64 v[8:9], v[32:33], 2, s[6:7]
	;; [unrolled: 1-line block ×7, first 2 shown]
	global_load_dwordx4 v[14:17], v[4:5], off
	global_load_dwordx4 v[18:21], v[6:7], off
	v_lshl_add_u64 v[10:11], v[10:11], 0, v[38:39]
	global_load_dwordx4 v[78:81], v[8:9], off
	global_load_dwordx4 v[82:85], v[10:11], off
	v_mov_b32_e32 v13, 0
	v_cmp_lt_i32_e32 vcc, v59, v54
	s_waitcnt vmcnt(3)
	ds_write_b128 v60, v[14:17]
	s_waitcnt vmcnt(2)
	ds_write_b128 v61, v[18:21]
	;; [unrolled: 2-line block ×4, first 2 shown]
	s_waitcnt lgkmcnt(0)
	s_barrier
	ds_read_b128 v[14:17], v64
	ds_read_b128 v[18:21], v65
	s_waitcnt lgkmcnt(0)
	;;#ASMSTART
	v_dot2_f32_f16 v13, v14, v18, v13
	;;#ASMEND
	s_nop 0
	;;#ASMSTART
	v_dot2_f32_f16 v13, v15, v19, v13
	;;#ASMEND
	s_nop 0
	;;#ASMSTART
	v_dot2_f32_f16 v13, v16, v20, v13
	;;#ASMEND
	s_nop 0
	;;#ASMSTART
	v_dot2_f32_f16 v13, v17, v21, v13
	;;#ASMEND
	ds_read_b128 v[14:17], v64 offset:16
	ds_read_b128 v[18:21], v65 offset:16
	s_waitcnt lgkmcnt(0)
	;;#ASMSTART
	v_dot2_f32_f16 v13, v14, v18, v13
	;;#ASMEND
	s_nop 0
	;;#ASMSTART
	v_dot2_f32_f16 v13, v15, v19, v13
	;;#ASMEND
	s_nop 0
	;;#ASMSTART
	v_dot2_f32_f16 v13, v16, v20, v13
	;;#ASMEND
	s_nop 0
	;;#ASMSTART
	v_dot2_f32_f16 v13, v17, v21, v13
	;;#ASMEND
	ds_read_b128 v[14:17], v64 offset:32
	ds_read_b128 v[18:21], v65 offset:32
	;; [unrolled: 18-line block ×7, first 2 shown]
	s_waitcnt lgkmcnt(0)
	;;#ASMSTART
	v_dot2_f32_f16 v13, v14, v18, v13
	;;#ASMEND
	s_nop 0
	;;#ASMSTART
	v_dot2_f32_f16 v13, v15, v19, v13
	;;#ASMEND
	s_nop 0
	;; [unrolled: 4-line block ×3, first 2 shown]
	;;#ASMSTART
	v_dot2_f32_f16 v13, v17, v21, v13
	;;#ASMEND
	s_barrier
	global_load_dwordx4 v[14:17], v[4:5], off offset:128
	global_load_dwordx4 v[18:21], v[6:7], off offset:128
	;; [unrolled: 1-line block ×4, first 2 shown]
	s_waitcnt vmcnt(3)
	ds_write_b128 v60, v[14:17]
	s_waitcnt vmcnt(2)
	ds_write_b128 v61, v[18:21]
	;; [unrolled: 2-line block ×4, first 2 shown]
	s_waitcnt lgkmcnt(0)
	s_barrier
	ds_read_b128 v[14:17], v64
	ds_read_b128 v[18:21], v65 offset:128
	s_waitcnt lgkmcnt(0)
	;;#ASMSTART
	v_dot2_f32_f16 v13, v14, v18, v13
	;;#ASMEND
	s_nop 0
	;;#ASMSTART
	v_dot2_f32_f16 v13, v15, v19, v13
	;;#ASMEND
	s_nop 0
	;;#ASMSTART
	v_dot2_f32_f16 v13, v16, v20, v13
	;;#ASMEND
	s_nop 0
	;;#ASMSTART
	v_dot2_f32_f16 v13, v17, v21, v13
	;;#ASMEND
	ds_read_b128 v[14:17], v64 offset:16
	ds_read_b128 v[18:21], v65 offset:144
	s_waitcnt lgkmcnt(0)
	;;#ASMSTART
	v_dot2_f32_f16 v13, v14, v18, v13
	;;#ASMEND
	s_nop 0
	;;#ASMSTART
	v_dot2_f32_f16 v13, v15, v19, v13
	;;#ASMEND
	s_nop 0
	;;#ASMSTART
	v_dot2_f32_f16 v13, v16, v20, v13
	;;#ASMEND
	s_nop 0
	;;#ASMSTART
	v_dot2_f32_f16 v13, v17, v21, v13
	;;#ASMEND
	ds_read_b128 v[14:17], v64 offset:32
	;; [unrolled: 18-line block ×7, first 2 shown]
	ds_read_b128 v[18:21], v65 offset:240
	s_waitcnt lgkmcnt(0)
	;;#ASMSTART
	v_dot2_f32_f16 v13, v14, v18, v13
	;;#ASMEND
	s_nop 0
	;;#ASMSTART
	v_dot2_f32_f16 v13, v15, v19, v13
	;;#ASMEND
	s_nop 0
	;;#ASMSTART
	v_dot2_f32_f16 v13, v16, v20, v13
	;;#ASMEND
	s_nop 0
	;;#ASMSTART
	v_dot2_f32_f16 v13, v17, v21, v13
	;;#ASMEND
	s_barrier
	global_load_dwordx4 v[14:17], v[4:5], off offset:256
	global_load_dwordx4 v[18:21], v[6:7], off offset:256
	;; [unrolled: 1-line block ×4, first 2 shown]
	s_waitcnt vmcnt(3)
	ds_write_b128 v60, v[14:17]
	s_waitcnt vmcnt(2)
	ds_write_b128 v61, v[18:21]
	;; [unrolled: 2-line block ×4, first 2 shown]
	s_waitcnt lgkmcnt(0)
	s_barrier
	ds_read_b128 v[14:17], v64
	ds_read_b128 v[18:21], v65 offset:256
	s_waitcnt lgkmcnt(0)
	;;#ASMSTART
	v_dot2_f32_f16 v13, v14, v18, v13
	;;#ASMEND
	s_nop 0
	;;#ASMSTART
	v_dot2_f32_f16 v13, v15, v19, v13
	;;#ASMEND
	s_nop 0
	;;#ASMSTART
	v_dot2_f32_f16 v13, v16, v20, v13
	;;#ASMEND
	s_nop 0
	;;#ASMSTART
	v_dot2_f32_f16 v13, v17, v21, v13
	;;#ASMEND
	ds_read_b128 v[14:17], v64 offset:16
	ds_read_b128 v[18:21], v65 offset:272
	s_waitcnt lgkmcnt(0)
	;;#ASMSTART
	v_dot2_f32_f16 v13, v14, v18, v13
	;;#ASMEND
	s_nop 0
	;;#ASMSTART
	v_dot2_f32_f16 v13, v15, v19, v13
	;;#ASMEND
	s_nop 0
	;;#ASMSTART
	v_dot2_f32_f16 v13, v16, v20, v13
	;;#ASMEND
	s_nop 0
	;;#ASMSTART
	v_dot2_f32_f16 v13, v17, v21, v13
	;;#ASMEND
	ds_read_b128 v[14:17], v64 offset:32
	;; [unrolled: 18-line block ×7, first 2 shown]
	ds_read_b128 v[18:21], v65 offset:368
	s_waitcnt lgkmcnt(0)
	;;#ASMSTART
	v_dot2_f32_f16 v13, v14, v18, v13
	;;#ASMEND
	s_nop 0
	;;#ASMSTART
	v_dot2_f32_f16 v13, v15, v19, v13
	;;#ASMEND
	s_nop 0
	;; [unrolled: 4-line block ×3, first 2 shown]
	;;#ASMSTART
	v_dot2_f32_f16 v13, v17, v21, v13
	;;#ASMEND
	s_barrier
	global_load_dwordx4 v[14:17], v[4:5], off offset:384
	global_load_dwordx4 v[18:21], v[6:7], off offset:384
	;; [unrolled: 1-line block ×4, first 2 shown]
	s_waitcnt vmcnt(3)
	ds_write_b128 v60, v[14:17]
	s_waitcnt vmcnt(2)
	ds_write_b128 v61, v[18:21]
	;; [unrolled: 2-line block ×4, first 2 shown]
	s_waitcnt lgkmcnt(0)
	s_barrier
	ds_read_b128 v[4:7], v64
	ds_read_b128 v[8:11], v65 offset:384
	s_waitcnt lgkmcnt(0)
	;;#ASMSTART
	v_dot2_f32_f16 v13, v4, v8, v13
	;;#ASMEND
	s_nop 0
	;;#ASMSTART
	v_dot2_f32_f16 v13, v5, v9, v13
	;;#ASMEND
	v_add_u32_e32 v14, s28, v36
	;;#ASMSTART
	v_dot2_f32_f16 v13, v6, v10, v13
	;;#ASMEND
	v_ashrrev_i32_e32 v15, 31, v14
	;;#ASMSTART
	v_dot2_f32_f16 v13, v7, v11, v13
	;;#ASMEND
	ds_read_b128 v[4:7], v64 offset:16
	ds_read_b128 v[8:11], v65 offset:400
	s_waitcnt lgkmcnt(0)
	;;#ASMSTART
	v_dot2_f32_f16 v13, v4, v8, v13
	;;#ASMEND
	s_nop 0
	;;#ASMSTART
	v_dot2_f32_f16 v13, v5, v9, v13
	;;#ASMEND
	v_lshl_add_u64 v[14:15], v[14:15], 1, s[26:27]
	;;#ASMSTART
	v_dot2_f32_f16 v13, v6, v10, v13
	;;#ASMEND
	s_nop 0
	;;#ASMSTART
	v_dot2_f32_f16 v13, v7, v11, v13
	;;#ASMEND
	ds_read_b128 v[4:7], v64 offset:32
	ds_read_b128 v[8:11], v65 offset:416
	s_waitcnt lgkmcnt(0)
	;;#ASMSTART
	v_dot2_f32_f16 v13, v4, v8, v13
	;;#ASMEND
	s_nop 0
	;;#ASMSTART
	v_dot2_f32_f16 v13, v5, v9, v13
	;;#ASMEND
	s_nop 0
	;;#ASMSTART
	v_dot2_f32_f16 v13, v6, v10, v13
	;;#ASMEND
	s_nop 0
	;;#ASMSTART
	v_dot2_f32_f16 v13, v7, v11, v13
	;;#ASMEND
	ds_read_b128 v[4:7], v64 offset:48
	ds_read_b128 v[8:11], v65 offset:432
	s_waitcnt lgkmcnt(0)
	;;#ASMSTART
	v_dot2_f32_f16 v13, v4, v8, v13
	;;#ASMEND
	s_nop 0
	;;#ASMSTART
	v_dot2_f32_f16 v13, v5, v9, v13
	;;#ASMEND
	s_nop 0
	;; [unrolled: 18-line block ×5, first 2 shown]
	;;#ASMSTART
	v_dot2_f32_f16 v13, v6, v10, v13
	;;#ASMEND
	s_nop 0
	;;#ASMSTART
	v_dot2_f32_f16 v13, v7, v11, v13
	;;#ASMEND
	ds_read_b128 v[4:7], v64 offset:112
	ds_read_b128 v[8:11], v65 offset:496
	s_waitcnt lgkmcnt(0)
	;;#ASMSTART
	v_dot2_f32_f16 v13, v4, v8, v13
	;;#ASMEND
	s_nop 0
	;;#ASMSTART
	v_dot2_f32_f16 v13, v5, v9, v13
	;;#ASMEND
	v_cndmask_b32_e32 v5, v37, v59, vcc
	;;#ASMSTART
	v_dot2_f32_f16 v13, v6, v10, v13
	;;#ASMEND
	v_lshlrev_b32_e32 v5, 2, v5
	;;#ASMSTART
	v_dot2_f32_f16 v13, v7, v11, v13
	;;#ASMEND
	global_load_ushort v4, v[14:15], off
	v_max_f32_e32 v7, v12, v12
	v_cmp_lt_i32_e32 vcc, v58, v54
	s_waitcnt vmcnt(0)
	v_cvt_f32_f16_e32 v4, v4
	v_add_f32_e32 v4, v13, v4
	v_add_f32_e32 v6, 0x40051340, v4
	v_max_f32_e32 v6, v7, v6
	ds_bpermute_b32 v5, v5, v6
	v_cndmask_b32_e32 v7, v37, v58, vcc
	v_lshlrev_b32_e32 v7, 2, v7
	v_cmp_lt_i32_e32 vcc, v57, v54
	s_waitcnt lgkmcnt(0)
	v_max_f32_e32 v5, v5, v5
	v_max_f32_e32 v5, v6, v5
	ds_bpermute_b32 v6, v7, v5
	v_cndmask_b32_e32 v7, v37, v57, vcc
	v_lshlrev_b32_e32 v7, 2, v7
	v_cmp_lt_i32_e32 vcc, v56, v54
	s_waitcnt lgkmcnt(0)
	v_max_f32_e32 v6, v6, v6
	;; [unrolled: 7-line block ×3, first 2 shown]
	v_max_f32_e32 v5, v5, v6
	ds_bpermute_b32 v6, v7, v5
	v_cndmask_b32_e32 v7, v37, v55, vcc
	v_lshlrev_b32_e32 v7, 2, v7
	s_waitcnt lgkmcnt(0)
	v_max_f32_e32 v6, v6, v6
	v_max_f32_e32 v5, v5, v6
	ds_bpermute_b32 v6, v7, v5
	s_and_saveexec_b64 s[6:7], s[4:5]
	s_cbranch_execz .LBB39_13
; %bb.12:                               ;   in Loop: Header=BB39_11 Depth=1
	s_waitcnt lgkmcnt(0)
	v_max_f32_e32 v6, v6, v6
	v_max_f32_e32 v5, v5, v5
	;; [unrolled: 1-line block ×3, first 2 shown]
	ds_write_b32 v67, v5
.LBB39_13:                              ;   in Loop: Header=BB39_11 Depth=1
	s_or_b64 exec, exec, s[6:7]
	s_mul_hi_i32 s7, s28, s31
	s_mul_i32 s6, s28, s31
	s_lshl_b64 s[6:7], s[6:7], 2
	s_add_u32 s6, s35, s6
	s_addc_u32 s7, s36, s7
	s_waitcnt lgkmcnt(0)
	v_lshl_add_u64 v[6:7], s[6:7], 0, v[40:41]
	v_lshl_add_u64 v[10:11], v[6:7], 0, v[26:27]
	;; [unrolled: 1-line block ×3, first 2 shown]
	s_barrier
	v_lshl_add_u64 v[18:19], v[6:7], 0, v[26:27]
	global_load_dwordx4 v[6:9], v[10:11], off
	global_load_dwordx4 v[14:17], v[18:19], off
	v_lshl_add_u64 v[10:11], s[6:7], 0, v[44:45]
	v_lshl_add_u64 v[10:11], v[10:11], 0, v[26:27]
	;; [unrolled: 1-line block ×4, first 2 shown]
	global_load_dwordx4 v[18:21], v[10:11], off
	global_load_dwordx4 v[80:83], v[22:23], off
	ds_read_b32 v5, v68
	v_and_b32_e32 v10, 0x7c, v37
	v_add_u32_e32 v10, 4, v10
	v_cmp_lt_i32_e32 vcc, v56, v10
	v_add_u32_e32 v79, 0x800, v75
	v_add_u32_e32 v84, 0x2000, v75
	v_cndmask_b32_e32 v11, v37, v56, vcc
	v_lshlrev_b32_e32 v11, 2, v11
	s_waitcnt lgkmcnt(0)
	ds_bpermute_b32 v11, v11, v5
	v_cmp_lt_i32_e32 vcc, v55, v10
	v_max_f32_e32 v5, v5, v5
	v_add_u32_e32 v85, 0x3800, v75
	v_cndmask_b32_e32 v10, v37, v55, vcc
	s_waitcnt lgkmcnt(0)
	v_max_f32_e32 v11, v11, v11
	v_lshlrev_b32_e32 v10, 2, v10
	v_max_f32_e32 v5, v5, v11
	ds_bpermute_b32 v10, v10, v5
	s_waitcnt lgkmcnt(0)
	v_max_f32_e32 v10, v10, v10
	v_max_f32_e32 v48, v5, v10
	v_sub_f32_e32 v5, v12, v48
	v_sub_f32_e32 v4, v4, v48
	v_mul_f32_e32 v11, 0x3fb8aa3b, v5
	v_mul_f32_e32 v10, 0x3fb8aa3b, v4
	v_fma_f32 v22, v5, s20, -v11
	v_rndne_f32_e32 v23, v11
	v_fma_f32 v12, v4, s20, -v10
	v_rndne_f32_e32 v13, v10
	v_fmac_f32_e32 v22, 0x32a5705f, v5
	v_sub_f32_e32 v11, v11, v23
	v_fmac_f32_e32 v12, 0x32a5705f, v4
	v_sub_f32_e32 v10, v10, v13
	v_add_f32_e32 v11, v11, v22
	v_cvt_i32_f32_e32 v23, v23
	v_add_f32_e32 v10, v10, v12
	v_exp_f32_e32 v11, v11
	v_cvt_i32_f32_e32 v13, v13
	v_exp_f32_e32 v10, v10
	v_cmp_ngt_f32_e64 s[6:7], s21, v5
	v_cmp_nlt_f32_e64 s[10:11], s37, v5
	v_ldexp_f32 v5, v11, v23
	v_cmp_ngt_f32_e32 vcc, s21, v4
	v_cmp_nlt_f32_e64 s[8:9], s37, v4
	v_ldexp_f32 v4, v10, v13
	v_cndmask_b32_e64 v5, 0, v5, s[6:7]
	v_cndmask_b32_e32 v4, 0, v4, vcc
	v_cndmask_b32_e64 v78, v76, v5, s[10:11]
	v_cndmask_b32_e64 v77, v76, v4, s[8:9]
	v_cvt_f16_f32_e32 v4, v78
	v_cvt_f16_f32_e32 v5, v77
	s_or_b32 s6, s28, 32
	s_mul_hi_i32 s7, s6, s31
	s_mul_i32 s6, s6, s31
	v_mul_u32_u24_e32 v100, 0x10001, v4
	s_lshl_b64 s[6:7], s[6:7], 2
	ds_write_b16 v69, v5
	v_pk_mul_f16 v10, v2, v100
	v_pk_mul_f16 v11, v3, v100
	s_add_u32 s6, s35, s6
	s_addc_u32 s7, s36, s7
	v_lshl_add_u64 v[22:23], s[6:7], 0, v[40:41]
	v_lshl_add_u64 v[94:95], s[6:7], 0, v[42:43]
	;; [unrolled: 1-line block ×4, first 2 shown]
	v_fma_f32 v66, v66, v78, v77
	s_waitcnt vmcnt(3)
	ds_write_b128 v70, v[6:9]
	s_waitcnt vmcnt(2)
	ds_write_b128 v71, v[14:17]
	;; [unrolled: 2-line block ×4, first 2 shown]
	s_waitcnt lgkmcnt(0)
	s_barrier
	ds_read2_b64 v[2:5], v75 offset1:32
	ds_read_u16 v12, v74
	ds_read_u16 v102, v74 offset:8
	ds_read_u16 v106, v74 offset:16
	;; [unrolled: 1-line block ×7, first 2 shown]
	ds_read2_b64 v[6:9], v79 offset1:32
	s_waitcnt lgkmcnt(8)
	v_mul_u32_u24_e32 v12, 0x10001, v12
	v_pk_mul_f16 v101, v2, v12
	v_pk_mul_f16 v103, v3, v12
	v_add_u32_e32 v81, 0x1000, v75
	v_add_u32_e32 v80, 0x1800, v75
	;; [unrolled: 1-line block ×4, first 2 shown]
	v_pk_fma_f16 v112, v0, v100, v101
	v_pk_fma_f16 v103, v1, v100, v103
	v_lshl_add_u64 v[0:1], s[6:7], 0, v[44:45]
	v_pk_fma_f16 v104, v4, v12, v10
	v_pk_fma_f16 v105, v5, v12, v11
	ds_read2_b64 v[2:5], v81 offset1:32
	ds_read2_b64 v[10:13], v80 offset1:32
	;; [unrolled: 1-line block ×6, first 2 shown]
	s_waitcnt lgkmcnt(0)
	s_barrier
	global_load_dwordx4 v[94:97], v[22:23], off
	v_lshl_add_u64 v[0:1], v[0:1], 0, v[26:27]
	global_load_dwordx4 v[98:101], v[98:99], off
	v_lshl_add_u64 v[22:23], s[6:7], 0, v[46:47]
	v_mul_u32_u24_e32 v102, 0x10001, v102
	v_lshl_add_u64 v[22:23], v[22:23], 0, v[26:27]
	v_pk_fma_f16 v113, v8, v102, v104
	v_pk_fma_f16 v114, v9, v102, v105
	;; [unrolled: 1-line block ×4, first 2 shown]
	global_load_dwordx4 v[6:9], v[0:1], off
	global_load_dwordx4 v[102:105], v[22:23], off
	v_mul_u32_u24_e32 v0, 0x10001, v106
	v_mul_u32_u24_e32 v1, 0x10001, v107
	v_pk_fma_f16 v4, v4, v0, v113
	v_pk_fma_f16 v5, v5, v0, v114
	;; [unrolled: 1-line block ×4, first 2 shown]
	s_or_b32 s6, s28, 64
	v_mul_u32_u24_e32 v22, 0x10001, v108
	v_pk_fma_f16 v3, v12, v1, v4
	v_pk_fma_f16 v4, v13, v1, v5
	;; [unrolled: 1-line block ×4, first 2 shown]
	s_mul_hi_i32 s7, s6, s31
	s_mul_i32 s6, s6, s31
	v_mul_u32_u24_e32 v23, 0x10001, v109
	v_pk_fma_f16 v1, v16, v22, v3
	v_pk_fma_f16 v3, v17, v22, v4
	;; [unrolled: 1-line block ×4, first 2 shown]
	s_lshl_b64 s[6:7], s[6:7], 2
	v_mul_u32_u24_e32 v106, 0x10001, v110
	v_pk_fma_f16 v1, v20, v23, v1
	v_pk_fma_f16 v3, v21, v23, v3
	;; [unrolled: 1-line block ×4, first 2 shown]
	s_add_u32 s6, s35, s6
	v_mul_u32_u24_e32 v107, 0x10001, v111
	v_pk_fma_f16 v1, v88, v106, v1
	v_pk_fma_f16 v3, v89, v106, v3
	;; [unrolled: 1-line block ×4, first 2 shown]
	s_addc_u32 s7, s36, s7
	v_pk_fma_f16 v106, v92, v107, v1
	v_pk_fma_f16 v108, v93, v107, v3
	;; [unrolled: 1-line block ×4, first 2 shown]
	s_waitcnt vmcnt(3)
	ds_write_b128 v70, v[94:97]
	s_waitcnt vmcnt(2)
	ds_write_b128 v71, v[98:101]
	;; [unrolled: 2-line block ×4, first 2 shown]
	s_waitcnt lgkmcnt(0)
	s_barrier
	ds_read2_b64 v[4:7], v75 offset1:32
	ds_read_u16 v100, v74 offset:64
	ds_read_u16 v101, v74 offset:72
	;; [unrolled: 1-line block ×8, first 2 shown]
	ds_read2_b64 v[8:11], v79 offset1:32
	ds_read2_b64 v[12:15], v81 offset1:32
	;; [unrolled: 1-line block ×7, first 2 shown]
	v_lshl_add_u64 v[94:95], s[6:7], 0, v[40:41]
	v_lshl_add_u64 v[96:97], s[6:7], 0, v[42:43]
	v_lshl_add_u64 v[94:95], v[94:95], 0, v[26:27]
	v_lshl_add_u64 v[98:99], v[96:97], 0, v[26:27]
	s_waitcnt lgkmcnt(14)
	v_mul_u32_u24_e32 v100, 0x10001, v100
	s_waitcnt lgkmcnt(0)
	s_barrier
	global_load_dwordx4 v[94:97], v[94:95], off
	v_pk_fma_f16 v109, v4, v100, v109
	v_pk_fma_f16 v107, v5, v100, v107
	;; [unrolled: 1-line block ×4, first 2 shown]
	global_load_dwordx4 v[4:7], v[98:99], off
	v_lshl_add_u64 v[98:99], s[6:7], 0, v[44:45]
	v_lshl_add_u64 v[102:103], v[98:99], 0, v[26:27]
	;; [unrolled: 1-line block ×4, first 2 shown]
	v_mul_u32_u24_e32 v98, 0x10001, v101
	v_pk_fma_f16 v108, v8, v98, v109
	v_pk_fma_f16 v107, v9, v98, v107
	;; [unrolled: 1-line block ×4, first 2 shown]
	global_load_dwordx4 v[8:11], v[102:103], off
	global_load_dwordx4 v[98:101], v[104:105], off
	v_mul_u32_u24_e32 v102, 0x10001, v110
	v_pk_fma_f16 v12, v12, v102, v108
	v_pk_fma_f16 v13, v13, v102, v107
	;; [unrolled: 1-line block ×4, first 2 shown]
	v_mul_u32_u24_e32 v102, 0x10001, v111
	s_or_b32 s6, s28, 0x60
	v_pk_fma_f16 v12, v16, v102, v12
	v_pk_fma_f16 v13, v17, v102, v13
	;; [unrolled: 1-line block ×4, first 2 shown]
	v_mul_u32_u24_e32 v16, 0x10001, v112
	s_mul_hi_i32 s7, s6, s31
	s_mul_i32 s6, s6, s31
	v_pk_fma_f16 v12, v20, v16, v12
	v_pk_fma_f16 v13, v21, v16, v13
	;; [unrolled: 1-line block ×4, first 2 shown]
	v_mul_u32_u24_e32 v16, 0x10001, v113
	s_lshl_b64 s[6:7], s[6:7], 2
	v_pk_fma_f16 v12, v86, v16, v12
	v_pk_fma_f16 v13, v87, v16, v13
	;; [unrolled: 1-line block ×4, first 2 shown]
	v_mul_u32_u24_e32 v16, 0x10001, v114
	s_add_u32 s6, s35, s6
	v_pk_fma_f16 v12, v90, v16, v12
	v_pk_fma_f16 v13, v91, v16, v13
	;; [unrolled: 1-line block ×4, first 2 shown]
	v_mul_u32_u24_e32 v16, 0x10001, v115
	s_addc_u32 s7, s36, s7
	v_pk_fma_f16 v102, v0, v16, v12
	v_pk_fma_f16 v103, v1, v16, v13
	;; [unrolled: 1-line block ×4, first 2 shown]
	s_waitcnt vmcnt(3)
	ds_write_b128 v70, v[94:97]
	s_waitcnt vmcnt(2)
	ds_write_b128 v71, v[4:7]
	;; [unrolled: 2-line block ×4, first 2 shown]
	s_waitcnt lgkmcnt(0)
	s_barrier
	ds_read2_b64 v[86:89], v75 offset1:32
	ds_read_u16 v100, v74 offset:128
	ds_read_u16 v101, v74 offset:136
	;; [unrolled: 1-line block ×8, first 2 shown]
	ds_read2_b64 v[90:93], v79 offset1:32
	ds_read2_b64 v[20:23], v81 offset1:32
	;; [unrolled: 1-line block ×7, first 2 shown]
	v_lshl_add_u64 v[94:95], s[6:7], 0, v[40:41]
	v_lshl_add_u64 v[96:97], s[6:7], 0, v[42:43]
	;; [unrolled: 1-line block ×4, first 2 shown]
	s_waitcnt lgkmcnt(14)
	v_mul_u32_u24_e32 v100, 0x10001, v100
	s_waitcnt lgkmcnt(0)
	s_barrier
	global_load_dwordx4 v[94:97], v[94:95], off
	v_pk_fma_f16 v112, v86, v100, v102
	v_pk_fma_f16 v113, v87, v100, v103
	;; [unrolled: 1-line block ×4, first 2 shown]
	global_load_dwordx4 v[86:89], v[98:99], off
	v_lshl_add_u64 v[98:99], s[6:7], 0, v[44:45]
	v_lshl_add_u64 v[102:103], v[98:99], 0, v[26:27]
	;; [unrolled: 1-line block ×4, first 2 shown]
	v_mul_u32_u24_e32 v98, 0x10001, v101
	v_pk_fma_f16 v112, v90, v98, v112
	v_pk_fma_f16 v113, v91, v98, v113
	;; [unrolled: 1-line block ×4, first 2 shown]
	global_load_dwordx4 v[90:93], v[102:103], off
	global_load_dwordx4 v[98:101], v[104:105], off
	v_mul_u32_u24_e32 v77, 0x10001, v106
	v_pk_fma_f16 v20, v20, v77, v112
	v_pk_fma_f16 v21, v21, v77, v113
	v_pk_fma_f16 v22, v22, v77, v114
	v_pk_fma_f16 v23, v23, v77, v115
	v_mul_u32_u24_e32 v77, 0x10001, v107
	v_pk_fma_f16 v16, v16, v77, v20
	v_pk_fma_f16 v17, v17, v77, v21
	v_pk_fma_f16 v18, v18, v77, v22
	v_pk_fma_f16 v19, v19, v77, v23
	;; [unrolled: 5-line block ×6, first 2 shown]
	s_waitcnt vmcnt(3)
	ds_write_b128 v70, v[94:97]
	s_waitcnt vmcnt(2)
	ds_write_b128 v71, v[86:89]
	;; [unrolled: 2-line block ×4, first 2 shown]
	s_waitcnt lgkmcnt(0)
	s_barrier
	ds_read2_b64 v[0:3], v75 offset1:32
	ds_read_u16 v5, v74 offset:192
	ds_read_u16 v11, v74 offset:200
	;; [unrolled: 1-line block ×8, first 2 shown]
	s_waitcnt lgkmcnt(7)
	v_mul_u32_u24_e32 v18, 0x10001, v5
	v_pk_fma_f16 v0, v0, v18, v4
	ds_read2_b64 v[4:7], v79 offset1:32
	s_waitcnt lgkmcnt(7)
	v_mul_u32_u24_e32 v11, 0x10001, v11
	v_pk_fma_f16 v9, v1, v18, v9
	v_pk_fma_f16 v10, v2, v18, v10
	;; [unrolled: 1-line block ×3, first 2 shown]
	s_waitcnt lgkmcnt(0)
	v_pk_fma_f16 v4, v4, v11, v0
	ds_read2_b64 v[0:3], v81 offset1:32
	v_pk_fma_f16 v9, v5, v11, v9
	v_pk_fma_f16 v10, v6, v11, v10
	v_pk_fma_f16 v8, v7, v11, v8
	v_mul_u32_u24_e32 v11, 0x10001, v12
	s_waitcnt lgkmcnt(0)
	v_pk_fma_f16 v0, v0, v11, v4
	ds_read2_b64 v[4:7], v80 offset1:32
	v_pk_fma_f16 v9, v1, v11, v9
	v_pk_fma_f16 v10, v2, v11, v10
	v_pk_fma_f16 v8, v3, v11, v8
	v_mul_u32_u24_e32 v11, 0x10001, v13
	;; [unrolled: 7-line block ×5, first 2 shown]
	s_waitcnt lgkmcnt(0)
	v_pk_fma_f16 v4, v0, v8, v4
	v_pk_fma_f16 v5, v1, v8, v5
	;; [unrolled: 1-line block ×4, first 2 shown]
	ds_read2_b64 v[0:3], v85 offset1:32
	s_waitcnt lgkmcnt(0)
	s_barrier
	s_load_dword s6, s[14:15], 0x4
	v_mul_u32_u24_e32 v8, 0x10001, v17
	v_pk_fma_f16 v0, v0, v8, v4
	v_pk_fma_f16 v1, v1, v8, v5
	;; [unrolled: 1-line block ×3, first 2 shown]
	s_waitcnt lgkmcnt(0)
	s_lshl_b32 s6, s6, 7
	s_add_i32 s28, s6, s28
	s_cmp_ge_i32 s28, s24
	v_pk_fma_f16 v3, v3, v8, v7
	s_cbranch_scc1 .LBB39_15
; %bb.14:                               ;   in Loop: Header=BB39_11 Depth=1
	v_mov_b32_e32 v12, v48
	s_branch .LBB39_11
.LBB39_15:
	v_mov_b32_e32 v4, v49
.LBB39_16:
	v_cmp_lt_i32_e32 vcc, v59, v54
	v_cmp_ne_u32_e64 s[4:5], 0, v4
	s_nop 0
	v_cndmask_b32_e32 v5, v37, v59, vcc
	v_lshlrev_b32_e32 v5, 2, v5
	ds_bpermute_b32 v5, v5, v66
	v_cmp_lt_i32_e32 vcc, v58, v54
	s_waitcnt lgkmcnt(0)
	v_add_f32_e32 v5, v66, v5
	v_cndmask_b32_e32 v6, v37, v58, vcc
	v_lshlrev_b32_e32 v6, 2, v6
	ds_bpermute_b32 v6, v6, v5
	v_cmp_lt_i32_e32 vcc, v57, v54
	s_waitcnt lgkmcnt(0)
	v_add_f32_e32 v5, v5, v6
	;; [unrolled: 6-line block ×4, first 2 shown]
	v_cndmask_b32_e32 v7, v37, v55, vcc
	v_lshlrev_b32_e32 v7, 2, v7
	ds_bpermute_b32 v6, v7, v5
	v_cmp_eq_u32_e32 vcc, 0, v4
	s_waitcnt lgkmcnt(0)
	v_add_f32_e32 v49, v5, v6
	s_and_saveexec_b64 s[6:7], s[4:5]
	s_xor_b64 s[6:7], exec, s[6:7]
	s_cbranch_execnz .LBB39_20
; %bb.17:
	s_andn2_saveexec_b64 s[4:5], s[6:7]
	s_cbranch_execnz .LBB39_23
.LBB39_18:
	s_or_b64 exec, exec, s[4:5]
	s_and_saveexec_b64 s[4:5], vcc
	s_cbranch_execnz .LBB39_24
.LBB39_19:
	s_endpgm
.LBB39_20:
	v_lshlrev_b32_e32 v4, 4, v25
	v_lshl_add_u32 v4, v52, 9, v4
	v_cmp_eq_u32_e64 s[4:5], 0, v25
	ds_write_b128 v4, v[0:3]
	s_and_saveexec_b64 s[8:9], s[4:5]
; %bb.21:
	ds_write_b32 v53, v49 offset:18432
; %bb.22:
	s_or_b64 exec, exec, s[8:9]
                                        ; implicit-def: $vgpr52
                                        ; implicit-def: $vgpr53
	s_andn2_saveexec_b64 s[4:5], s[6:7]
	s_cbranch_execz .LBB39_18
.LBB39_23:
	v_lshlrev_b32_e32 v4, 9, v52
	v_lshl_add_u32 v14, v25, 4, v4
	s_waitcnt lgkmcnt(0)
	s_barrier
	ds_read_b128 v[4:7], v14 offset:512
	ds_read_b128 v[8:11], v14 offset:1024
	s_waitcnt lgkmcnt(1)
	v_pk_add_f16 v4, v4, v0
	v_add_u32_e32 v0, 0x4804, v53
	ds_read2_b32 v[12:13], v0 offset1:1
	v_pk_add_f16 v5, v5, v1
	v_pk_add_f16 v6, v6, v2
	v_pk_add_f16 v7, v7, v3
	s_waitcnt lgkmcnt(1)
	v_pk_add_f16 v5, v9, v5
	ds_read_b32 v9, v53 offset:18444
	ds_read_b128 v[0:3], v14 offset:1536
	s_waitcnt lgkmcnt(2)
	v_add_f32_e32 v12, v49, v12
	v_pk_add_f16 v4, v8, v4
	v_pk_add_f16 v6, v10, v6
	;; [unrolled: 1-line block ×3, first 2 shown]
	v_add_f32_e32 v8, v12, v13
	s_waitcnt lgkmcnt(0)
	v_pk_add_f16 v0, v0, v4
	v_pk_add_f16 v1, v1, v5
	;; [unrolled: 1-line block ×4, first 2 shown]
	v_add_f32_e32 v49, v8, v9
	s_or_b64 exec, exec, s[4:5]
	s_and_saveexec_b64 s[4:5], vcc
	s_cbranch_execz .LBB39_19
.LBB39_24:
	s_cmp_eq_u64 s[12:13], 0
	s_cselect_b64 s[4:5], -1, 0
	s_cmp_lg_u32 s3, 0
	s_cselect_b64 s[6:7], -1, 0
	s_or_b64 s[4:5], s[6:7], s[4:5]
	v_add_u32_e32 v4, s25, v51
	s_and_b64 vcc, exec, s[4:5]
	s_cbranch_vccnz .LBB39_26
; %bb.25:
	v_ashrrev_i32_e32 v5, 31, v4
	v_lshl_add_u64 v[6:7], v[4:5], 2, s[12:13]
	global_load_dword v5, v[6:7], off
	v_max_f32_e32 v6, v48, v48
	s_mov_b32 s4, 0x3fb8aa3b
	s_mov_b32 s5, 0xc2ce8ed0
	s_waitcnt vmcnt(0)
	v_max_f32_e32 v7, v5, v5
	v_max_f32_e32 v6, v6, v7
	v_sub_f32_e32 v7, v48, v6
	v_sub_f32_e32 v5, v5, v6
	v_mul_f32_e32 v8, 0x3fb8aa3b, v7
	v_mul_f32_e32 v9, 0x3fb8aa3b, v5
	v_fma_f32 v10, v7, s4, -v8
	v_rndne_f32_e32 v11, v8
	v_fma_f32 v12, v5, s4, -v9
	v_rndne_f32_e32 v13, v9
	v_fmac_f32_e32 v10, 0x32a5705f, v7
	v_sub_f32_e32 v8, v8, v11
	v_fmac_f32_e32 v12, 0x32a5705f, v5
	v_sub_f32_e32 v9, v9, v13
	v_add_f32_e32 v8, v8, v10
	v_cvt_i32_f32_e32 v11, v11
	v_add_f32_e32 v9, v9, v12
	v_exp_f32_e32 v8, v8
	v_cvt_i32_f32_e32 v13, v13
	v_exp_f32_e32 v9, v9
	v_cmp_ngt_f32_e32 vcc, s5, v7
	v_ldexp_f32 v8, v8, v11
	s_mov_b32 s4, 0x42b17218
	v_ldexp_f32 v9, v9, v13
	v_cndmask_b32_e32 v8, 0, v8, vcc
	v_cmp_ngt_f32_e32 vcc, s5, v5
	v_mov_b32_e32 v10, 0x7f800000
	s_nop 0
	v_cndmask_b32_e32 v9, 0, v9, vcc
	v_cmp_nlt_f32_e32 vcc, s4, v7
	s_nop 1
	v_cndmask_b32_e32 v8, v10, v8, vcc
	v_cvt_f16_f32_e32 v11, v8
	v_cmp_nlt_f32_e32 vcc, s4, v5
	v_mul_u32_u24_e32 v5, 0x10001, v11
	s_nop 0
	v_cndmask_b32_e32 v7, v10, v9, vcc
	v_fmac_f32_e32 v7, v49, v8
	v_pk_mul_f16 v0, v0, v5
	v_pk_mul_f16 v1, v1, v5
	;; [unrolled: 1-line block ×4, first 2 shown]
	v_mov_b64_e32 v[48:49], v[6:7]
	s_branch .LBB39_27
.LBB39_26:
	v_mov_b32_e32 v7, v49
.LBB39_27:
	s_load_dword s6, s[0:1], 0xd4
	v_div_scale_f32 v5, s[0:1], v7, v7, 1.0
	v_rcp_f32_e32 v6, v5
	s_mul_i32 s4, s30, s22
	s_waitcnt lgkmcnt(0)
	s_cmp_lg_u32 s6, 1
	s_cselect_b64 s[0:1], -1, 0
	v_fma_f32 v8, -v5, v6, 1.0
	v_fmac_f32_e32 v6, v8, v6
	v_div_scale_f32 v8, vcc, 1.0, v7, 1.0
	v_mul_f32_e32 v9, v8, v6
	v_fma_f32 v10, -v5, v9, v8
	v_fmac_f32_e32 v9, v10, v6
	v_fma_f32 v5, -v5, v9, v8
	v_div_fmas_f32 v5, v5, v6, v9
	v_div_fixup_f32 v5, v5, v7, 1.0
	s_add_i32 s4, s4, s2
	v_cndmask_b32_e64 v10, v5, 1.0, s[0:1]
	v_add_u32_e32 v5, s4, v50
	v_mad_u64_u32 v[4:5], s[4:5], v5, s23, v[4:5]
	v_cvt_f32_f16_sdwa v7, v0 dst_sel:DWORD dst_unused:UNUSED_PAD src0_sel:WORD_1
	v_cvt_f32_f16_e32 v6, v0
	v_cvt_f32_f16_sdwa v9, v1 dst_sel:DWORD dst_unused:UNUSED_PAD src0_sel:WORD_1
	v_cvt_f32_f16_e32 v8, v1
	v_mul_lo_u32 v4, s6, v4
	v_add_u32_e32 v4, s3, v4
	v_lshl_add_u32 v12, v4, 8, v24
	v_mov_b32_e32 v13, 0
	v_lshl_add_u64 v[0:1], v[12:13], 2, s[16:17]
	v_pk_mul_f32 v[6:7], v[10:11], v[6:7] op_sel_hi:[0,1]
	v_pk_mul_f32 v[8:9], v[10:11], v[8:9] op_sel_hi:[0,1]
	global_store_dwordx4 v[0:1], v[6:9], off
	v_cvt_f32_f16_sdwa v1, v2 dst_sel:DWORD dst_unused:UNUSED_PAD src0_sel:WORD_1
	v_cvt_f32_f16_e32 v0, v2
	v_cvt_f32_f16_sdwa v7, v3 dst_sel:DWORD dst_unused:UNUSED_PAD src0_sel:WORD_1
	v_cvt_f32_f16_e32 v6, v3
	v_cmp_eq_u32_e32 vcc, 0, v25
	v_add_u32_e32 v12, 0x80, v12
	v_lshl_add_u64 v[8:9], v[12:13], 2, s[16:17]
	v_pk_mul_f32 v[0:1], v[10:11], v[0:1] op_sel_hi:[0,1]
	v_pk_mul_f32 v[2:3], v[10:11], v[6:7] op_sel_hi:[0,1]
	s_and_b64 s[0:1], vcc, s[0:1]
	global_store_dwordx4 v[8:9], v[0:3], off
	s_and_b64 exec, exec, s[0:1]
	s_cbranch_execz .LBB39_19
; %bb.28:
	v_mov_b32_e32 v0, s18
	v_mov_b32_e32 v1, s19
	v_ashrrev_i32_e32 v5, 31, v4
	v_lshl_add_u64 v[0:1], v[4:5], 3, v[0:1]
	global_store_dwordx2 v[0:1], v[48:49], off
	s_endpgm
	.section	.rodata,"a",@progbits
	.p2align	6, 0x0
	.amdhsa_kernel _ZL15flash_attn_tileILi256ELi256ELi1ELi2ELb0EEvPKcS1_S1_S1_S1_PKiPfP15HIP_vector_typeIfLj2EEffffjfiS5_IjLj3EEiiiiiiiiiiiliiliiiiil
		.amdhsa_group_segment_fixed_size 20000
		.amdhsa_private_segment_fixed_size 0
		.amdhsa_kernarg_size 464
		.amdhsa_user_sgpr_count 2
		.amdhsa_user_sgpr_dispatch_ptr 0
		.amdhsa_user_sgpr_queue_ptr 0
		.amdhsa_user_sgpr_kernarg_segment_ptr 1
		.amdhsa_user_sgpr_dispatch_id 0
		.amdhsa_user_sgpr_kernarg_preload_length 0
		.amdhsa_user_sgpr_kernarg_preload_offset 0
		.amdhsa_user_sgpr_private_segment_size 0
		.amdhsa_uses_dynamic_stack 0
		.amdhsa_enable_private_segment 0
		.amdhsa_system_sgpr_workgroup_id_x 1
		.amdhsa_system_sgpr_workgroup_id_y 1
		.amdhsa_system_sgpr_workgroup_id_z 1
		.amdhsa_system_sgpr_workgroup_info 0
		.amdhsa_system_vgpr_workitem_id 1
		.amdhsa_next_free_vgpr 116
		.amdhsa_next_free_sgpr 44
		.amdhsa_accum_offset 116
		.amdhsa_reserve_vcc 1
		.amdhsa_float_round_mode_32 0
		.amdhsa_float_round_mode_16_64 0
		.amdhsa_float_denorm_mode_32 3
		.amdhsa_float_denorm_mode_16_64 3
		.amdhsa_dx10_clamp 1
		.amdhsa_ieee_mode 1
		.amdhsa_fp16_overflow 0
		.amdhsa_tg_split 0
		.amdhsa_exception_fp_ieee_invalid_op 0
		.amdhsa_exception_fp_denorm_src 0
		.amdhsa_exception_fp_ieee_div_zero 0
		.amdhsa_exception_fp_ieee_overflow 0
		.amdhsa_exception_fp_ieee_underflow 0
		.amdhsa_exception_fp_ieee_inexact 0
		.amdhsa_exception_int_div_zero 0
	.end_amdhsa_kernel
	.section	.text._ZL15flash_attn_tileILi256ELi256ELi1ELi2ELb0EEvPKcS1_S1_S1_S1_PKiPfP15HIP_vector_typeIfLj2EEffffjfiS5_IjLj3EEiiiiiiiiiiiliiliiiiil,"axG",@progbits,_ZL15flash_attn_tileILi256ELi256ELi1ELi2ELb0EEvPKcS1_S1_S1_S1_PKiPfP15HIP_vector_typeIfLj2EEffffjfiS5_IjLj3EEiiiiiiiiiiiliiliiiiil,comdat
.Lfunc_end39:
	.size	_ZL15flash_attn_tileILi256ELi256ELi1ELi2ELb0EEvPKcS1_S1_S1_S1_PKiPfP15HIP_vector_typeIfLj2EEffffjfiS5_IjLj3EEiiiiiiiiiiiliiliiiiil, .Lfunc_end39-_ZL15flash_attn_tileILi256ELi256ELi1ELi2ELb0EEvPKcS1_S1_S1_S1_PKiPfP15HIP_vector_typeIfLj2EEffffjfiS5_IjLj3EEiiiiiiiiiiiliiliiiiil
                                        ; -- End function
	.set _ZL15flash_attn_tileILi256ELi256ELi1ELi2ELb0EEvPKcS1_S1_S1_S1_PKiPfP15HIP_vector_typeIfLj2EEffffjfiS5_IjLj3EEiiiiiiiiiiiliiliiiiil.num_vgpr, 116
	.set _ZL15flash_attn_tileILi256ELi256ELi1ELi2ELb0EEvPKcS1_S1_S1_S1_PKiPfP15HIP_vector_typeIfLj2EEffffjfiS5_IjLj3EEiiiiiiiiiiiliiliiiiil.num_agpr, 0
	.set _ZL15flash_attn_tileILi256ELi256ELi1ELi2ELb0EEvPKcS1_S1_S1_S1_PKiPfP15HIP_vector_typeIfLj2EEffffjfiS5_IjLj3EEiiiiiiiiiiiliiliiiiil.numbered_sgpr, 44
	.set _ZL15flash_attn_tileILi256ELi256ELi1ELi2ELb0EEvPKcS1_S1_S1_S1_PKiPfP15HIP_vector_typeIfLj2EEffffjfiS5_IjLj3EEiiiiiiiiiiiliiliiiiil.num_named_barrier, 0
	.set _ZL15flash_attn_tileILi256ELi256ELi1ELi2ELb0EEvPKcS1_S1_S1_S1_PKiPfP15HIP_vector_typeIfLj2EEffffjfiS5_IjLj3EEiiiiiiiiiiiliiliiiiil.private_seg_size, 0
	.set _ZL15flash_attn_tileILi256ELi256ELi1ELi2ELb0EEvPKcS1_S1_S1_S1_PKiPfP15HIP_vector_typeIfLj2EEffffjfiS5_IjLj3EEiiiiiiiiiiiliiliiiiil.uses_vcc, 1
	.set _ZL15flash_attn_tileILi256ELi256ELi1ELi2ELb0EEvPKcS1_S1_S1_S1_PKiPfP15HIP_vector_typeIfLj2EEffffjfiS5_IjLj3EEiiiiiiiiiiiliiliiiiil.uses_flat_scratch, 0
	.set _ZL15flash_attn_tileILi256ELi256ELi1ELi2ELb0EEvPKcS1_S1_S1_S1_PKiPfP15HIP_vector_typeIfLj2EEffffjfiS5_IjLj3EEiiiiiiiiiiiliiliiiiil.has_dyn_sized_stack, 0
	.set _ZL15flash_attn_tileILi256ELi256ELi1ELi2ELb0EEvPKcS1_S1_S1_S1_PKiPfP15HIP_vector_typeIfLj2EEffffjfiS5_IjLj3EEiiiiiiiiiiiliiliiiiil.has_recursion, 0
	.set _ZL15flash_attn_tileILi256ELi256ELi1ELi2ELb0EEvPKcS1_S1_S1_S1_PKiPfP15HIP_vector_typeIfLj2EEffffjfiS5_IjLj3EEiiiiiiiiiiiliiliiiiil.has_indirect_call, 0
	.section	.AMDGPU.csdata,"",@progbits
; Kernel info:
; codeLenInByte = 9600
; TotalNumSgprs: 50
; NumVgprs: 116
; NumAgprs: 0
; TotalNumVgprs: 116
; ScratchSize: 0
; MemoryBound: 0
; FloatMode: 240
; IeeeMode: 1
; LDSByteSize: 20000 bytes/workgroup (compile time only)
; SGPRBlocks: 6
; VGPRBlocks: 14
; NumSGPRsForWavesPerEU: 50
; NumVGPRsForWavesPerEU: 116
; AccumOffset: 116
; Occupancy: 4
; WaveLimiterHint : 1
; COMPUTE_PGM_RSRC2:SCRATCH_EN: 0
; COMPUTE_PGM_RSRC2:USER_SGPR: 2
; COMPUTE_PGM_RSRC2:TRAP_HANDLER: 0
; COMPUTE_PGM_RSRC2:TGID_X_EN: 1
; COMPUTE_PGM_RSRC2:TGID_Y_EN: 1
; COMPUTE_PGM_RSRC2:TGID_Z_EN: 1
; COMPUTE_PGM_RSRC2:TIDIG_COMP_CNT: 1
; COMPUTE_PGM_RSRC3_GFX90A:ACCUM_OFFSET: 28
; COMPUTE_PGM_RSRC3_GFX90A:TG_SPLIT: 0
	.section	.text._ZL33flash_attn_stream_k_fixup_uniformILi256ELi1ELi2EEvPfPK15HIP_vector_typeIfLj2EEiiiiiiS1_IjLj3EES5_S5_,"axG",@progbits,_ZL33flash_attn_stream_k_fixup_uniformILi256ELi1ELi2EEvPfPK15HIP_vector_typeIfLj2EEiiiiiiS1_IjLj3EES5_S5_,comdat
	.globl	_ZL33flash_attn_stream_k_fixup_uniformILi256ELi1ELi2EEvPfPK15HIP_vector_typeIfLj2EEiiiiiiS1_IjLj3EES5_S5_ ; -- Begin function _ZL33flash_attn_stream_k_fixup_uniformILi256ELi1ELi2EEvPfPK15HIP_vector_typeIfLj2EEiiiiiiS1_IjLj3EES5_S5_
	.p2align	8
	.type	_ZL33flash_attn_stream_k_fixup_uniformILi256ELi1ELi2EEvPfPK15HIP_vector_typeIfLj2EEiiiiiiS1_IjLj3EES5_S5_,@function
_ZL33flash_attn_stream_k_fixup_uniformILi256ELi1ELi2EEvPfPK15HIP_vector_typeIfLj2EEiiiiiiS1_IjLj3EES5_S5_: ; @_ZL33flash_attn_stream_k_fixup_uniformILi256ELi1ELi2EEvPfPK15HIP_vector_typeIfLj2EEiiiiiiS1_IjLj3EES5_S5_
; %bb.0:
	s_load_dwordx8 s[8:15], s[0:1], 0x1c
	s_load_dwordx2 s[6:7], s[0:1], 0x10
	s_load_dwordx4 s[16:19], s[0:1], 0x3c
	s_waitcnt lgkmcnt(0)
	s_mul_hi_u32 s5, s11, s2
	s_add_i32 s5, s2, s5
	s_lshr_b32 s5, s5, s12
	s_mul_i32 s11, s5, s13
	s_sub_i32 s12, s2, s11
	s_mul_hi_u32 s11, s12, s14
	s_add_i32 s11, s12, s11
	s_lshr_b32 s11, s11, s15
	s_mul_i32 s13, s11, s16
	s_sub_i32 s12, s12, s13
	;; [unrolled: 5-line block ×3, first 2 shown]
	s_lshl_b32 s16, s13, 1
	s_add_i32 s17, s17, s3
	s_cmp_lt_i32 s17, s6
	s_cselect_b64 s[12:13], -1, 0
	s_add_i32 s16, s16, s4
	s_cmp_lt_i32 s16, s9
	s_cselect_b64 s[14:15], -1, 0
	s_and_b64 s[12:13], s[12:13], s[14:15]
	s_andn2_b64 vcc, exec, s[12:13]
	s_cbranch_vccnz .LBB40_6
; %bb.1:
	s_load_dwordx4 s[12:15], s[0:1], 0x0
	s_mul_i32 s5, s5, s6
	s_mul_i32 s11, s11, s9
	s_add_i32 s0, s17, s5
	s_mul_i32 s0, s0, s7
	s_add_i32 s1, s16, s11
	s_add_i32 s1, s1, s0
	v_lshl_or_b32 v4, s1, 8, v0
	s_waitcnt lgkmcnt(0)
	v_mov_b32_e32 v2, s12
	v_mov_b32_e32 v3, s13
	v_ashrrev_i32_e32 v5, 31, v4
	v_lshl_add_u64 v[2:3], v[4:5], 2, v[2:3]
	global_load_dword v5, v[2:3], off
	s_mul_i32 s9, s10, s2
	s_add_i32 s5, s9, s10
	s_add_i32 s0, s3, s5
	s_lshl_b32 s0, s0, 1
	s_add_i32 s0, s0, s4
	s_add_i32 s0, s0, -2
	s_ashr_i32 s1, s0, 31
	s_lshl_b64 s[0:1], s[0:1], 3
	s_add_u32 s0, s14, s0
	s_addc_u32 s1, s15, s1
	s_load_dword s12, s[0:1], 0x4
	s_add_i32 s6, s5, -2
	s_cmp_lt_i32 s6, s9
	s_cbranch_scc1 .LBB40_4
; %bb.2:
	s_lshl_b32 s6, s8, 3
	s_ashr_i32 s7, s6, 31
	s_lshl_b64 s[6:7], s[6:7], 2
	s_add_u32 s6, s14, s6
	s_addc_u32 s7, s15, s7
	s_load_dword s0, s[0:1], 0x0
	s_add_i32 s2, s2, 1
	s_lshl_b32 s1, s4, 8
	s_add_i32 s8, s3, s8
	s_mul_i32 s2, s10, s2
	s_lshl_b32 s3, s3, 9
	s_add_i32 s8, s8, s5
	s_lshl_b32 s2, s2, 9
	s_add_i32 s1, s1, s3
	s_add_i32 s11, s5, -1
	s_lshl_b32 s5, s8, 1
	s_add_i32 s1, s1, s2
	s_add_i32 s4, s4, s5
	v_or_b32_e32 v0, s1, v0
	s_add_i32 s4, s4, -4
	v_add_u32_e32 v0, 0xfffffc00, v0
	s_waitcnt lgkmcnt(0)
	v_mov_b32_e32 v7, s0
	v_mov_b32_e32 v4, s12
	s_mov_b32 s2, 0x3fb8aa3b
	s_mov_b32 s3, 0xc2ce8ed0
	;; [unrolled: 1-line block ×3, first 2 shown]
	v_mov_b32_e32 v6, 0x7f800000
	s_mov_b32 s10, 0xc1a00000
.LBB40_3:                               ; =>This Inner Loop Header: Depth=1
	v_ashrrev_i32_e32 v1, 31, v0
	v_lshl_add_u64 v[8:9], v[0:1], 2, s[6:7]
	global_load_dword v9, v[8:9], off
	s_ashr_i32 s5, s4, 31
	s_lshl_b64 s[0:1], s[4:5], 3
	s_add_u32 s0, s14, s0
	s_addc_u32 s1, s15, s1
	s_load_dwordx2 s[0:1], s[0:1], 0x0
	v_max_f32_e32 v1, v7, v7
	s_add_i32 s11, s11, -1
	s_add_i32 s4, s4, -2
	v_add_u32_e32 v0, 0xfffffe00, v0
	s_waitcnt lgkmcnt(0)
	v_max_f32_e64 v10, s0, s0
	v_max_f32_e32 v1, v1, v10
	v_sub_f32_e32 v11, s0, v1
	v_sub_f32_e32 v10, v7, v1
	v_mul_f32_e32 v12, 0x3fb8aa3b, v11
	v_mov_b32_e32 v7, v1
	v_mul_f32_e32 v1, 0x3fb8aa3b, v10
	v_fma_f32 v15, v11, s2, -v12
	v_rndne_f32_e32 v16, v12
	v_fma_f32 v13, v10, s2, -v1
	v_rndne_f32_e32 v14, v1
	v_fmac_f32_e32 v15, 0x32a5705f, v11
	v_sub_f32_e32 v12, v12, v16
	v_fmac_f32_e32 v13, 0x32a5705f, v10
	v_sub_f32_e32 v1, v1, v14
	v_add_f32_e32 v12, v12, v15
	v_cvt_i32_f32_e32 v16, v16
	v_add_f32_e32 v1, v1, v13
	v_exp_f32_e32 v12, v12
	v_cvt_i32_f32_e32 v14, v14
	v_exp_f32_e32 v1, v1
	v_cmp_ngt_f32_e32 vcc, s3, v11
	v_ldexp_f32 v12, v12, v16
	v_mov_b32_e32 v8, s1
	v_ldexp_f32 v1, v1, v14
	v_cmp_ngt_f32_e64 s[0:1], s3, v10
	v_cndmask_b32_e32 v12, 0, v12, vcc
	v_cmp_nlt_f32_e32 vcc, s8, v11
	v_cndmask_b32_e64 v1, 0, v1, s[0:1]
	v_cmp_nlt_f32_e64 s[0:1], s8, v10
	v_cndmask_b32_e32 v12, v6, v12, vcc
	v_cmp_le_f32_e32 vcc, s10, v11
	v_cndmask_b32_e64 v1, v6, v1, s[0:1]
	v_cmp_le_f32_e64 s[0:1], s10, v10
	v_cndmask_b32_e32 v12, 0, v12, vcc
	s_cmp_le_i32 s11, s9
	v_cndmask_b32_e64 v10, 0, v1, s[0:1]
	s_waitcnt vmcnt(0)
	v_pk_mul_f32 v[8:9], v[8:9], v[12:13] op_sel_hi:[1,0]
	s_nop 0
	v_pk_fma_f32 v[4:5], v[4:5], v[10:11], v[8:9] op_sel_hi:[1,0,1]
	s_cbranch_scc0 .LBB40_3
	s_branch .LBB40_5
.LBB40_4:
	s_waitcnt lgkmcnt(0)
	v_mov_b32_e32 v4, s12
.LBB40_5:
	s_waitcnt vmcnt(0)
	v_div_scale_f32 v0, s[0:1], v4, v4, v5
	v_rcp_f32_e32 v1, v0
	v_div_scale_f32 v6, vcc, v5, v4, v5
	v_fma_f32 v7, -v0, v1, 1.0
	v_fmac_f32_e32 v1, v7, v1
	v_mul_f32_e32 v7, v6, v1
	v_fma_f32 v8, -v0, v7, v6
	v_fmac_f32_e32 v7, v8, v1
	v_fma_f32 v0, -v0, v7, v6
	v_div_fmas_f32 v0, v0, v1, v7
	v_div_fixup_f32 v0, v0, v4, v5
	global_store_dword v[2:3], v0, off
.LBB40_6:
	s_endpgm
	.section	.rodata,"a",@progbits
	.p2align	6, 0x0
	.amdhsa_kernel _ZL33flash_attn_stream_k_fixup_uniformILi256ELi1ELi2EEvPfPK15HIP_vector_typeIfLj2EEiiiiiiS1_IjLj3EES5_S5_
		.amdhsa_group_segment_fixed_size 0
		.amdhsa_private_segment_fixed_size 0
		.amdhsa_kernarg_size 76
		.amdhsa_user_sgpr_count 2
		.amdhsa_user_sgpr_dispatch_ptr 0
		.amdhsa_user_sgpr_queue_ptr 0
		.amdhsa_user_sgpr_kernarg_segment_ptr 1
		.amdhsa_user_sgpr_dispatch_id 0
		.amdhsa_user_sgpr_kernarg_preload_length 0
		.amdhsa_user_sgpr_kernarg_preload_offset 0
		.amdhsa_user_sgpr_private_segment_size 0
		.amdhsa_uses_dynamic_stack 0
		.amdhsa_enable_private_segment 0
		.amdhsa_system_sgpr_workgroup_id_x 1
		.amdhsa_system_sgpr_workgroup_id_y 1
		.amdhsa_system_sgpr_workgroup_id_z 1
		.amdhsa_system_sgpr_workgroup_info 0
		.amdhsa_system_vgpr_workitem_id 0
		.amdhsa_next_free_vgpr 17
		.amdhsa_next_free_sgpr 20
		.amdhsa_accum_offset 20
		.amdhsa_reserve_vcc 1
		.amdhsa_float_round_mode_32 0
		.amdhsa_float_round_mode_16_64 0
		.amdhsa_float_denorm_mode_32 3
		.amdhsa_float_denorm_mode_16_64 3
		.amdhsa_dx10_clamp 1
		.amdhsa_ieee_mode 1
		.amdhsa_fp16_overflow 0
		.amdhsa_tg_split 0
		.amdhsa_exception_fp_ieee_invalid_op 0
		.amdhsa_exception_fp_denorm_src 0
		.amdhsa_exception_fp_ieee_div_zero 0
		.amdhsa_exception_fp_ieee_overflow 0
		.amdhsa_exception_fp_ieee_underflow 0
		.amdhsa_exception_fp_ieee_inexact 0
		.amdhsa_exception_int_div_zero 0
	.end_amdhsa_kernel
	.section	.text._ZL33flash_attn_stream_k_fixup_uniformILi256ELi1ELi2EEvPfPK15HIP_vector_typeIfLj2EEiiiiiiS1_IjLj3EES5_S5_,"axG",@progbits,_ZL33flash_attn_stream_k_fixup_uniformILi256ELi1ELi2EEvPfPK15HIP_vector_typeIfLj2EEiiiiiiS1_IjLj3EES5_S5_,comdat
.Lfunc_end40:
	.size	_ZL33flash_attn_stream_k_fixup_uniformILi256ELi1ELi2EEvPfPK15HIP_vector_typeIfLj2EEiiiiiiS1_IjLj3EES5_S5_, .Lfunc_end40-_ZL33flash_attn_stream_k_fixup_uniformILi256ELi1ELi2EEvPfPK15HIP_vector_typeIfLj2EEiiiiiiS1_IjLj3EES5_S5_
                                        ; -- End function
	.set _ZL33flash_attn_stream_k_fixup_uniformILi256ELi1ELi2EEvPfPK15HIP_vector_typeIfLj2EEiiiiiiS1_IjLj3EES5_S5_.num_vgpr, 17
	.set _ZL33flash_attn_stream_k_fixup_uniformILi256ELi1ELi2EEvPfPK15HIP_vector_typeIfLj2EEiiiiiiS1_IjLj3EES5_S5_.num_agpr, 0
	.set _ZL33flash_attn_stream_k_fixup_uniformILi256ELi1ELi2EEvPfPK15HIP_vector_typeIfLj2EEiiiiiiS1_IjLj3EES5_S5_.numbered_sgpr, 20
	.set _ZL33flash_attn_stream_k_fixup_uniformILi256ELi1ELi2EEvPfPK15HIP_vector_typeIfLj2EEiiiiiiS1_IjLj3EES5_S5_.num_named_barrier, 0
	.set _ZL33flash_attn_stream_k_fixup_uniformILi256ELi1ELi2EEvPfPK15HIP_vector_typeIfLj2EEiiiiiiS1_IjLj3EES5_S5_.private_seg_size, 0
	.set _ZL33flash_attn_stream_k_fixup_uniformILi256ELi1ELi2EEvPfPK15HIP_vector_typeIfLj2EEiiiiiiS1_IjLj3EES5_S5_.uses_vcc, 1
	.set _ZL33flash_attn_stream_k_fixup_uniformILi256ELi1ELi2EEvPfPK15HIP_vector_typeIfLj2EEiiiiiiS1_IjLj3EES5_S5_.uses_flat_scratch, 0
	.set _ZL33flash_attn_stream_k_fixup_uniformILi256ELi1ELi2EEvPfPK15HIP_vector_typeIfLj2EEiiiiiiS1_IjLj3EES5_S5_.has_dyn_sized_stack, 0
	.set _ZL33flash_attn_stream_k_fixup_uniformILi256ELi1ELi2EEvPfPK15HIP_vector_typeIfLj2EEiiiiiiS1_IjLj3EES5_S5_.has_recursion, 0
	.set _ZL33flash_attn_stream_k_fixup_uniformILi256ELi1ELi2EEvPfPK15HIP_vector_typeIfLj2EEiiiiiiS1_IjLj3EES5_S5_.has_indirect_call, 0
	.section	.AMDGPU.csdata,"",@progbits
; Kernel info:
; codeLenInByte = 808
; TotalNumSgprs: 26
; NumVgprs: 17
; NumAgprs: 0
; TotalNumVgprs: 17
; ScratchSize: 0
; MemoryBound: 0
; FloatMode: 240
; IeeeMode: 1
; LDSByteSize: 0 bytes/workgroup (compile time only)
; SGPRBlocks: 3
; VGPRBlocks: 2
; NumSGPRsForWavesPerEU: 26
; NumVGPRsForWavesPerEU: 17
; AccumOffset: 20
; Occupancy: 8
; WaveLimiterHint : 0
; COMPUTE_PGM_RSRC2:SCRATCH_EN: 0
; COMPUTE_PGM_RSRC2:USER_SGPR: 2
; COMPUTE_PGM_RSRC2:TRAP_HANDLER: 0
; COMPUTE_PGM_RSRC2:TGID_X_EN: 1
; COMPUTE_PGM_RSRC2:TGID_Y_EN: 1
; COMPUTE_PGM_RSRC2:TGID_Z_EN: 1
; COMPUTE_PGM_RSRC2:TIDIG_COMP_CNT: 0
; COMPUTE_PGM_RSRC3_GFX90A:ACCUM_OFFSET: 4
; COMPUTE_PGM_RSRC3_GFX90A:TG_SPLIT: 0
	.section	.text._ZL33flash_attn_stream_k_fixup_generalILi256ELi1ELi2EEvPfPK15HIP_vector_typeIfLj2EEiiiiS1_IjLj3EES5_S5_S5_,"axG",@progbits,_ZL33flash_attn_stream_k_fixup_generalILi256ELi1ELi2EEvPfPK15HIP_vector_typeIfLj2EEiiiiS1_IjLj3EES5_S5_S5_,comdat
	.globl	_ZL33flash_attn_stream_k_fixup_generalILi256ELi1ELi2EEvPfPK15HIP_vector_typeIfLj2EEiiiiS1_IjLj3EES5_S5_S5_ ; -- Begin function _ZL33flash_attn_stream_k_fixup_generalILi256ELi1ELi2EEvPfPK15HIP_vector_typeIfLj2EEiiiiS1_IjLj3EES5_S5_S5_
	.p2align	8
	.type	_ZL33flash_attn_stream_k_fixup_generalILi256ELi1ELi2EEvPfPK15HIP_vector_typeIfLj2EEiiiiS1_IjLj3EES5_S5_S5_,@function
_ZL33flash_attn_stream_k_fixup_generalILi256ELi1ELi2EEvPfPK15HIP_vector_typeIfLj2EEiiiiS1_IjLj3EES5_S5_S5_: ; @_ZL33flash_attn_stream_k_fixup_generalILi256ELi1ELi2EEvPfPK15HIP_vector_typeIfLj2EEiiiiS1_IjLj3EES5_S5_S5_
; %bb.0:
	s_load_dwordx4 s[8:11], s[0:1], 0x10
	s_load_dword s5, s[0:1], 0x50
	s_mov_b32 s12, 0
	s_waitcnt lgkmcnt(0)
	s_mul_hi_i32 s13, s11, s2
	s_cmp_lg_u64 s[12:13], 0
	s_mul_i32 s18, s11, s2
	s_cbranch_scc0 .LBB41_20
; %bb.1:
	s_add_u32 s6, s5, 0
	s_addc_u32 s7, 0, 0
	s_xor_b64 s[6:7], s[6:7], 0
	v_cvt_f32_u32_e32 v1, s6
	v_cvt_f32_u32_e32 v2, s7
	s_sub_u32 s12, 0, s6
	s_subb_u32 s19, 0, s7
	v_fmamk_f32 v1, v2, 0x4f800000, v1
	v_rcp_f32_e32 v1, v1
	s_nop 0
	v_mul_f32_e32 v1, 0x5f7ffffc, v1
	v_mul_f32_e32 v2, 0x2f800000, v1
	v_trunc_f32_e32 v2, v2
	v_fmamk_f32 v1, v2, 0xcf800000, v1
	v_cvt_u32_f32_e32 v2, v2
	v_cvt_u32_f32_e32 v1, v1
	v_readfirstlane_b32 s20, v2
	v_readfirstlane_b32 s14, v1
	s_mul_i32 s15, s12, s20
	s_mul_hi_u32 s22, s12, s14
	s_mul_i32 s21, s19, s14
	s_add_i32 s15, s22, s15
	s_add_i32 s15, s15, s21
	s_mul_i32 s23, s12, s14
	s_mul_i32 s22, s14, s15
	s_mul_hi_u32 s24, s14, s23
	s_mul_hi_u32 s21, s14, s15
	s_add_u32 s22, s24, s22
	s_addc_u32 s21, 0, s21
	s_mul_hi_u32 s25, s20, s23
	s_mul_i32 s23, s20, s23
	s_add_u32 s22, s22, s23
	s_mul_hi_u32 s24, s20, s15
	s_addc_u32 s21, s21, s25
	s_addc_u32 s22, s24, 0
	s_mul_i32 s15, s20, s15
	s_add_u32 s15, s21, s15
	s_addc_u32 s21, 0, s22
	s_add_u32 s22, s14, s15
	s_cselect_b64 s[14:15], -1, 0
	s_cmp_lg_u64 s[14:15], 0
	s_addc_u32 s20, s20, s21
	s_mul_i32 s14, s12, s20
	s_mul_hi_u32 s15, s12, s22
	s_add_i32 s14, s15, s14
	s_mul_i32 s19, s19, s22
	s_add_i32 s14, s14, s19
	s_mul_i32 s12, s12, s22
	s_mul_hi_u32 s19, s20, s12
	s_mul_i32 s21, s20, s12
	s_mul_i32 s24, s22, s14
	s_mul_hi_u32 s12, s22, s12
	s_mul_hi_u32 s23, s22, s14
	s_add_u32 s12, s12, s24
	s_addc_u32 s23, 0, s23
	s_add_u32 s12, s12, s21
	s_mul_hi_u32 s15, s20, s14
	s_addc_u32 s12, s23, s19
	s_addc_u32 s15, s15, 0
	s_mul_i32 s14, s20, s14
	s_add_u32 s12, s12, s14
	s_addc_u32 s19, 0, s15
	s_add_u32 s21, s22, s12
	s_cselect_b64 s[14:15], -1, 0
	s_cmp_lg_u64 s[14:15], 0
	s_addc_u32 s19, s20, s19
	s_ashr_i32 s14, s13, 31
	s_add_u32 s12, s18, s14
	s_mov_b32 s15, s14
	s_addc_u32 s13, s13, s14
	s_xor_b64 s[12:13], s[12:13], s[14:15]
	s_mul_i32 s22, s12, s19
	s_mul_hi_u32 s23, s12, s21
	s_mul_hi_u32 s20, s12, s19
	s_add_u32 s22, s23, s22
	s_addc_u32 s20, 0, s20
	s_mul_hi_u32 s24, s13, s21
	s_mul_i32 s21, s13, s21
	s_add_u32 s21, s22, s21
	s_mul_hi_u32 s23, s13, s19
	s_addc_u32 s20, s20, s24
	s_addc_u32 s21, s23, 0
	s_mul_i32 s19, s13, s19
	s_add_u32 s19, s20, s19
	s_addc_u32 s24, 0, s21
	s_mul_i32 s20, s6, s24
	s_mul_hi_u32 s21, s6, s19
	s_add_i32 s20, s21, s20
	s_mul_i32 s21, s7, s19
	s_add_i32 s25, s20, s21
	s_sub_i32 s22, s13, s25
	s_mul_i32 s20, s6, s19
	s_sub_u32 s12, s12, s20
	s_cselect_b64 s[20:21], -1, 0
	s_cmp_lg_u64 s[20:21], 0
	s_subb_u32 s26, s22, s7
	s_sub_u32 s27, s12, s6
	s_cselect_b64 s[22:23], -1, 0
	s_cmp_lg_u64 s[22:23], 0
	s_subb_u32 s22, s26, 0
	s_cmp_ge_u32 s22, s7
	s_cselect_b32 s23, -1, 0
	s_cmp_ge_u32 s27, s6
	s_cselect_b32 s26, -1, 0
	s_cmp_eq_u32 s22, s7
	s_cselect_b32 s22, s26, s23
	s_add_u32 s23, s19, 1
	s_addc_u32 s26, s24, 0
	s_add_u32 s27, s19, 2
	s_addc_u32 s28, s24, 0
	s_cmp_lg_u32 s22, 0
	s_cselect_b32 s22, s27, s23
	s_cselect_b32 s23, s28, s26
	s_cmp_lg_u64 s[20:21], 0
	s_subb_u32 s13, s13, s25
	s_cmp_ge_u32 s13, s7
	s_cselect_b32 s20, -1, 0
	s_cmp_ge_u32 s12, s6
	s_cselect_b32 s6, -1, 0
	s_cmp_eq_u32 s13, s7
	s_cselect_b32 s6, s6, s20
	s_cmp_lg_u32 s6, 0
	s_cselect_b32 s7, s23, s24
	s_cselect_b32 s6, s22, s19
	s_xor_b64 s[12:13], s[14:15], 0
	s_xor_b64 s[6:7], s[6:7], s[12:13]
	s_sub_u32 s6, s6, s12
	s_load_dwordx4 s[12:15], s[0:1], 0x44
	s_cbranch_execnz .LBB41_3
.LBB41_2:
	v_cvt_f32_u32_e32 v1, s5
	s_sub_i32 s6, 0, s5
	v_rcp_iflag_f32_e32 v1, v1
	s_nop 0
	v_mul_f32_e32 v1, 0x4f7ffffe, v1
	v_cvt_u32_f32_e32 v1, v1
	s_nop 0
	v_readfirstlane_b32 s7, v1
	s_mul_i32 s6, s6, s7
	s_mul_hi_u32 s6, s7, s6
	s_add_i32 s7, s7, s6
	s_mul_hi_u32 s6, s18, s7
	s_waitcnt lgkmcnt(0)
	s_mul_i32 s15, s6, s5
	s_sub_i32 s15, s18, s15
	s_add_i32 s7, s6, 1
	s_sub_i32 s16, s15, s5
	s_cmp_ge_u32 s15, s5
	s_cselect_b32 s6, s7, s6
	s_cselect_b32 s15, s16, s15
	s_add_i32 s7, s6, 1
	s_cmp_ge_u32 s15, s5
	s_cselect_b32 s6, s7, s6
.LBB41_3:
	s_add_i32 s7, s2, 1
	s_mul_hi_i32 s21, s11, s7
	s_mov_b32 s20, 0
	s_cmp_lg_u64 s[20:21], 0
	s_mul_i32 s7, s11, s7
	s_cbranch_scc0 .LBB41_21
; %bb.4:
	s_add_u32 s16, s5, 0
	s_addc_u32 s17, 0, 0
	s_xor_b64 s[18:19], s[16:17], 0
	v_cvt_f32_u32_e32 v1, s18
	v_cvt_f32_u32_e32 v2, s19
	s_waitcnt lgkmcnt(0)
	s_sub_u32 s15, 0, s18
	s_subb_u32 s20, 0, s19
	v_fmamk_f32 v1, v2, 0x4f800000, v1
	v_rcp_f32_e32 v1, v1
	s_nop 0
	v_mul_f32_e32 v1, 0x5f7ffffc, v1
	v_mul_f32_e32 v2, 0x2f800000, v1
	v_trunc_f32_e32 v2, v2
	v_fmamk_f32 v1, v2, 0xcf800000, v1
	v_cvt_u32_f32_e32 v2, v2
	v_cvt_u32_f32_e32 v1, v1
	v_readfirstlane_b32 s24, v2
	v_readfirstlane_b32 s22, v1
	s_mul_i32 s23, s15, s24
	s_mul_hi_u32 s26, s15, s22
	s_mul_i32 s25, s20, s22
	s_add_i32 s23, s26, s23
	s_add_i32 s23, s23, s25
	s_mul_i32 s27, s15, s22
	s_mul_i32 s26, s22, s23
	s_mul_hi_u32 s28, s22, s27
	s_mul_hi_u32 s25, s22, s23
	s_add_u32 s26, s28, s26
	s_addc_u32 s25, 0, s25
	s_mul_hi_u32 s29, s24, s27
	s_mul_i32 s27, s24, s27
	s_add_u32 s26, s26, s27
	s_mul_hi_u32 s28, s24, s23
	s_addc_u32 s25, s25, s29
	s_addc_u32 s26, s28, 0
	s_mul_i32 s23, s24, s23
	s_add_u32 s23, s25, s23
	s_addc_u32 s25, 0, s26
	s_add_u32 s26, s22, s23
	s_cselect_b64 s[22:23], -1, 0
	s_cmp_lg_u64 s[22:23], 0
	s_addc_u32 s24, s24, s25
	s_mul_i32 s22, s15, s24
	s_mul_hi_u32 s23, s15, s26
	s_add_i32 s22, s23, s22
	s_mul_i32 s20, s20, s26
	s_add_i32 s22, s22, s20
	s_mul_i32 s15, s15, s26
	s_mul_hi_u32 s23, s24, s15
	s_mul_i32 s25, s24, s15
	s_mul_i32 s28, s26, s22
	s_mul_hi_u32 s15, s26, s15
	s_mul_hi_u32 s27, s26, s22
	s_add_u32 s15, s15, s28
	s_addc_u32 s27, 0, s27
	s_add_u32 s15, s15, s25
	s_mul_hi_u32 s20, s24, s22
	s_addc_u32 s15, s27, s23
	s_addc_u32 s20, s20, 0
	s_mul_i32 s22, s24, s22
	s_add_u32 s15, s15, s22
	s_addc_u32 s20, 0, s20
	s_add_u32 s15, s26, s15
	s_cselect_b64 s[22:23], -1, 0
	s_cmp_lg_u64 s[22:23], 0
	s_addc_u32 s24, s24, s20
	s_ashr_i32 s22, s21, 31
	s_add_u32 s20, s7, s22
	s_mov_b32 s23, s22
	s_addc_u32 s21, s21, s22
	s_xor_b64 s[20:21], s[20:21], s[22:23]
	s_mul_i32 s26, s20, s24
	s_mul_hi_u32 s27, s20, s15
	s_mul_hi_u32 s25, s20, s24
	s_add_u32 s26, s27, s26
	s_addc_u32 s25, 0, s25
	s_mul_hi_u32 s28, s21, s15
	s_mul_i32 s15, s21, s15
	s_add_u32 s15, s26, s15
	s_mul_hi_u32 s27, s21, s24
	s_addc_u32 s15, s25, s28
	s_addc_u32 s25, s27, 0
	s_mul_i32 s24, s21, s24
	s_add_u32 s15, s15, s24
	s_addc_u32 s28, 0, s25
	s_mul_i32 s24, s18, s28
	s_mul_hi_u32 s25, s18, s15
	s_add_i32 s24, s25, s24
	s_mul_i32 s25, s19, s15
	s_add_i32 s29, s24, s25
	s_sub_i32 s26, s21, s29
	s_mul_i32 s24, s18, s15
	s_sub_u32 s20, s20, s24
	s_cselect_b64 s[24:25], -1, 0
	s_cmp_lg_u64 s[24:25], 0
	s_subb_u32 s30, s26, s19
	s_sub_u32 s31, s20, s18
	s_cselect_b64 s[26:27], -1, 0
	s_cmp_lg_u64 s[26:27], 0
	s_subb_u32 s26, s30, 0
	s_cmp_ge_u32 s26, s19
	s_cselect_b32 s27, -1, 0
	s_cmp_ge_u32 s31, s18
	s_cselect_b32 s30, -1, 0
	s_cmp_eq_u32 s26, s19
	s_cselect_b32 s26, s30, s27
	s_add_u32 s27, s15, 1
	s_addc_u32 s30, s28, 0
	s_add_u32 s31, s15, 2
	s_addc_u32 s33, s28, 0
	s_cmp_lg_u32 s26, 0
	s_cselect_b32 s26, s31, s27
	s_cselect_b32 s27, s33, s30
	s_cmp_lg_u64 s[24:25], 0
	s_subb_u32 s21, s21, s29
	s_cmp_ge_u32 s21, s19
	s_cselect_b32 s24, -1, 0
	s_cmp_ge_u32 s20, s18
	s_cselect_b32 s18, -1, 0
	s_cmp_eq_u32 s21, s19
	s_cselect_b32 s18, s18, s24
	s_cmp_lg_u32 s18, 0
	s_cselect_b32 s19, s27, s28
	s_cselect_b32 s18, s26, s15
	s_xor_b64 s[20:21], s[22:23], 0
	s_xor_b64 s[18:19], s[18:19], s[20:21]
	s_sub_u32 s18, s18, s20
	s_cbranch_execnz .LBB41_6
.LBB41_5:
	v_cvt_f32_u32_e32 v1, s5
	s_waitcnt lgkmcnt(0)
	s_sub_i32 s15, 0, s5
	v_rcp_iflag_f32_e32 v1, v1
	s_nop 0
	v_mul_f32_e32 v1, 0x4f7ffffe, v1
	v_cvt_u32_f32_e32 v1, v1
	s_nop 0
	v_readfirstlane_b32 s16, v1
	s_mul_i32 s15, s15, s16
	s_mul_hi_u32 s15, s16, s15
	s_add_i32 s16, s16, s15
	s_mul_hi_u32 s15, s7, s16
	s_mul_i32 s17, s15, s5
	s_sub_i32 s7, s7, s17
	s_add_i32 s16, s15, 1
	s_sub_i32 s17, s7, s5
	s_cmp_ge_u32 s7, s5
	s_cselect_b32 s15, s16, s15
	s_cselect_b32 s7, s17, s7
	s_add_i32 s16, s15, 1
	s_cmp_ge_u32 s7, s5
	s_cselect_b32 s18, s16, s15
.LBB41_6:
	s_cmp_eq_u32 s6, s18
	s_waitcnt lgkmcnt(0)
	s_mul_hi_u32 s7, s6, s12
	s_cselect_b64 s[16:17], -1, 0
	s_add_i32 s7, s7, s6
	s_lshr_b32 s7, s7, s13
	s_mul_i32 s15, s7, s14
	s_cmp_eq_u32 s15, s6
	s_mul_hi_u32 s15, s18, s12
	s_cselect_b64 s[20:21], -1, 0
	s_add_i32 s15, s15, s18
	s_lshr_b32 s15, s15, s13
	s_cmp_eq_u32 s7, s15
	s_mul_i32 s15, s15, s14
	s_cselect_b64 s[22:23], -1, 0
	s_cmp_lg_u32 s15, s18
	s_cselect_b64 s[18:19], -1, 0
	s_and_b64 s[18:19], s[22:23], s[18:19]
	s_or_b64 s[16:17], s[16:17], s[20:21]
	s_or_b64 s[16:17], s[16:17], s[18:19]
	s_and_b64 vcc, exec, s[16:17]
	s_cbranch_vccnz .LBB41_23
; %bb.7:
	s_load_dwordx8 s[16:23], s[0:1], 0x20
	s_load_dword s24, s[0:1], 0x40
	s_waitcnt lgkmcnt(0)
	s_mul_hi_u32 s15, s6, s16
	s_add_i32 s15, s15, s6
	s_lshr_b32 s15, s15, s17
	s_mul_i32 s16, s15, s18
	s_sub_i32 s16, s6, s16
	s_mul_hi_u32 s17, s16, s19
	s_add_i32 s17, s16, s17
	s_lshr_b32 s20, s17, s20
	s_mul_i32 s17, s20, s21
	s_sub_i32 s16, s16, s17
	;; [unrolled: 5-line block ×3, first 2 shown]
	s_lshl_b32 s22, s17, 1
	s_mul_hi_u32 s17, s16, s12
	s_add_i32 s16, s16, s17
	s_lshr_b32 s21, s16, s13
	s_add_i32 s21, s21, s3
	s_cmp_lt_i32 s21, s8
	s_cselect_b64 s[16:17], -1, 0
	s_add_i32 s22, s22, s4
	s_cmp_lt_i32 s22, s10
	s_cselect_b64 s[18:19], -1, 0
	s_and_b64 s[16:17], s[16:17], s[18:19]
	s_andn2_b64 vcc, exec, s[16:17]
	s_cbranch_vccnz .LBB41_23
; %bb.8:
	s_load_dwordx4 s[16:19], s[0:1], 0x0
	s_mov_b32 s0, 0
	s_lshl_b32 s24, s5, 3
	s_mov_b32 s25, s0
	s_mul_i32 s15, s15, s8
	s_waitcnt lgkmcnt(0)
	v_mov_b32_e32 v2, s16
	v_mov_b32_e32 v3, s17
	s_lshl_b64 s[16:17], s[24:25], 2
	s_add_u32 s16, s18, s16
	s_addc_u32 s17, s19, s17
	s_mul_i32 s20, s20, s10
	s_add_i32 s1, s21, s15
	s_mul_i32 s1, s1, s9
	s_add_i32 s8, s22, s20
	s_add_i32 s8, s8, s1
	v_lshl_or_b32 v4, s8, 8, v0
	v_ashrrev_i32_e32 v5, 31, v4
	v_lshl_add_u64 v[2:3], v[4:5], 2, v[2:3]
	global_load_dword v1, v[2:3], off
	s_add_i32 s1, s3, s2
	v_cvt_f32_u32_e32 v4, s5
	s_lshl_b32 s1, s1, 1
	s_add_i32 s8, s1, s4
	s_ashr_i32 s9, s8, 31
	s_lshl_b64 s[8:9], s[8:9], 3
	v_rcp_iflag_f32_e32 v4, v4
	s_add_u32 s8, s18, s8
	s_addc_u32 s9, s19, s9
	s_load_dwordx2 s[8:9], s[8:9], 0x0
	v_mul_f32_e32 v4, 0x4f7ffffe, v4
	v_cvt_u32_f32_e32 v7, v4
	s_add_i32 s25, s2, -1
	v_lshl_or_b32 v6, s4, 8, v0
	s_waitcnt lgkmcnt(0)
	v_mov_b32_e32 v0, s9
	v_mov_b32_e32 v9, s8
	s_mov_b32 s2, 0x3fb8aa3b
	s_mov_b32 s10, 0xc2ce8ed0
	;; [unrolled: 1-line block ×4, first 2 shown]
	v_mov_b32_e32 v8, 0x7f800000
	s_mul_hi_i32 s1, s25, s11
	s_cmp_lg_u64 s[0:1], 0
	s_mul_i32 s22, s25, s11
	s_cbranch_scc0 .LBB41_19
.LBB41_9:
	s_add_u32 s8, s5, 0
	s_addc_u32 s9, 0, 0
	s_xor_b64 s[8:9], s[8:9], 0
	v_cvt_f32_u32_e32 v4, s8
	v_cvt_f32_u32_e32 v5, s9
	s_sub_u32 s23, 0, s8
	s_subb_u32 s26, 0, s9
	v_fmac_f32_e32 v4, 0x4f800000, v5
	v_rcp_f32_e32 v4, v4
	s_nop 0
	v_mul_f32_e32 v4, 0x5f7ffffc, v4
	v_mul_f32_e32 v5, 0x2f800000, v4
	v_trunc_f32_e32 v5, v5
	v_fmac_f32_e32 v4, 0xcf800000, v5
	v_cvt_u32_f32_e32 v5, v5
	v_cvt_u32_f32_e32 v4, v4
	v_readfirstlane_b32 s27, v5
	v_readfirstlane_b32 s20, v4
	s_mul_i32 s21, s23, s27
	s_mul_hi_u32 s29, s23, s20
	s_mul_i32 s28, s26, s20
	s_add_i32 s21, s29, s21
	s_mul_i32 s30, s23, s20
	s_add_i32 s21, s21, s28
	s_mul_i32 s29, s20, s21
	s_mul_hi_u32 s31, s20, s30
	s_mul_hi_u32 s28, s20, s21
	s_add_u32 s29, s31, s29
	s_addc_u32 s28, 0, s28
	s_mul_hi_u32 s33, s27, s30
	s_mul_i32 s30, s27, s30
	s_add_u32 s29, s29, s30
	s_mul_hi_u32 s31, s27, s21
	s_addc_u32 s28, s28, s33
	s_addc_u32 s29, s31, 0
	s_mul_i32 s21, s27, s21
	s_add_u32 s21, s28, s21
	s_addc_u32 s28, 0, s29
	s_add_u32 s29, s20, s21
	s_cselect_b64 s[20:21], -1, 0
	s_cmp_lg_u64 s[20:21], 0
	s_addc_u32 s27, s27, s28
	s_mul_i32 s20, s23, s27
	s_mul_hi_u32 s21, s23, s29
	s_add_i32 s20, s21, s20
	s_mul_i32 s26, s26, s29
	s_add_i32 s20, s20, s26
	s_mul_i32 s23, s23, s29
	s_mul_hi_u32 s26, s27, s23
	s_mul_i32 s28, s27, s23
	s_mul_i32 s31, s29, s20
	s_mul_hi_u32 s23, s29, s23
	s_mul_hi_u32 s30, s29, s20
	s_add_u32 s23, s23, s31
	s_addc_u32 s30, 0, s30
	s_add_u32 s23, s23, s28
	s_mul_hi_u32 s21, s27, s20
	s_addc_u32 s23, s30, s26
	s_addc_u32 s21, s21, 0
	s_mul_i32 s20, s27, s20
	s_add_u32 s20, s23, s20
	s_addc_u32 s23, 0, s21
	s_add_u32 s28, s29, s20
	s_cselect_b64 s[20:21], -1, 0
	s_cmp_lg_u64 s[20:21], 0
	s_addc_u32 s23, s27, s23
	s_ashr_i32 s20, s1, 31
	s_add_u32 s26, s22, s20
	s_mov_b32 s21, s20
	s_addc_u32 s27, s1, s20
	s_xor_b64 s[26:27], s[26:27], s[20:21]
	s_mul_i32 s29, s26, s23
	s_mul_hi_u32 s30, s26, s28
	s_mul_hi_u32 s1, s26, s23
	s_add_u32 s29, s30, s29
	s_addc_u32 s1, 0, s1
	s_mul_hi_u32 s31, s27, s28
	s_mul_i32 s28, s27, s28
	s_add_u32 s28, s29, s28
	s_mul_hi_u32 s30, s27, s23
	s_addc_u32 s1, s1, s31
	s_addc_u32 s28, s30, 0
	s_mul_i32 s23, s27, s23
	s_add_u32 s1, s1, s23
	s_addc_u32 s23, 0, s28
	s_mul_i32 s28, s8, s23
	s_mul_hi_u32 s29, s8, s1
	s_add_i32 s28, s29, s28
	s_mul_i32 s29, s9, s1
	s_add_i32 s33, s28, s29
	s_sub_i32 s30, s27, s33
	s_mul_i32 s28, s8, s1
	s_sub_u32 s26, s26, s28
	s_cselect_b64 s[28:29], -1, 0
	s_cmp_lg_u64 s[28:29], 0
	s_subb_u32 s34, s30, s9
	s_sub_u32 s35, s26, s8
	s_cselect_b64 s[30:31], -1, 0
	s_cmp_lg_u64 s[30:31], 0
	s_subb_u32 s30, s34, 0
	s_cmp_ge_u32 s30, s9
	s_cselect_b32 s31, -1, 0
	s_cmp_ge_u32 s35, s8
	s_cselect_b32 s34, -1, 0
	s_cmp_eq_u32 s30, s9
	s_cselect_b32 s30, s34, s31
	s_add_u32 s31, s1, 1
	s_addc_u32 s34, s23, 0
	s_add_u32 s35, s1, 2
	s_addc_u32 s36, s23, 0
	s_cmp_lg_u32 s30, 0
	s_cselect_b32 s30, s35, s31
	s_cselect_b32 s31, s36, s34
	s_cmp_lg_u64 s[28:29], 0
	s_subb_u32 s27, s27, s33
	s_cmp_ge_u32 s27, s9
	s_cselect_b32 s28, -1, 0
	s_cmp_ge_u32 s26, s8
	s_cselect_b32 s8, -1, 0
	s_cmp_eq_u32 s27, s9
	s_cselect_b32 s8, s8, s28
	s_cmp_lg_u32 s8, 0
	s_cselect_b32 s9, s31, s23
	s_cselect_b32 s8, s30, s1
	s_xor_b64 s[20:21], s[20:21], 0
	s_xor_b64 s[8:9], s[8:9], s[20:21]
	s_sub_u32 s20, s8, s20
	s_cbranch_execnz .LBB41_11
.LBB41_10:
	s_sub_i32 s1, 0, s5
	v_readfirstlane_b32 s8, v7
	s_mul_i32 s1, s1, s8
	s_mul_hi_u32 s1, s8, s1
	s_add_i32 s8, s8, s1
	s_mul_hi_u32 s1, s22, s8
	s_mul_i32 s9, s1, s5
	s_sub_i32 s9, s22, s9
	s_add_i32 s8, s1, 1
	s_sub_i32 s20, s9, s5
	s_cmp_ge_u32 s9, s5
	s_cselect_b32 s1, s8, s1
	s_cselect_b32 s9, s20, s9
	s_add_i32 s8, s1, 1
	s_cmp_ge_u32 s9, s5
	s_cselect_b32 s20, s8, s1
.LBB41_11:
	s_cmp_lg_u32 s6, s20
	s_cbranch_scc0 .LBB41_15
; %bb.12:
	s_add_i32 s21, s25, s3
	s_add_i32 s1, s21, s5
	s_lshl_b32 s1, s1, 1
	s_add_i32 s8, s1, s4
	s_mov_b32 s9, s0
	s_lshl_b64 s[8:9], s[8:9], 3
	s_add_u32 s22, s18, s8
	s_mul_hi_u32 s1, s20, s12
	s_addc_u32 s23, s19, s9
	s_add_i32 s1, s1, s20
	s_lshr_b32 s1, s1, s13
	s_mul_i32 s8, s1, s14
	s_cmp_eq_u32 s8, s20
	s_cselect_b64 s[8:9], -1, 0
	s_cmp_lt_u32 s1, s7
	s_cselect_b64 s[26:27], -1, 0
	s_or_b64 s[26:27], s[26:27], s[8:9]
	s_mov_b64 s[8:9], -1
	s_and_b64 vcc, exec, s[26:27]
	s_mov_b32 s1, s25
	s_mov_b32 s26, s6
	s_cbranch_vccnz .LBB41_14
; %bb.13:
	s_add_i32 s1, s25, -1
	s_mov_b64 s[8:9], 0
	s_mov_b32 s26, s20
.LBB41_14:
	v_lshl_add_u32 v4, s21, 9, v6
	v_ashrrev_i32_e32 v5, 31, v4
	v_lshl_add_u64 v[4:5], v[4:5], 2, s[16:17]
	global_load_dword v5, v[4:5], off
	s_load_dwordx2 s[20:21], s[22:23], 0x0
	v_max_f32_e32 v4, v9, v9
	s_waitcnt lgkmcnt(0)
	v_max_f32_e64 v10, s20, s20
	v_max_f32_e32 v10, v4, v10
	v_sub_f32_e32 v11, v9, v10
	v_sub_f32_e32 v13, s20, v10
	v_mul_f32_e32 v4, 0x3fb8aa3b, v11
	v_mul_f32_e32 v12, 0x3fb8aa3b, v13
	v_fma_f32 v14, v11, s2, -v4
	v_rndne_f32_e32 v15, v4
	v_fma_f32 v16, v13, s2, -v12
	v_rndne_f32_e32 v17, v12
	v_fmac_f32_e32 v14, 0x32a5705f, v11
	v_sub_f32_e32 v4, v4, v15
	v_fmac_f32_e32 v16, 0x32a5705f, v13
	v_sub_f32_e32 v12, v12, v17
	v_add_f32_e32 v4, v4, v14
	v_cvt_i32_f32_e32 v15, v15
	v_add_f32_e32 v12, v12, v16
	v_exp_f32_e32 v14, v4
	v_cvt_i32_f32_e32 v17, v17
	v_exp_f32_e32 v12, v12
	v_cmp_ngt_f32_e32 vcc, s10, v11
	v_ldexp_f32 v14, v14, v15
	v_mov_b32_e32 v4, s21
	v_ldexp_f32 v12, v12, v17
	v_cndmask_b32_e32 v14, 0, v14, vcc
	v_cmp_ngt_f32_e32 vcc, s10, v13
	s_nop 1
	v_cndmask_b32_e32 v12, 0, v12, vcc
	v_cmp_nlt_f32_e32 vcc, s15, v11
	s_nop 1
	v_cndmask_b32_e32 v14, v8, v14, vcc
	v_cmp_nlt_f32_e32 vcc, s15, v13
	s_nop 1
	v_cndmask_b32_e32 v15, v8, v12, vcc
	v_cmp_le_f32_e32 vcc, s24, v11
	s_nop 1
	v_cndmask_b32_e32 v12, 0, v14, vcc
	v_cmp_le_f32_e32 vcc, s24, v13
	s_nop 1
	v_cndmask_b32_e32 v14, 0, v15, vcc
	s_waitcnt vmcnt(0)
	v_pk_mul_f32 v[4:5], v[4:5], v[14:15] op_sel_hi:[1,0]
	s_nop 0
	v_pk_fma_f32 v[4:5], v[0:1], v[12:13], v[4:5] op_sel_hi:[1,0,1]
	s_cbranch_execz .LBB41_16
	s_branch .LBB41_17
.LBB41_15:
                                        ; implicit-def: $vgpr4_vgpr5
                                        ; implicit-def: $sgpr8_sgpr9
                                        ; implicit-def: $vgpr10
                                        ; implicit-def: $sgpr1
                                        ; implicit-def: $sgpr26
.LBB41_16:
	s_add_i32 s1, s25, -1
	s_mov_b64 s[8:9], 0
	s_mov_b32 s26, s6
	v_mov_b32_e32 v10, v9
	s_waitcnt vmcnt(0)
	v_mov_b64_e32 v[4:5], v[0:1]
.LBB41_17:
	s_andn2_b64 vcc, exec, s[8:9]
	s_cbranch_vccz .LBB41_22
; %bb.18:
	s_mov_b32 s6, s26
	s_mov_b32 s25, s1
	v_mov_b32_e32 v9, v10
	s_waitcnt vmcnt(0)
	v_mov_b64_e32 v[0:1], v[4:5]
	s_mul_hi_i32 s1, s25, s11
	s_cmp_lg_u64 s[0:1], 0
	s_mul_i32 s22, s25, s11
	s_cbranch_scc1 .LBB41_9
.LBB41_19:
                                        ; implicit-def: $sgpr20_sgpr21
	s_branch .LBB41_10
.LBB41_20:
                                        ; implicit-def: $sgpr6_sgpr7
	s_load_dwordx4 s[12:15], s[0:1], 0x44
	s_branch .LBB41_2
.LBB41_21:
                                        ; implicit-def: $sgpr18_sgpr19
	s_branch .LBB41_5
.LBB41_22:
	v_div_scale_f32 v0, s[0:1], v4, v4, v5
	s_waitcnt vmcnt(0)
	v_rcp_f32_e32 v1, v0
	v_div_scale_f32 v6, vcc, v5, v4, v5
	v_fma_f32 v7, -v0, v1, 1.0
	v_fmac_f32_e32 v1, v7, v1
	v_mul_f32_e32 v7, v6, v1
	v_fma_f32 v8, -v0, v7, v6
	v_fmac_f32_e32 v7, v8, v1
	v_fma_f32 v0, -v0, v7, v6
	v_div_fmas_f32 v0, v0, v1, v7
	v_div_fixup_f32 v0, v0, v4, v5
	global_store_dword v[2:3], v0, off
.LBB41_23:
	s_endpgm
	.section	.rodata,"a",@progbits
	.p2align	6, 0x0
	.amdhsa_kernel _ZL33flash_attn_stream_k_fixup_generalILi256ELi1ELi2EEvPfPK15HIP_vector_typeIfLj2EEiiiiS1_IjLj3EES5_S5_S5_
		.amdhsa_group_segment_fixed_size 0
		.amdhsa_private_segment_fixed_size 0
		.amdhsa_kernarg_size 336
		.amdhsa_user_sgpr_count 2
		.amdhsa_user_sgpr_dispatch_ptr 0
		.amdhsa_user_sgpr_queue_ptr 0
		.amdhsa_user_sgpr_kernarg_segment_ptr 1
		.amdhsa_user_sgpr_dispatch_id 0
		.amdhsa_user_sgpr_kernarg_preload_length 0
		.amdhsa_user_sgpr_kernarg_preload_offset 0
		.amdhsa_user_sgpr_private_segment_size 0
		.amdhsa_uses_dynamic_stack 0
		.amdhsa_enable_private_segment 0
		.amdhsa_system_sgpr_workgroup_id_x 1
		.amdhsa_system_sgpr_workgroup_id_y 1
		.amdhsa_system_sgpr_workgroup_id_z 1
		.amdhsa_system_sgpr_workgroup_info 0
		.amdhsa_system_vgpr_workitem_id 0
		.amdhsa_next_free_vgpr 18
		.amdhsa_next_free_sgpr 37
		.amdhsa_accum_offset 20
		.amdhsa_reserve_vcc 1
		.amdhsa_float_round_mode_32 0
		.amdhsa_float_round_mode_16_64 0
		.amdhsa_float_denorm_mode_32 3
		.amdhsa_float_denorm_mode_16_64 3
		.amdhsa_dx10_clamp 1
		.amdhsa_ieee_mode 1
		.amdhsa_fp16_overflow 0
		.amdhsa_tg_split 0
		.amdhsa_exception_fp_ieee_invalid_op 0
		.amdhsa_exception_fp_denorm_src 0
		.amdhsa_exception_fp_ieee_div_zero 0
		.amdhsa_exception_fp_ieee_overflow 0
		.amdhsa_exception_fp_ieee_underflow 0
		.amdhsa_exception_fp_ieee_inexact 0
		.amdhsa_exception_int_div_zero 0
	.end_amdhsa_kernel
	.section	.text._ZL33flash_attn_stream_k_fixup_generalILi256ELi1ELi2EEvPfPK15HIP_vector_typeIfLj2EEiiiiS1_IjLj3EES5_S5_S5_,"axG",@progbits,_ZL33flash_attn_stream_k_fixup_generalILi256ELi1ELi2EEvPfPK15HIP_vector_typeIfLj2EEiiiiS1_IjLj3EES5_S5_S5_,comdat
.Lfunc_end41:
	.size	_ZL33flash_attn_stream_k_fixup_generalILi256ELi1ELi2EEvPfPK15HIP_vector_typeIfLj2EEiiiiS1_IjLj3EES5_S5_S5_, .Lfunc_end41-_ZL33flash_attn_stream_k_fixup_generalILi256ELi1ELi2EEvPfPK15HIP_vector_typeIfLj2EEiiiiS1_IjLj3EES5_S5_S5_
                                        ; -- End function
	.set _ZL33flash_attn_stream_k_fixup_generalILi256ELi1ELi2EEvPfPK15HIP_vector_typeIfLj2EEiiiiS1_IjLj3EES5_S5_S5_.num_vgpr, 18
	.set _ZL33flash_attn_stream_k_fixup_generalILi256ELi1ELi2EEvPfPK15HIP_vector_typeIfLj2EEiiiiS1_IjLj3EES5_S5_S5_.num_agpr, 0
	.set _ZL33flash_attn_stream_k_fixup_generalILi256ELi1ELi2EEvPfPK15HIP_vector_typeIfLj2EEiiiiS1_IjLj3EES5_S5_S5_.numbered_sgpr, 37
	.set _ZL33flash_attn_stream_k_fixup_generalILi256ELi1ELi2EEvPfPK15HIP_vector_typeIfLj2EEiiiiS1_IjLj3EES5_S5_S5_.num_named_barrier, 0
	.set _ZL33flash_attn_stream_k_fixup_generalILi256ELi1ELi2EEvPfPK15HIP_vector_typeIfLj2EEiiiiS1_IjLj3EES5_S5_S5_.private_seg_size, 0
	.set _ZL33flash_attn_stream_k_fixup_generalILi256ELi1ELi2EEvPfPK15HIP_vector_typeIfLj2EEiiiiS1_IjLj3EES5_S5_S5_.uses_vcc, 1
	.set _ZL33flash_attn_stream_k_fixup_generalILi256ELi1ELi2EEvPfPK15HIP_vector_typeIfLj2EEiiiiS1_IjLj3EES5_S5_S5_.uses_flat_scratch, 0
	.set _ZL33flash_attn_stream_k_fixup_generalILi256ELi1ELi2EEvPfPK15HIP_vector_typeIfLj2EEiiiiS1_IjLj3EES5_S5_S5_.has_dyn_sized_stack, 0
	.set _ZL33flash_attn_stream_k_fixup_generalILi256ELi1ELi2EEvPfPK15HIP_vector_typeIfLj2EEiiiiS1_IjLj3EES5_S5_S5_.has_recursion, 0
	.set _ZL33flash_attn_stream_k_fixup_generalILi256ELi1ELi2EEvPfPK15HIP_vector_typeIfLj2EEiiiiS1_IjLj3EES5_S5_S5_.has_indirect_call, 0
	.section	.AMDGPU.csdata,"",@progbits
; Kernel info:
; codeLenInByte = 2924
; TotalNumSgprs: 43
; NumVgprs: 18
; NumAgprs: 0
; TotalNumVgprs: 18
; ScratchSize: 0
; MemoryBound: 0
; FloatMode: 240
; IeeeMode: 1
; LDSByteSize: 0 bytes/workgroup (compile time only)
; SGPRBlocks: 5
; VGPRBlocks: 2
; NumSGPRsForWavesPerEU: 43
; NumVGPRsForWavesPerEU: 18
; AccumOffset: 20
; Occupancy: 8
; WaveLimiterHint : 0
; COMPUTE_PGM_RSRC2:SCRATCH_EN: 0
; COMPUTE_PGM_RSRC2:USER_SGPR: 2
; COMPUTE_PGM_RSRC2:TRAP_HANDLER: 0
; COMPUTE_PGM_RSRC2:TGID_X_EN: 1
; COMPUTE_PGM_RSRC2:TGID_Y_EN: 1
; COMPUTE_PGM_RSRC2:TGID_Z_EN: 1
; COMPUTE_PGM_RSRC2:TIDIG_COMP_CNT: 0
; COMPUTE_PGM_RSRC3_GFX90A:ACCUM_OFFSET: 4
; COMPUTE_PGM_RSRC3_GFX90A:TG_SPLIT: 0
	.section	.text._ZL15flash_attn_tileILi256ELi256ELi32ELi1ELb0EEvPKcS1_S1_S1_S1_PKiPfP15HIP_vector_typeIfLj2EEffffjfiS5_IjLj3EEiiiiiiiiiiiliiliiiiil,"axG",@progbits,_ZL15flash_attn_tileILi256ELi256ELi32ELi1ELb0EEvPKcS1_S1_S1_S1_PKiPfP15HIP_vector_typeIfLj2EEffffjfiS5_IjLj3EEiiiiiiiiiiiliiliiiiil,comdat
	.globl	_ZL15flash_attn_tileILi256ELi256ELi32ELi1ELb0EEvPKcS1_S1_S1_S1_PKiPfP15HIP_vector_typeIfLj2EEffffjfiS5_IjLj3EEiiiiiiiiiiiliiliiiiil ; -- Begin function _ZL15flash_attn_tileILi256ELi256ELi32ELi1ELb0EEvPKcS1_S1_S1_S1_PKiPfP15HIP_vector_typeIfLj2EEffffjfiS5_IjLj3EEiiiiiiiiiiiliiliiiiil
	.p2align	8
	.type	_ZL15flash_attn_tileILi256ELi256ELi32ELi1ELb0EEvPKcS1_S1_S1_S1_PKiPfP15HIP_vector_typeIfLj2EEffffjfiS5_IjLj3EEiiiiiiiiiiiliiliiiiil,@function
_ZL15flash_attn_tileILi256ELi256ELi32ELi1ELb0EEvPKcS1_S1_S1_S1_PKiPfP15HIP_vector_typeIfLj2EEffffjfiS5_IjLj3EEiiiiiiiiiiiliiliiiiil: ; @_ZL15flash_attn_tileILi256ELi256ELi32ELi1ELb0EEvPKcS1_S1_S1_S1_PKiPfP15HIP_vector_typeIfLj2EEffffjfiS5_IjLj3EEiiiiiiiiiiiliiliiiiil
; %bb.0:
	s_load_dwordx4 s[24:27], s[0:1], 0x5c
	s_load_dwordx2 s[38:39], s[0:1], 0x80
	s_load_dwordx2 s[40:41], s[0:1], 0xb8
	s_mov_b64 s[36:37], 0
	s_waitcnt lgkmcnt(0)
	v_cvt_f32_u32_e32 v1, s27
	s_sub_i32 s5, 0, s27
	v_rcp_iflag_f32_e32 v1, v1
	s_nop 0
	v_mul_f32_e32 v1, 0x4f7ffffe, v1
	v_cvt_u32_f32_e32 v1, v1
	s_nop 0
	v_readfirstlane_b32 s6, v1
	s_mul_i32 s5, s5, s6
	s_mul_hi_u32 s5, s6, s5
	s_add_i32 s6, s6, s5
	s_mul_hi_u32 s5, s4, s6
	s_mul_i32 s6, s5, s27
	s_sub_i32 s6, s4, s6
	s_add_i32 s7, s5, 1
	s_sub_i32 s8, s6, s27
	s_cmp_ge_u32 s6, s27
	s_cselect_b32 s5, s7, s5
	s_cselect_b32 s6, s8, s6
	s_add_i32 s7, s5, 1
	s_cmp_ge_u32 s6, s27
	s_cselect_b32 s33, s7, s5
	s_abs_i32 s5, s39
	v_cvt_f32_u32_e32 v1, s5
	s_mul_i32 s8, s33, s27
	s_sub_i32 s9, 0, s5
	s_sub_i32 s34, s4, s8
	v_rcp_iflag_f32_e32 v1, v1
	s_abs_i32 s7, s27
	s_xor_b32 s6, s27, s39
	s_ashr_i32 s6, s6, 31
	v_mul_f32_e32 v1, 0x4f7ffffe, v1
	v_cvt_u32_f32_e32 v1, v1
	s_nop 0
	v_readfirstlane_b32 s4, v1
	s_mul_i32 s9, s9, s4
	s_mul_hi_u32 s8, s4, s9
	s_add_i32 s4, s4, s8
	s_mul_hi_u32 s4, s7, s4
	s_mul_i32 s8, s4, s5
	s_sub_i32 s7, s7, s8
	s_add_i32 s9, s4, 1
	s_sub_i32 s8, s7, s5
	s_cmp_ge_u32 s7, s5
	s_cselect_b32 s4, s9, s4
	s_cselect_b32 s7, s8, s7
	s_add_i32 s8, s4, 1
	s_cmp_ge_u32 s7, s5
	s_cselect_b32 s4, s8, s4
	s_xor_b32 s4, s4, s6
	s_sub_i32 s43, s4, s6
	s_abs_i32 s39, s43
	v_cvt_f32_u32_e32 v1, s39
	s_load_dwordx16 s[8:23], s[0:1], 0x0
	s_sub_i32 s4, 0, s39
	s_abs_i32 s42, s34
	v_rcp_iflag_f32_e32 v1, v1
	s_nop 0
	v_mul_f32_e32 v1, 0x4f7ffffe, v1
	v_cvt_u32_f32_e32 v1, v1
	s_nop 0
	v_readfirstlane_b32 s5, v1
	s_mul_i32 s4, s4, s5
	s_mul_hi_u32 s4, s5, s4
	s_add_i32 s4, s5, s4
	s_waitcnt lgkmcnt(0)
	s_cmp_eq_u64 s[14:15], 0
	s_cbranch_scc1 .LBB42_2
; %bb.1:
	s_abs_i32 s5, s40
	v_cvt_f32_u32_e32 v1, s5
	s_sub_i32 s30, 0, s5
	s_abs_i32 s29, s33
	s_ashr_i32 s28, s33, 31
	v_rcp_iflag_f32_e32 v1, v1
	s_load_dwordx2 s[6:7], s[0:1], 0xc8
	v_mul_f32_e32 v1, 0x4f7ffffe, v1
	v_cvt_u32_f32_e32 v1, v1
	s_nop 0
	v_readfirstlane_b32 s31, v1
	s_mul_i32 s30, s30, s31
	s_mul_hi_u32 s30, s31, s30
	s_add_i32 s31, s31, s30
	s_mul_hi_u32 s30, s29, s31
	s_mul_i32 s30, s30, s5
	s_sub_i32 s29, s29, s30
	s_sub_i32 s30, s29, s5
	s_cmp_ge_u32 s29, s5
	s_cselect_b32 s29, s30, s29
	s_sub_i32 s30, s29, s5
	s_cmp_ge_u32 s29, s5
	s_cselect_b32 s5, s30, s29
	s_xor_b32 s5, s5, s28
	s_sub_i32 s5, s5, s28
	s_ashr_i32 s28, s5, 31
	s_waitcnt lgkmcnt(0)
	s_mul_hi_u32 s29, s6, s5
	s_mul_i32 s28, s6, s28
	s_mul_i32 s7, s7, s5
	s_add_i32 s28, s29, s28
	s_add_i32 s28, s28, s7
	s_mul_i32 s5, s6, s5
	s_add_u32 s36, s14, s5
	s_addc_u32 s37, s15, s28
.LBB42_2:
	s_load_dwordx4 s[28:31], s[0:1], 0x40
	s_mul_hi_u32 s40, s42, s4
	s_load_dword s4, s[0:1], 0x50
	v_mov_b32_e32 v42, 1.0
	s_waitcnt lgkmcnt(0)
	v_cmp_le_f32_e64 s[6:7], s29, 0
	s_and_b64 vcc, exec, s[6:7]
	s_cbranch_vccnz .LBB42_4
; %bb.3:
	v_mov_b32_e32 v1, s4
	v_sub_co_u32_e32 v1, vcc, s34, v1
	v_mov_b32_e32 v2, s31
	v_mov_b32_e32 v3, s30
	s_add_i32 s4, s34, 1
	v_lshlrev_b32_e32 v1, 1, v1
	v_cndmask_b32_e32 v2, v2, v3, vcc
	v_or_b32_e32 v1, 1, v1
	v_mov_b32_e32 v3, s4
	v_cndmask_b32_e32 v1, v1, v3, vcc
	v_cvt_f32_i32_e32 v1, v1
	v_cmp_neq_f32_e32 vcc, 1.0, v2
	s_mov_b32 s4, 0x3f2aaaab
	s_movk_i32 s6, 0x204
	v_cndmask_b32_e32 v1, 1.0, v1, vcc
	v_cmp_neq_f32_e32 vcc, 0, v1
	s_mov_b32 s5, 0x42b17218
	s_mov_b32 s7, 0x3fb8aa3b
	v_cndmask_b32_e32 v18, 1.0, v2, vcc
	v_frexp_mant_f32_e64 v2, |v18|
	v_cmp_gt_f32_e32 vcc, s4, v2
	s_mov_b32 s4, 0x3f317218
	s_brev_b32 s29, -2
	v_cndmask_b32_e64 v3, 1.0, 2.0, vcc
	v_mul_f32_e32 v2, v2, v3
	v_add_f32_e32 v5, 1.0, v2
	v_rcp_f32_e32 v10, v5
	v_add_f32_e32 v3, -1.0, v5
	v_sub_f32_e32 v7, v2, v3
	v_add_f32_e32 v3, -1.0, v2
	v_mul_f32_e32 v11, v3, v10
	v_mul_f32_e32 v4, v5, v11
	v_fma_f32 v6, v11, v5, -v4
	v_fmac_f32_e32 v6, v11, v7
	v_add_f32_e32 v2, v4, v6
	v_sub_f32_e32 v5, v3, v2
	v_pk_add_f32 v[8:9], v[2:3], v[4:5] neg_lo:[0,1] neg_hi:[0,1]
	v_mov_b32_e32 v7, v2
	v_pk_add_f32 v[2:3], v[8:9], v[6:7] neg_lo:[0,1] neg_hi:[0,1]
	v_mov_b32_e32 v6, 0x3e91f4c4
	v_add_f32_e32 v2, v2, v3
	v_add_f32_e32 v2, v5, v2
	v_mul_f32_e32 v3, v10, v2
	v_add_f32_e32 v2, v11, v3
	v_sub_f32_e32 v4, v2, v11
	v_sub_f32_e32 v12, v3, v4
	v_mul_f32_e32 v3, v2, v2
	v_fma_f32 v5, v2, v2, -v3
	v_add_f32_e32 v4, v12, v12
	v_fmac_f32_e32 v5, v2, v4
	v_add_f32_e32 v4, v3, v5
	v_fmac_f32_e32 v6, 0x3e76c4e1, v4
	v_fmaak_f32 v6, v4, v6, 0x3ecccdef
	v_sub_f32_e32 v3, v4, v3
	v_sub_f32_e32 v13, v5, v3
	v_mul_f32_e32 v3, v4, v6
	v_fma_f32 v5, v4, v6, -v3
	v_fmac_f32_e32 v5, v13, v6
	v_add_f32_e32 v6, v3, v5
	v_add_f32_e32 v7, 0x3f2aaaaa, v6
	v_sub_f32_e32 v3, v6, v3
	v_sub_f32_e32 v3, v5, v3
	v_add_f32_e32 v5, 0xbf2aaaaa, v7
	v_add_f32_e32 v3, 0x31739010, v3
	v_sub_f32_e32 v5, v6, v5
	v_pk_mul_f32 v[8:9], v[2:3], v[4:5]
	v_pk_add_f32 v[10:11], v[2:3], v[4:5]
	v_fma_f32 v6, v4, v2, -v8
	v_fmac_f32_e32 v6, v4, v12
	v_mov_b32_e32 v9, v11
	v_fmac_f32_e32 v6, v13, v2
	v_pk_add_f32 v[4:5], v[8:9], v[6:7]
	v_ldexp_f32 v14, v12, 1
	v_sub_f32_e32 v3, v4, v8
	v_sub_f32_e32 v3, v6, v3
	;; [unrolled: 1-line block ×3, first 2 shown]
	v_add_f32_e32 v9, v11, v6
	v_pk_mul_f32 v[6:7], v[4:5], v[4:5] op_sel:[0,1] op_sel_hi:[1,0]
	v_cvt_f64_f32_e64 v[10:11], |v18|
	v_frexp_exp_i32_f64_e32 v7, v[10:11]
	v_subbrev_co_u32_e32 v7, vcc, 0, v7, vcc
	v_cvt_f32_i32_e32 v7, v7
	v_fma_f32 v8, v4, v5, -v6
	v_fmac_f32_e32 v8, v4, v9
	v_fmac_f32_e32 v8, v3, v5
	v_mul_f32_e32 v4, 0x3f317218, v7
	v_fma_f32 v3, v7, s4, -v4
	v_fmamk_f32 v10, v7, 0xb102e308, v3
	v_ldexp_f32 v11, v2, 1
	v_add_f32_e32 v5, v6, v8
	v_pk_add_f32 v[2:3], v[4:5], v[10:11]
	v_mov_b32_e32 v12, v5
	v_mov_b32_e32 v13, v3
	;; [unrolled: 1-line block ×3, first 2 shown]
	v_pk_add_f32 v[6:7], v[12:13], v[6:7] neg_lo:[0,1] neg_hi:[0,1]
	v_mov_b32_e32 v9, v5
	v_pk_add_f32 v[6:7], v[8:9], v[6:7] neg_lo:[0,1] neg_hi:[0,1]
	v_mov_b32_e32 v11, v2
	v_add_f32_e32 v5, v14, v6
	v_add_f32_e32 v5, v5, v7
	v_pk_add_f32 v[6:7], v[2:3], v[4:5] neg_lo:[0,1] neg_hi:[0,1]
	v_pk_add_f32 v[8:9], v[2:3], v[4:5]
	v_mov_b32_e32 v16, v3
	v_mov_b32_e32 v7, v9
	v_pk_add_f32 v[12:13], v[10:11], v[6:7] neg_lo:[0,1] neg_hi:[0,1]
	v_pk_add_f32 v[6:7], v[10:11], v[6:7]
	v_mov_b32_e32 v4, v5
	v_pk_add_f32 v[10:11], v[6:7], v[2:3] op_sel:[1,0] op_sel_hi:[0,1] neg_lo:[0,1] neg_hi:[0,1]
	v_pk_add_f32 v[14:15], v[8:9], v[10:11] op_sel_hi:[1,0] neg_lo:[0,1] neg_hi:[0,1]
	v_mov_b32_e32 v8, v9
	v_mov_b32_e32 v9, v7
	;; [unrolled: 1-line block ×3, first 2 shown]
	v_pk_add_f32 v[8:9], v[8:9], v[16:17] neg_lo:[0,1] neg_hi:[0,1]
	v_mov_b32_e32 v5, v2
	v_pk_add_f32 v[2:3], v[4:5], v[8:9] neg_lo:[0,1] neg_hi:[0,1]
	v_mov_b32_e32 v14, v12
	v_pk_add_f32 v[4:5], v[14:15], v[2:3]
	v_mov_b32_e32 v13, v7
	v_pk_add_f32 v[8:9], v[4:5], v[4:5] op_sel:[0,1] op_sel_hi:[1,0]
	s_mov_b32 s4, 0x7f800000
	v_pk_add_f32 v[6:7], v[6:7], v[8:9] op_sel:[1,0] op_sel_hi:[0,1]
	v_mov_b32_e32 v5, v6
	v_pk_add_f32 v[10:11], v[4:5], v[12:13] neg_lo:[0,1] neg_hi:[0,1]
	v_mov_b32_e32 v3, v8
	v_sub_f32_e32 v4, v4, v10
	v_pk_add_f32 v[2:3], v[2:3], v[10:11] neg_lo:[0,1] neg_hi:[0,1]
	v_sub_f32_e32 v4, v12, v4
	v_add_f32_e32 v2, v2, v4
	v_add_f32_e32 v2, v2, v3
	;; [unrolled: 1-line block ×3, first 2 shown]
	v_sub_f32_e32 v4, v3, v6
	v_sub_f32_e32 v2, v2, v4
	v_mul_f32_e32 v4, v1, v3
	v_fma_f32 v3, v1, v3, -v4
	v_fmac_f32_e32 v3, v1, v2
	v_add_f32_e32 v2, v4, v3
	v_cmp_class_f32_e64 vcc, v4, s6
	v_sub_f32_e32 v5, v2, v4
	v_sub_f32_e32 v3, v3, v5
	v_cndmask_b32_e32 v2, v2, v4, vcc
	v_mov_b32_e32 v4, 0x37000000
	v_cmp_eq_f32_e32 vcc, s5, v2
	v_cmp_class_f32_e64 s[14:15], v18, s6
	s_nop 0
	v_cndmask_b32_e32 v4, 0, v4, vcc
	v_sub_f32_e32 v5, v2, v4
	v_mul_f32_e32 v6, 0x3fb8aa3b, v5
	v_fma_f32 v7, v5, s7, -v6
	v_rndne_f32_e32 v8, v6
	v_fmamk_f32 v7, v5, 0x32a5705f, v7
	v_sub_f32_e32 v6, v6, v8
	v_add_f32_e32 v6, v6, v7
	v_exp_f32_e32 v6, v6
	v_cvt_i32_f32_e32 v7, v8
	v_cmp_neq_f32_e64 vcc, |v2|, s4
	s_mov_b32 s4, 0xc2ce8ed0
	s_nop 0
	v_cndmask_b32_e32 v2, 0, v3, vcc
	v_ldexp_f32 v3, v6, v7
	v_cmp_ngt_f32_e32 vcc, s4, v5
	v_add_f32_e32 v2, v4, v2
	v_mov_b32_e32 v4, 0x7f800000
	v_cndmask_b32_e32 v3, 0, v3, vcc
	v_cmp_nlt_f32_e32 vcc, s5, v5
	v_mov_b32_e32 v5, 0x7fc00000
	s_nop 0
	v_cndmask_b32_e32 v3, v4, v3, vcc
	v_fma_f32 v2, v3, v2, v3
	v_cmp_class_f32_e64 vcc, v3, s6
	v_cmp_gt_f32_e64 s[6:7], 0, v1
	s_nop 0
	v_cndmask_b32_e32 v2, v2, v3, vcc
	v_trunc_f32_e32 v3, v1
	v_cmp_eq_f32_e32 vcc, v3, v1
	v_mul_f32_e32 v3, 0.5, v1
	v_trunc_f32_e32 v6, v3
	v_cmp_neq_f32_e64 s[4:5], v6, v3
	s_and_b64 s[4:5], vcc, s[4:5]
	s_nop 0
	v_cndmask_b32_e64 v3, 1.0, v18, s[4:5]
	v_bfi_b32 v2, s29, v2, v3
	v_cndmask_b32_e32 v3, v5, v2, vcc
	v_cmp_gt_f32_e32 vcc, 0, v18
	s_nop 1
	v_cndmask_b32_e32 v2, v2, v3, vcc
	v_cmp_eq_f32_e32 vcc, 0, v18
	s_xor_b64 s[6:7], s[6:7], vcc
	v_cndmask_b32_e64 v1, v4, 0, s[6:7]
	v_cndmask_b32_e64 v3, 0, v18, s[4:5]
	v_bfi_b32 v1, s29, v1, v3
	s_or_b64 vcc, vcc, s[14:15]
	v_cndmask_b32_e32 v1, v2, v1, vcc
	v_cmp_o_f32_e32 vcc, v18, v18
	s_nop 1
	v_cndmask_b32_e32 v42, v5, v1, vcc
.LBB42_4:
	s_load_dwordx4 s[44:47], s[0:1], 0x70
	v_bfe_u32 v40, v0, 10, 10
	s_lshl_b32 s14, s2, 5
	v_lshlrev_b32_e32 v37, 2, v40
	s_ashr_i32 s35, s34, 31
	s_waitcnt lgkmcnt(0)
	s_mul_i32 s4, s33, s46
	s_ashr_i32 s6, s43, 31
	s_ashr_i32 s7, s4, 31
	v_add_u32_e32 v39, s14, v37
	s_mul_i32 s5, s34, s45
	s_add_u32 s4, s8, s4
	v_and_b32_e32 v38, 0x3ff, v0
	v_mul_hi_u32 v0, v39, s24
	s_addc_u32 s7, s9, s7
	s_ashr_i32 s9, s5, 31
	v_add_u32_e32 v0, v39, v0
	s_add_u32 s8, s4, s5
	v_lshrrev_b32_e32 v0, s25, v0
	s_addc_u32 s9, s7, s9
	s_ashr_i32 s45, s44, 31
	v_mul_lo_u32 v0, v0, s26
	s_lshr_b64 s[4:5], s[44:45], 2
	v_mov_b32_e32 v17, 0
	v_lshlrev_b32_e32 v16, 4, v38
	v_sub_u32_e32 v48, v39, v0
	v_lshl_add_u64 v[26:27], s[8:9], 0, v[16:17]
	v_mad_u64_u32 v[0:1], s[8:9], s4, v48, 0
	v_mov_b32_e32 v2, v1
	s_lshr_b32 s7, s45, 2
	v_mad_u64_u32 v[2:3], s[8:9], s7, v48, v[2:3]
	v_mov_b32_e32 v1, v2
	v_or_b32_e32 v35, 1, v37
	v_lshl_add_u64 v[8:9], v[0:1], 2, v[26:27]
	v_add_u32_e32 v36, s14, v35
	global_load_dwordx4 v[0:3], v[8:9], off
	global_load_dwordx4 v[4:7], v[8:9], off offset:512
	v_mul_hi_u32 v8, v36, s24
	v_add_u32_e32 v8, v36, v8
	v_lshrrev_b32_e32 v8, s25, v8
	v_mul_lo_u32 v8, v8, s26
	v_or_b32_e32 v33, 2, v37
	v_sub_u32_e32 v11, v36, v8
	v_add_u32_e32 v34, s14, v33
	v_mad_u64_u32 v[8:9], s[8:9], s4, v11, 0
	v_mul_hi_u32 v16, v34, s24
	v_mov_b32_e32 v10, v9
	v_add_u32_e32 v16, v34, v16
	v_mad_u64_u32 v[10:11], s[8:9], s7, v11, v[10:11]
	v_lshrrev_b32_e32 v16, s25, v16
	v_mov_b32_e32 v9, v10
	v_mul_lo_u32 v16, v16, s26
	v_lshl_add_u64 v[18:19], v[8:9], 2, v[26:27]
	v_sub_u32_e32 v20, v34, v16
	global_load_dwordx4 v[8:11], v[18:19], off
	global_load_dwordx4 v[12:15], v[18:19], off offset:512
	v_mad_u64_u32 v[18:19], s[8:9], s4, v20, 0
	v_or_b32_e32 v30, 3, v37
	v_mov_b32_e32 v16, v19
	v_add_u32_e32 v32, s14, v30
	v_mad_u64_u32 v[20:21], s[8:9], s7, v20, v[16:17]
	v_mul_hi_u32 v16, v32, s24
	v_add_u32_e32 v16, v32, v16
	v_lshrrev_b32_e32 v16, s25, v16
	v_mul_lo_u32 v16, v16, s26
	v_mov_b32_e32 v19, v20
	v_sub_u32_e32 v31, v32, v16
	v_lshl_add_u64 v[22:23], v[18:19], 2, v[26:27]
	v_mad_u64_u32 v[28:29], s[4:5], s4, v31, 0
	global_load_dwordx4 v[18:21], v[22:23], off
	v_mov_b32_e32 v16, v29
	v_mad_u64_u32 v[44:45], s[4:5], s7, v31, v[16:17]
	v_mov_b32_e32 v29, v44
	v_lshl_add_u64 v[44:45], v[28:29], 2, v[26:27]
	global_load_dwordx4 v[26:29], v[44:45], off
	v_lshlrev_b32_e32 v41, 3, v38
	global_load_dwordx4 v[22:25], v[22:23], off offset:512
	v_lshlrev_b32_e32 v56, 11, v40
	global_load_dwordx4 v[44:47], v[44:45], off offset:512
	v_add_u32_e32 v16, v41, v56
	v_lshlrev_b32_e32 v31, 2, v38
	s_cmp_eq_u64 s[18:19], 0
	s_waitcnt vmcnt(7)
	v_fma_mixlo_f16 v0, s28, v0, 0
	v_fma_mixlo_f16 v1, s28, v1, 0
	;; [unrolled: 1-line block ×4, first 2 shown]
	s_waitcnt vmcnt(6)
	v_fma_mixlo_f16 v4, s28, v4, 0
	v_fma_mixlo_f16 v5, s28, v5, 0
	v_lshlrev_b32_e32 v1, 16, v1
	v_and_b32_e32 v0, 0xffff, v0
	v_lshlrev_b32_e32 v3, 16, v3
	v_and_b32_e32 v2, 0xffff, v2
	v_or_b32_e32 v0, v1, v0
	v_or3_b32 v1, v3, v2, 0
	v_lshlrev_b32_e32 v2, 16, v5
	v_and_b32_e32 v3, 0xffff, v4
	v_or_b32_e32 v2, v2, v3
	v_fma_mixlo_f16 v3, s28, v6, 0
	v_fma_mixlo_f16 v4, s28, v7, 0
	v_lshlrev_b32_e32 v4, 16, v4
	v_and_b32_e32 v3, 0xffff, v3
	v_or3_b32 v0, 0, 0, v0
	v_or3_b32 v3, v4, v3, 0
	;; [unrolled: 1-line block ×3, first 2 shown]
	ds_write2_b64 v16, v[0:1], v[2:3] offset1:32
	s_waitcnt vmcnt(5)
	v_fma_mixlo_f16 v0, s28, v8, 0
	v_fma_mixlo_f16 v1, s28, v9, 0
	v_lshlrev_b32_e32 v1, 16, v1
	v_and_b32_e32 v0, 0xffff, v0
	v_or_b32_e32 v0, v1, v0
	v_fma_mixlo_f16 v1, s28, v10, 0
	v_fma_mixlo_f16 v2, s28, v11, 0
	v_lshlrev_b32_e32 v2, 16, v2
	v_and_b32_e32 v1, 0xffff, v1
	v_or3_b32 v1, v2, v1, 0
	s_waitcnt vmcnt(4)
	v_fma_mixlo_f16 v2, s28, v12, 0
	v_fma_mixlo_f16 v3, s28, v13, 0
	v_lshlrev_b32_e32 v3, 16, v3
	v_and_b32_e32 v2, 0xffff, v2
	v_or_b32_e32 v2, v3, v2
	v_fma_mixlo_f16 v3, s28, v14, 0
	v_fma_mixlo_f16 v5, s28, v15, 0
	v_lshlrev_b32_e32 v5, 16, v5
	v_and_b32_e32 v3, 0xffff, v3
	v_lshl_add_u32 v4, v35, 9, v41
	v_or3_b32 v0, 0, 0, v0
	v_or3_b32 v3, v5, v3, 0
	v_or3_b32 v2, 0, 0, v2
	ds_write2_b64 v4, v[0:1], v[2:3] offset1:32
	s_waitcnt vmcnt(3)
	v_fma_mixlo_f16 v0, s28, v18, 0
	v_fma_mixlo_f16 v1, s28, v19, 0
	v_lshlrev_b32_e32 v1, 16, v1
	v_and_b32_e32 v0, 0xffff, v0
	v_or_b32_e32 v0, v1, v0
	v_fma_mixlo_f16 v1, s28, v20, 0
	v_fma_mixlo_f16 v2, s28, v21, 0
	v_lshlrev_b32_e32 v2, 16, v2
	v_and_b32_e32 v1, 0xffff, v1
	v_or3_b32 v1, v2, v1, 0
	s_waitcnt vmcnt(1)
	v_fma_mixlo_f16 v2, s28, v22, 0
	v_fma_mixlo_f16 v3, s28, v23, 0
	v_lshlrev_b32_e32 v3, 16, v3
	v_and_b32_e32 v2, 0xffff, v2
	v_or_b32_e32 v2, v3, v2
	v_fma_mixlo_f16 v3, s28, v24, 0
	v_fma_mixlo_f16 v5, s28, v25, 0
	v_lshlrev_b32_e32 v5, 16, v5
	v_and_b32_e32 v3, 0xffff, v3
	v_lshl_add_u32 v4, v33, 9, v41
	v_or3_b32 v0, 0, 0, v0
	v_or3_b32 v3, v5, v3, 0
	;; [unrolled: 1-line block ×3, first 2 shown]
	ds_write2_b64 v4, v[0:1], v[2:3] offset1:32
	v_fma_mixlo_f16 v0, s28, v26, 0
	v_fma_mixlo_f16 v1, s28, v27, 0
	v_lshlrev_b32_e32 v1, 16, v1
	v_and_b32_e32 v0, 0xffff, v0
	v_or_b32_e32 v0, v1, v0
	v_fma_mixlo_f16 v1, s28, v28, 0
	v_fma_mixlo_f16 v2, s28, v29, 0
	v_lshlrev_b32_e32 v2, 16, v2
	v_and_b32_e32 v1, 0xffff, v1
	v_or3_b32 v1, v2, v1, 0
	s_waitcnt vmcnt(0)
	v_fma_mixlo_f16 v2, s28, v44, 0
	v_fma_mixlo_f16 v3, s28, v45, 0
	v_lshlrev_b32_e32 v3, 16, v3
	v_and_b32_e32 v2, 0xffff, v2
	v_or_b32_e32 v2, v3, v2
	v_fma_mixlo_f16 v3, s28, v46, 0
	v_fma_mixlo_f16 v5, s28, v47, 0
	v_lshlrev_b32_e32 v5, 16, v5
	v_and_b32_e32 v3, 0xffff, v3
	v_lshl_add_u32 v4, v30, 9, v41
	v_or3_b32 v0, 0, 0, v0
	v_or3_b32 v3, v5, v3, 0
	;; [unrolled: 1-line block ×3, first 2 shown]
	ds_write2_b64 v4, v[0:1], v[2:3] offset1:32
	s_waitcnt lgkmcnt(0)
	s_barrier
	s_cbranch_scc1 .LBB42_6
; %bb.5:
	s_load_dword s4, s[0:1], 0xd0
	s_mov_b32 s5, 0
	s_waitcnt lgkmcnt(0)
	s_mul_i32 s4, s4, s33
	s_add_i32 s4, s4, s2
	s_lshl_b64 s[4:5], s[4:5], 2
	s_add_u32 s4, s18, s4
	s_addc_u32 s5, s19, s5
	s_load_dword s38, s[4:5], 0x0
.LBB42_6:
	s_nop 0
	s_load_dwordx2 s[4:5], s[0:1], 0x8c
	s_load_dwordx4 s[28:31], s[0:1], 0x98
	s_load_dwordx2 s[44:45], s[0:1], 0xa8
	s_ashr_i32 s15, s41, 1
	v_lshrrev_b32_e32 v5, 4, v38
	s_waitcnt lgkmcnt(0)
	s_ashr_i32 s8, s4, 2
	s_ashr_i32 s4, s33, 31
	s_mul_hi_u32 s7, s28, s33
	s_mul_i32 s9, s28, s4
	s_add_i32 s7, s7, s9
	s_mul_i32 s9, s29, s33
	s_ashr_i32 s2, s30, 2
	s_add_i32 s7, s7, s9
	s_mul_i32 s9, s28, s33
	s_add_u32 s9, s10, s9
	s_mul_i32 s10, s40, s39
	s_addc_u32 s7, s11, s7
	s_sub_i32 s10, s42, s10
	s_xor_b32 s6, s35, s6
	s_add_i32 s11, s40, 1
	s_sub_i32 s18, s10, s39
	s_cmp_ge_u32 s10, s39
	s_cselect_b32 s11, s11, s40
	s_cselect_b32 s10, s18, s10
	s_add_i32 s18, s11, 1
	s_cmp_ge_u32 s10, s39
	s_cselect_b32 s10, s18, s11
	s_xor_b32 s10, s10, s6
	s_sub_i32 s6, s10, s6
	s_mul_i32 s5, s6, s5
	s_ashr_i32 s10, s5, 31
	s_add_u32 s9, s9, s5
	s_mul_hi_u32 s5, s44, s33
	s_mul_i32 s4, s44, s4
	s_addc_u32 s18, s7, s10
	s_add_i32 s4, s5, s4
	s_mul_i32 s5, s45, s33
	s_add_i32 s4, s4, s5
	s_mul_i32 s5, s44, s33
	s_add_u32 s5, s12, s5
	s_mul_i32 s6, s6, s31
	s_addc_u32 s4, s13, s4
	s_ashr_i32 s7, s6, 31
	s_add_u32 s10, s5, s6
	s_addc_u32 s11, s4, s7
	s_lshl_b32 s12, s3, 5
	s_sub_i32 s13, s38, 32
	s_cmp_ge_i32 s12, s13
	v_and_b32_e32 v4, 60, v31
	v_lshlrev_b32_e32 v20, 2, v31
	v_mul_lo_u32 v22, s2, v40
	v_mbcnt_lo_u32_b32 v58, -1, 0
	s_cbranch_scc1 .LBB42_19
; %bb.7:
	v_lshl_add_u32 v0, v40, 1, v5
	v_lshlrev_b32_e32 v1, 2, v4
	s_movk_i32 s4, 0x110
	v_mad_u32_u24 v1, v0, s4, v1
	v_mul_lo_u32 v6, s8, v0
	v_mov_b32_e32 v0, 0x4000
	v_mad_u32_u24 v26, v38, s4, v0
	v_or_b32_e32 v0, 1, v39
	v_add_u32_e32 v24, 0x4000, v1
	v_add_u32_e32 v25, 0x5100, v1
	v_mul_hi_u32 v1, s24, v0
	v_add_u32_e32 v1, v0, v1
	v_lshrrev_b32_e32 v1, s25, v1
	v_mul_lo_u32 v1, v1, s26
	v_sub_u32_e32 v0, v0, v1
	v_mul_lo_u32 v28, v0, s15
	v_or_b32_e32 v0, 2, v39
	v_mul_hi_u32 v1, s24, v0
	v_add_u32_e32 v1, v0, v1
	v_lshrrev_b32_e32 v1, s25, v1
	v_mul_lo_u32 v1, v1, s26
	v_sub_u32_e32 v0, v0, v1
	v_mul_lo_u32 v29, v0, s15
	v_or_b32_e32 v0, 3, v39
	v_mul_hi_u32 v1, s24, v0
	v_add_u32_e32 v1, v0, v1
	v_lshrrev_b32_e32 v1, s25, v1
	v_mul_lo_u32 v1, v1, s26
	v_sub_u32_e32 v0, v0, v1
	v_mul_lo_u32 v62, v0, s15
	v_mov_b32_e32 v0, 0x6200
	s_cmp_lg_u64 s[36:37], 0
	v_lshl_add_u32 v63, v40, 8, v0
	v_lshl_add_u32 v0, v40, 9, v20
	s_cselect_b64 s[4:5], -1, 0
	v_add_u32_e32 v64, 0x4000, v0
	v_add_u32_e32 v65, 0x5000, v0
	v_lshl_add_u32 v0, s2, 3, v22
	v_mov_b32_e32 v21, 0
	v_lshl_add_u32 v8, s8, 4, v6
	v_ashrrev_i32_e32 v23, 31, v22
	v_ashrrev_i32_e32 v1, 31, v0
	s_add_u32 s6, s0, 0xd0
	v_cndmask_b32_e64 v2, 0, 1, s[4:5]
	v_ashrrev_i32_e32 v7, 31, v6
	v_ashrrev_i32_e32 v9, 31, v8
	v_mul_lo_u32 v27, v48, s15
	s_addc_u32 s7, s1, 0
	v_mov_b32_e32 v70, 0xfeffffff
	v_lshlrev_b32_e32 v10, 2, v4
	v_mov_b32_e32 v11, v21
	s_mov_b32 s19, 0x3fb8aa3b
	s_mov_b32 s28, 0xc2ce8ed0
	s_mov_b32 s29, 0x42b17218
	s_mov_b32 s30, 0x10001
	v_lshlrev_b64 v[12:13], 2, v[22:23]
	v_lshlrev_b64 v[14:15], 2, v[0:1]
	v_cmp_ne_u32_e64 s[4:5], 1, v2
	v_mbcnt_hi_u32_b32 v23, -1, v58
	v_mov_b32_e32 v66, 0x7f800000
	v_mov_b32_e32 v46, v21
	;; [unrolled: 1-line block ×24, first 2 shown]
.LBB42_8:                               ; =>This Inner Loop Header: Depth=1
	s_mul_hi_i32 s41, s12, s8
	s_mul_i32 s40, s12, s8
	s_lshl_b64 s[40:41], s[40:41], 2
	s_add_u32 s40, s9, s40
	s_addc_u32 s41, s18, s41
	v_lshl_add_u64 v[0:1], v[6:7], 2, s[40:41]
	v_lshl_add_u64 v[0:1], v[0:1], 0, v[10:11]
	v_lshl_add_u64 v[2:3], v[8:9], 2, s[40:41]
	v_lshl_add_u64 v[2:3], v[2:3], 0, v[10:11]
	global_load_dwordx4 v[76:79], v[0:1], off
	global_load_dwordx4 v[80:83], v[2:3], off
	v_mov_b32_e32 v74, 0
	v_mov_b32_e32 v73, 0
	;; [unrolled: 1-line block ×4, first 2 shown]
	s_and_b64 vcc, exec, s[4:5]
	s_waitcnt vmcnt(1)
	ds_write_b128 v24, v[76:79]
	s_waitcnt vmcnt(0)
	ds_write_b128 v25, v[80:83]
	s_waitcnt lgkmcnt(0)
	s_barrier
	ds_read_b128 v[76:79], v26
	ds_read_b128 v[80:83], v56
	ds_read_b128 v[84:87], v56 offset:512
	ds_read_b128 v[88:91], v56 offset:1024
	;; [unrolled: 1-line block ×3, first 2 shown]
	s_waitcnt lgkmcnt(3)
	;;#ASMSTART
	v_dot2_f32_f16 v74, v76, v80, v74
	;;#ASMEND
	s_nop 0
	;;#ASMSTART
	v_dot2_f32_f16 v74, v77, v81, v74
	;;#ASMEND
	s_nop 0
	;;#ASMSTART
	v_dot2_f32_f16 v74, v78, v82, v74
	;;#ASMEND
	s_nop 0
	;;#ASMSTART
	v_dot2_f32_f16 v74, v79, v83, v74
	;;#ASMEND
	s_waitcnt lgkmcnt(2)
	;;#ASMSTART
	v_dot2_f32_f16 v73, v76, v84, v73
	;;#ASMEND
	s_nop 0
	;;#ASMSTART
	v_dot2_f32_f16 v73, v77, v85, v73
	;;#ASMEND
	s_nop 0
	;;#ASMSTART
	v_dot2_f32_f16 v73, v78, v86, v73
	;;#ASMEND
	s_nop 0
	;;#ASMSTART
	v_dot2_f32_f16 v73, v79, v87, v73
	;;#ASMEND
	;; [unrolled: 16-line block ×4, first 2 shown]
	ds_read_b128 v[76:79], v26 offset:16
	ds_read_b128 v[80:83], v56 offset:16
	;; [unrolled: 1-line block ×5, first 2 shown]
	s_waitcnt lgkmcnt(3)
	;;#ASMSTART
	v_dot2_f32_f16 v74, v76, v80, v74
	;;#ASMEND
	s_nop 0
	;;#ASMSTART
	v_dot2_f32_f16 v74, v77, v81, v74
	;;#ASMEND
	s_nop 0
	;;#ASMSTART
	v_dot2_f32_f16 v74, v78, v82, v74
	;;#ASMEND
	s_nop 0
	;;#ASMSTART
	v_dot2_f32_f16 v74, v79, v83, v74
	;;#ASMEND
	s_waitcnt lgkmcnt(2)
	;;#ASMSTART
	v_dot2_f32_f16 v73, v76, v84, v73
	;;#ASMEND
	s_nop 0
	;;#ASMSTART
	v_dot2_f32_f16 v73, v77, v85, v73
	;;#ASMEND
	s_nop 0
	;;#ASMSTART
	v_dot2_f32_f16 v73, v78, v86, v73
	;;#ASMEND
	s_nop 0
	;;#ASMSTART
	v_dot2_f32_f16 v73, v79, v87, v73
	;;#ASMEND
	;; [unrolled: 16-line block ×4, first 2 shown]
	ds_read_b128 v[76:79], v26 offset:32
	ds_read_b128 v[80:83], v56 offset:32
	;; [unrolled: 1-line block ×5, first 2 shown]
	s_waitcnt lgkmcnt(3)
	;;#ASMSTART
	v_dot2_f32_f16 v74, v76, v80, v74
	;;#ASMEND
	s_nop 0
	;;#ASMSTART
	v_dot2_f32_f16 v74, v77, v81, v74
	;;#ASMEND
	s_nop 0
	;;#ASMSTART
	v_dot2_f32_f16 v74, v78, v82, v74
	;;#ASMEND
	s_nop 0
	;;#ASMSTART
	v_dot2_f32_f16 v74, v79, v83, v74
	;;#ASMEND
	s_waitcnt lgkmcnt(2)
	;;#ASMSTART
	v_dot2_f32_f16 v73, v76, v84, v73
	;;#ASMEND
	s_nop 0
	;;#ASMSTART
	v_dot2_f32_f16 v73, v77, v85, v73
	;;#ASMEND
	s_nop 0
	;;#ASMSTART
	v_dot2_f32_f16 v73, v78, v86, v73
	;;#ASMEND
	s_nop 0
	;;#ASMSTART
	v_dot2_f32_f16 v73, v79, v87, v73
	;;#ASMEND
	;; [unrolled: 16-line block ×4, first 2 shown]
	ds_read_b128 v[76:79], v26 offset:48
	ds_read_b128 v[80:83], v56 offset:48
	;; [unrolled: 1-line block ×5, first 2 shown]
	s_waitcnt lgkmcnt(3)
	;;#ASMSTART
	v_dot2_f32_f16 v74, v76, v80, v74
	;;#ASMEND
	s_nop 0
	;;#ASMSTART
	v_dot2_f32_f16 v74, v77, v81, v74
	;;#ASMEND
	s_nop 0
	;;#ASMSTART
	v_dot2_f32_f16 v74, v78, v82, v74
	;;#ASMEND
	s_nop 0
	;;#ASMSTART
	v_dot2_f32_f16 v74, v79, v83, v74
	;;#ASMEND
	s_waitcnt lgkmcnt(2)
	;;#ASMSTART
	v_dot2_f32_f16 v73, v76, v84, v73
	;;#ASMEND
	s_nop 0
	;;#ASMSTART
	v_dot2_f32_f16 v73, v77, v85, v73
	;;#ASMEND
	s_nop 0
	;;#ASMSTART
	v_dot2_f32_f16 v73, v78, v86, v73
	;;#ASMEND
	s_nop 0
	;;#ASMSTART
	v_dot2_f32_f16 v73, v79, v87, v73
	;;#ASMEND
	;; [unrolled: 16-line block ×4, first 2 shown]
	ds_read_b128 v[76:79], v26 offset:64
	ds_read_b128 v[80:83], v56 offset:64
	;; [unrolled: 1-line block ×5, first 2 shown]
	s_waitcnt lgkmcnt(3)
	;;#ASMSTART
	v_dot2_f32_f16 v74, v76, v80, v74
	;;#ASMEND
	s_nop 0
	;;#ASMSTART
	v_dot2_f32_f16 v74, v77, v81, v74
	;;#ASMEND
	s_nop 0
	;;#ASMSTART
	v_dot2_f32_f16 v74, v78, v82, v74
	;;#ASMEND
	s_nop 0
	;;#ASMSTART
	v_dot2_f32_f16 v74, v79, v83, v74
	;;#ASMEND
	s_waitcnt lgkmcnt(2)
	;;#ASMSTART
	v_dot2_f32_f16 v73, v76, v84, v73
	;;#ASMEND
	s_nop 0
	;;#ASMSTART
	v_dot2_f32_f16 v73, v77, v85, v73
	;;#ASMEND
	s_nop 0
	;;#ASMSTART
	v_dot2_f32_f16 v73, v78, v86, v73
	;;#ASMEND
	s_nop 0
	;;#ASMSTART
	v_dot2_f32_f16 v73, v79, v87, v73
	;;#ASMEND
	s_waitcnt lgkmcnt(1)
	;;#ASMSTART
	v_dot2_f32_f16 v72, v76, v88, v72
	;;#ASMEND
	s_nop 0
	;;#ASMSTART
	v_dot2_f32_f16 v72, v77, v89, v72
	;;#ASMEND
	s_nop 0
	;;#ASMSTART
	v_dot2_f32_f16 v72, v78, v90, v72
	;;#ASMEND
	s_nop 0
	;;#ASMSTART
	v_dot2_f32_f16 v72, v79, v91, v72
	;;#ASMEND
	s_waitcnt lgkmcnt(0)
	;;#ASMSTART
	v_dot2_f32_f16 v71, v76, v92, v71
	;;#ASMEND
	s_nop 0
	;;#ASMSTART
	v_dot2_f32_f16 v71, v77, v93, v71
	;;#ASMEND
	s_nop 0
	;;#ASMSTART
	v_dot2_f32_f16 v71, v78, v94, v71
	;;#ASMEND
	s_nop 0
	;;#ASMSTART
	v_dot2_f32_f16 v71, v79, v95, v71
	;;#ASMEND
	ds_read_b128 v[76:79], v26 offset:80
	ds_read_b128 v[80:83], v56 offset:80
	;; [unrolled: 1-line block ×5, first 2 shown]
	s_waitcnt lgkmcnt(3)
	;;#ASMSTART
	v_dot2_f32_f16 v74, v76, v80, v74
	;;#ASMEND
	s_nop 0
	;;#ASMSTART
	v_dot2_f32_f16 v74, v77, v81, v74
	;;#ASMEND
	s_nop 0
	;;#ASMSTART
	v_dot2_f32_f16 v74, v78, v82, v74
	;;#ASMEND
	s_nop 0
	;;#ASMSTART
	v_dot2_f32_f16 v74, v79, v83, v74
	;;#ASMEND
	s_waitcnt lgkmcnt(2)
	;;#ASMSTART
	v_dot2_f32_f16 v73, v76, v84, v73
	;;#ASMEND
	s_nop 0
	;;#ASMSTART
	v_dot2_f32_f16 v73, v77, v85, v73
	;;#ASMEND
	s_nop 0
	;;#ASMSTART
	v_dot2_f32_f16 v73, v78, v86, v73
	;;#ASMEND
	s_nop 0
	;;#ASMSTART
	v_dot2_f32_f16 v73, v79, v87, v73
	;;#ASMEND
	;; [unrolled: 16-line block ×4, first 2 shown]
	ds_read_b128 v[76:79], v26 offset:96
	ds_read_b128 v[80:83], v56 offset:96
	;; [unrolled: 1-line block ×5, first 2 shown]
	s_waitcnt lgkmcnt(3)
	;;#ASMSTART
	v_dot2_f32_f16 v74, v76, v80, v74
	;;#ASMEND
	s_nop 0
	;;#ASMSTART
	v_dot2_f32_f16 v74, v77, v81, v74
	;;#ASMEND
	s_nop 0
	;;#ASMSTART
	v_dot2_f32_f16 v74, v78, v82, v74
	;;#ASMEND
	s_nop 0
	;;#ASMSTART
	v_dot2_f32_f16 v74, v79, v83, v74
	;;#ASMEND
	s_waitcnt lgkmcnt(2)
	;;#ASMSTART
	v_dot2_f32_f16 v73, v76, v84, v73
	;;#ASMEND
	s_nop 0
	;;#ASMSTART
	v_dot2_f32_f16 v73, v77, v85, v73
	;;#ASMEND
	s_nop 0
	;;#ASMSTART
	v_dot2_f32_f16 v73, v78, v86, v73
	;;#ASMEND
	s_nop 0
	;;#ASMSTART
	v_dot2_f32_f16 v73, v79, v87, v73
	;;#ASMEND
	;; [unrolled: 16-line block ×4, first 2 shown]
	ds_read_b128 v[76:79], v26 offset:112
	ds_read_b128 v[80:83], v56 offset:112
	;; [unrolled: 1-line block ×5, first 2 shown]
	s_waitcnt lgkmcnt(3)
	;;#ASMSTART
	v_dot2_f32_f16 v74, v76, v80, v74
	;;#ASMEND
	s_nop 0
	;;#ASMSTART
	v_dot2_f32_f16 v74, v77, v81, v74
	;;#ASMEND
	s_nop 0
	;;#ASMSTART
	v_dot2_f32_f16 v74, v78, v82, v74
	;;#ASMEND
	s_nop 0
	;;#ASMSTART
	v_dot2_f32_f16 v74, v79, v83, v74
	;;#ASMEND
	s_waitcnt lgkmcnt(2)
	;;#ASMSTART
	v_dot2_f32_f16 v73, v76, v84, v73
	;;#ASMEND
	s_nop 0
	;;#ASMSTART
	v_dot2_f32_f16 v73, v77, v85, v73
	;;#ASMEND
	s_nop 0
	;;#ASMSTART
	v_dot2_f32_f16 v73, v78, v86, v73
	;;#ASMEND
	s_nop 0
	;;#ASMSTART
	v_dot2_f32_f16 v73, v79, v87, v73
	;;#ASMEND
	;; [unrolled: 16-line block ×4, first 2 shown]
	ds_read_b128 v[76:79], v26 offset:128
	ds_read_b128 v[80:83], v56 offset:128
	;; [unrolled: 1-line block ×5, first 2 shown]
	s_waitcnt lgkmcnt(3)
	;;#ASMSTART
	v_dot2_f32_f16 v74, v76, v80, v74
	;;#ASMEND
	s_nop 0
	;;#ASMSTART
	v_dot2_f32_f16 v74, v77, v81, v74
	;;#ASMEND
	s_nop 0
	;;#ASMSTART
	v_dot2_f32_f16 v74, v78, v82, v74
	;;#ASMEND
	s_nop 0
	;;#ASMSTART
	v_dot2_f32_f16 v74, v79, v83, v74
	;;#ASMEND
	s_waitcnt lgkmcnt(2)
	;;#ASMSTART
	v_dot2_f32_f16 v73, v76, v84, v73
	;;#ASMEND
	s_nop 0
	;;#ASMSTART
	v_dot2_f32_f16 v73, v77, v85, v73
	;;#ASMEND
	s_nop 0
	;;#ASMSTART
	v_dot2_f32_f16 v73, v78, v86, v73
	;;#ASMEND
	s_nop 0
	;;#ASMSTART
	v_dot2_f32_f16 v73, v79, v87, v73
	;;#ASMEND
	;; [unrolled: 16-line block ×4, first 2 shown]
	ds_read_b128 v[76:79], v26 offset:144
	ds_read_b128 v[80:83], v56 offset:144
	;; [unrolled: 1-line block ×5, first 2 shown]
	s_waitcnt lgkmcnt(3)
	;;#ASMSTART
	v_dot2_f32_f16 v74, v76, v80, v74
	;;#ASMEND
	s_nop 0
	;;#ASMSTART
	v_dot2_f32_f16 v74, v77, v81, v74
	;;#ASMEND
	s_nop 0
	;;#ASMSTART
	v_dot2_f32_f16 v74, v78, v82, v74
	;;#ASMEND
	s_nop 0
	;;#ASMSTART
	v_dot2_f32_f16 v74, v79, v83, v74
	;;#ASMEND
	s_waitcnt lgkmcnt(2)
	;;#ASMSTART
	v_dot2_f32_f16 v73, v76, v84, v73
	;;#ASMEND
	s_nop 0
	;;#ASMSTART
	v_dot2_f32_f16 v73, v77, v85, v73
	;;#ASMEND
	s_nop 0
	;;#ASMSTART
	v_dot2_f32_f16 v73, v78, v86, v73
	;;#ASMEND
	s_nop 0
	;;#ASMSTART
	v_dot2_f32_f16 v73, v79, v87, v73
	;;#ASMEND
	;; [unrolled: 16-line block ×4, first 2 shown]
	ds_read_b128 v[76:79], v26 offset:160
	ds_read_b128 v[80:83], v56 offset:160
	;; [unrolled: 1-line block ×5, first 2 shown]
	s_waitcnt lgkmcnt(3)
	;;#ASMSTART
	v_dot2_f32_f16 v74, v76, v80, v74
	;;#ASMEND
	s_nop 0
	;;#ASMSTART
	v_dot2_f32_f16 v74, v77, v81, v74
	;;#ASMEND
	s_nop 0
	;;#ASMSTART
	v_dot2_f32_f16 v74, v78, v82, v74
	;;#ASMEND
	s_nop 0
	;;#ASMSTART
	v_dot2_f32_f16 v74, v79, v83, v74
	;;#ASMEND
	s_waitcnt lgkmcnt(2)
	;;#ASMSTART
	v_dot2_f32_f16 v73, v76, v84, v73
	;;#ASMEND
	s_nop 0
	;;#ASMSTART
	v_dot2_f32_f16 v73, v77, v85, v73
	;;#ASMEND
	s_nop 0
	;;#ASMSTART
	v_dot2_f32_f16 v73, v78, v86, v73
	;;#ASMEND
	s_nop 0
	;;#ASMSTART
	v_dot2_f32_f16 v73, v79, v87, v73
	;;#ASMEND
	;; [unrolled: 16-line block ×4, first 2 shown]
	ds_read_b128 v[76:79], v26 offset:176
	ds_read_b128 v[80:83], v56 offset:176
	;; [unrolled: 1-line block ×5, first 2 shown]
	s_waitcnt lgkmcnt(3)
	;;#ASMSTART
	v_dot2_f32_f16 v74, v76, v80, v74
	;;#ASMEND
	s_nop 0
	;;#ASMSTART
	v_dot2_f32_f16 v74, v77, v81, v74
	;;#ASMEND
	s_nop 0
	;;#ASMSTART
	v_dot2_f32_f16 v74, v78, v82, v74
	;;#ASMEND
	s_nop 0
	;;#ASMSTART
	v_dot2_f32_f16 v74, v79, v83, v74
	;;#ASMEND
	s_waitcnt lgkmcnt(2)
	;;#ASMSTART
	v_dot2_f32_f16 v73, v76, v84, v73
	;;#ASMEND
	s_nop 0
	;;#ASMSTART
	v_dot2_f32_f16 v73, v77, v85, v73
	;;#ASMEND
	s_nop 0
	;;#ASMSTART
	v_dot2_f32_f16 v73, v78, v86, v73
	;;#ASMEND
	s_nop 0
	;;#ASMSTART
	v_dot2_f32_f16 v73, v79, v87, v73
	;;#ASMEND
	;; [unrolled: 16-line block ×4, first 2 shown]
	ds_read_b128 v[76:79], v26 offset:192
	ds_read_b128 v[80:83], v56 offset:192
	;; [unrolled: 1-line block ×5, first 2 shown]
	s_waitcnt lgkmcnt(3)
	;;#ASMSTART
	v_dot2_f32_f16 v74, v76, v80, v74
	;;#ASMEND
	s_nop 0
	;;#ASMSTART
	v_dot2_f32_f16 v74, v77, v81, v74
	;;#ASMEND
	s_nop 0
	;;#ASMSTART
	v_dot2_f32_f16 v74, v78, v82, v74
	;;#ASMEND
	s_nop 0
	;;#ASMSTART
	v_dot2_f32_f16 v74, v79, v83, v74
	;;#ASMEND
	s_waitcnt lgkmcnt(2)
	;;#ASMSTART
	v_dot2_f32_f16 v73, v76, v84, v73
	;;#ASMEND
	s_nop 0
	;;#ASMSTART
	v_dot2_f32_f16 v73, v77, v85, v73
	;;#ASMEND
	s_nop 0
	;;#ASMSTART
	v_dot2_f32_f16 v73, v78, v86, v73
	;;#ASMEND
	s_nop 0
	;;#ASMSTART
	v_dot2_f32_f16 v73, v79, v87, v73
	;;#ASMEND
	s_waitcnt lgkmcnt(1)
	;;#ASMSTART
	v_dot2_f32_f16 v72, v76, v88, v72
	;;#ASMEND
	s_nop 0
	;;#ASMSTART
	v_dot2_f32_f16 v72, v77, v89, v72
	;;#ASMEND
	s_nop 0
	;;#ASMSTART
	v_dot2_f32_f16 v72, v78, v90, v72
	;;#ASMEND
	s_nop 0
	;;#ASMSTART
	v_dot2_f32_f16 v72, v79, v91, v72
	;;#ASMEND
	s_waitcnt lgkmcnt(0)
	;;#ASMSTART
	v_dot2_f32_f16 v71, v76, v92, v71
	;;#ASMEND
	s_nop 0
	;;#ASMSTART
	v_dot2_f32_f16 v71, v77, v93, v71
	;;#ASMEND
	s_nop 0
	;;#ASMSTART
	v_dot2_f32_f16 v71, v78, v94, v71
	;;#ASMEND
	s_nop 0
	;;#ASMSTART
	v_dot2_f32_f16 v71, v79, v95, v71
	;;#ASMEND
	ds_read_b128 v[76:79], v26 offset:208
	ds_read_b128 v[80:83], v56 offset:208
	;; [unrolled: 1-line block ×5, first 2 shown]
	s_waitcnt lgkmcnt(3)
	;;#ASMSTART
	v_dot2_f32_f16 v74, v76, v80, v74
	;;#ASMEND
	s_nop 0
	;;#ASMSTART
	v_dot2_f32_f16 v74, v77, v81, v74
	;;#ASMEND
	s_nop 0
	;;#ASMSTART
	v_dot2_f32_f16 v74, v78, v82, v74
	;;#ASMEND
	s_nop 0
	;;#ASMSTART
	v_dot2_f32_f16 v74, v79, v83, v74
	;;#ASMEND
	s_waitcnt lgkmcnt(2)
	;;#ASMSTART
	v_dot2_f32_f16 v73, v76, v84, v73
	;;#ASMEND
	s_nop 0
	;;#ASMSTART
	v_dot2_f32_f16 v73, v77, v85, v73
	;;#ASMEND
	s_nop 0
	;;#ASMSTART
	v_dot2_f32_f16 v73, v78, v86, v73
	;;#ASMEND
	s_nop 0
	;;#ASMSTART
	v_dot2_f32_f16 v73, v79, v87, v73
	;;#ASMEND
	;; [unrolled: 16-line block ×4, first 2 shown]
	ds_read_b128 v[76:79], v26 offset:224
	ds_read_b128 v[80:83], v56 offset:224
	;; [unrolled: 1-line block ×5, first 2 shown]
	s_waitcnt lgkmcnt(3)
	;;#ASMSTART
	v_dot2_f32_f16 v74, v76, v80, v74
	;;#ASMEND
	s_nop 0
	;;#ASMSTART
	v_dot2_f32_f16 v74, v77, v81, v74
	;;#ASMEND
	s_nop 0
	;;#ASMSTART
	v_dot2_f32_f16 v74, v78, v82, v74
	;;#ASMEND
	s_nop 0
	;;#ASMSTART
	v_dot2_f32_f16 v74, v79, v83, v74
	;;#ASMEND
	s_waitcnt lgkmcnt(2)
	;;#ASMSTART
	v_dot2_f32_f16 v73, v76, v84, v73
	;;#ASMEND
	s_nop 0
	;;#ASMSTART
	v_dot2_f32_f16 v73, v77, v85, v73
	;;#ASMEND
	s_nop 0
	;;#ASMSTART
	v_dot2_f32_f16 v73, v78, v86, v73
	;;#ASMEND
	s_nop 0
	;;#ASMSTART
	v_dot2_f32_f16 v73, v79, v87, v73
	;;#ASMEND
	s_waitcnt lgkmcnt(1)
	;;#ASMSTART
	v_dot2_f32_f16 v72, v76, v88, v72
	;;#ASMEND
	s_nop 0
	;;#ASMSTART
	v_dot2_f32_f16 v72, v77, v89, v72
	;;#ASMEND
	s_nop 0
	;;#ASMSTART
	v_dot2_f32_f16 v72, v78, v90, v72
	;;#ASMEND
	s_nop 0
	;;#ASMSTART
	v_dot2_f32_f16 v72, v79, v91, v72
	;;#ASMEND
	s_waitcnt lgkmcnt(0)
	;;#ASMSTART
	v_dot2_f32_f16 v71, v76, v92, v71
	;;#ASMEND
	s_nop 0
	;;#ASMSTART
	v_dot2_f32_f16 v71, v77, v93, v71
	;;#ASMEND
	s_nop 0
	;;#ASMSTART
	v_dot2_f32_f16 v71, v78, v94, v71
	;;#ASMEND
	s_nop 0
	;;#ASMSTART
	v_dot2_f32_f16 v71, v79, v95, v71
	;;#ASMEND
	ds_read_b128 v[76:79], v26 offset:240
	ds_read_b128 v[80:83], v56 offset:240
	;; [unrolled: 1-line block ×5, first 2 shown]
	s_waitcnt lgkmcnt(3)
	;;#ASMSTART
	v_dot2_f32_f16 v74, v76, v80, v74
	;;#ASMEND
	s_nop 0
	;;#ASMSTART
	v_dot2_f32_f16 v74, v77, v81, v74
	;;#ASMEND
	s_nop 0
	;;#ASMSTART
	v_dot2_f32_f16 v74, v78, v82, v74
	;;#ASMEND
	s_nop 0
	;;#ASMSTART
	v_dot2_f32_f16 v74, v79, v83, v74
	;;#ASMEND
	s_waitcnt lgkmcnt(2)
	;;#ASMSTART
	v_dot2_f32_f16 v73, v76, v84, v73
	;;#ASMEND
	s_nop 0
	;;#ASMSTART
	v_dot2_f32_f16 v73, v77, v85, v73
	;;#ASMEND
	s_nop 0
	;;#ASMSTART
	v_dot2_f32_f16 v73, v78, v86, v73
	;;#ASMEND
	s_nop 0
	;;#ASMSTART
	v_dot2_f32_f16 v73, v79, v87, v73
	;;#ASMEND
	;; [unrolled: 16-line block ×4, first 2 shown]
	s_barrier
	global_load_dwordx4 v[76:79], v[0:1], off offset:256
	global_load_dwordx4 v[80:83], v[2:3], off offset:256
	s_waitcnt vmcnt(1)
	ds_write_b128 v24, v[76:79]
	s_waitcnt vmcnt(0)
	ds_write_b128 v25, v[80:83]
	s_waitcnt lgkmcnt(0)
	s_barrier
	ds_read_b128 v[0:3], v26
	ds_read_b128 v[76:79], v56 offset:256
	ds_read_b128 v[80:83], v56 offset:768
	;; [unrolled: 1-line block ×4, first 2 shown]
	s_waitcnt lgkmcnt(3)
	;;#ASMSTART
	v_dot2_f32_f16 v74, v0, v76, v74
	;;#ASMEND
	s_nop 0
	;;#ASMSTART
	v_dot2_f32_f16 v74, v1, v77, v74
	;;#ASMEND
	s_nop 0
	;;#ASMSTART
	v_dot2_f32_f16 v74, v2, v78, v74
	;;#ASMEND
	s_nop 0
	;;#ASMSTART
	v_dot2_f32_f16 v74, v3, v79, v74
	;;#ASMEND
	s_waitcnt lgkmcnt(2)
	;;#ASMSTART
	v_dot2_f32_f16 v73, v0, v80, v73
	;;#ASMEND
	s_nop 0
	;;#ASMSTART
	v_dot2_f32_f16 v73, v1, v81, v73
	;;#ASMEND
	s_nop 0
	;;#ASMSTART
	v_dot2_f32_f16 v73, v2, v82, v73
	;;#ASMEND
	s_nop 0
	;;#ASMSTART
	v_dot2_f32_f16 v73, v3, v83, v73
	;;#ASMEND
	;; [unrolled: 16-line block ×4, first 2 shown]
	ds_read_b128 v[0:3], v26 offset:16
	ds_read_b128 v[76:79], v56 offset:272
	;; [unrolled: 1-line block ×5, first 2 shown]
	s_waitcnt lgkmcnt(3)
	;;#ASMSTART
	v_dot2_f32_f16 v74, v0, v76, v74
	;;#ASMEND
	s_nop 0
	;;#ASMSTART
	v_dot2_f32_f16 v74, v1, v77, v74
	;;#ASMEND
	s_nop 0
	;;#ASMSTART
	v_dot2_f32_f16 v74, v2, v78, v74
	;;#ASMEND
	s_nop 0
	;;#ASMSTART
	v_dot2_f32_f16 v74, v3, v79, v74
	;;#ASMEND
	s_waitcnt lgkmcnt(2)
	;;#ASMSTART
	v_dot2_f32_f16 v73, v0, v80, v73
	;;#ASMEND
	s_nop 0
	;;#ASMSTART
	v_dot2_f32_f16 v73, v1, v81, v73
	;;#ASMEND
	s_nop 0
	;;#ASMSTART
	v_dot2_f32_f16 v73, v2, v82, v73
	;;#ASMEND
	s_nop 0
	;;#ASMSTART
	v_dot2_f32_f16 v73, v3, v83, v73
	;;#ASMEND
	;; [unrolled: 16-line block ×4, first 2 shown]
	ds_read_b128 v[0:3], v26 offset:32
	ds_read_b128 v[76:79], v56 offset:288
	ds_read_b128 v[80:83], v56 offset:800
	ds_read_b128 v[84:87], v56 offset:1312
	ds_read_b128 v[88:91], v56 offset:1824
	s_waitcnt lgkmcnt(3)
	;;#ASMSTART
	v_dot2_f32_f16 v74, v0, v76, v74
	;;#ASMEND
	s_nop 0
	;;#ASMSTART
	v_dot2_f32_f16 v74, v1, v77, v74
	;;#ASMEND
	s_nop 0
	;;#ASMSTART
	v_dot2_f32_f16 v74, v2, v78, v74
	;;#ASMEND
	s_nop 0
	;;#ASMSTART
	v_dot2_f32_f16 v74, v3, v79, v74
	;;#ASMEND
	s_waitcnt lgkmcnt(2)
	;;#ASMSTART
	v_dot2_f32_f16 v73, v0, v80, v73
	;;#ASMEND
	s_nop 0
	;;#ASMSTART
	v_dot2_f32_f16 v73, v1, v81, v73
	;;#ASMEND
	s_nop 0
	;;#ASMSTART
	v_dot2_f32_f16 v73, v2, v82, v73
	;;#ASMEND
	s_nop 0
	;;#ASMSTART
	v_dot2_f32_f16 v73, v3, v83, v73
	;;#ASMEND
	;; [unrolled: 16-line block ×4, first 2 shown]
	ds_read_b128 v[0:3], v26 offset:48
	ds_read_b128 v[76:79], v56 offset:304
	;; [unrolled: 1-line block ×5, first 2 shown]
	s_waitcnt lgkmcnt(3)
	;;#ASMSTART
	v_dot2_f32_f16 v74, v0, v76, v74
	;;#ASMEND
	s_nop 0
	;;#ASMSTART
	v_dot2_f32_f16 v74, v1, v77, v74
	;;#ASMEND
	s_nop 0
	;;#ASMSTART
	v_dot2_f32_f16 v74, v2, v78, v74
	;;#ASMEND
	s_nop 0
	;;#ASMSTART
	v_dot2_f32_f16 v74, v3, v79, v74
	;;#ASMEND
	s_waitcnt lgkmcnt(2)
	;;#ASMSTART
	v_dot2_f32_f16 v73, v0, v80, v73
	;;#ASMEND
	s_nop 0
	;;#ASMSTART
	v_dot2_f32_f16 v73, v1, v81, v73
	;;#ASMEND
	s_nop 0
	;;#ASMSTART
	v_dot2_f32_f16 v73, v2, v82, v73
	;;#ASMEND
	s_nop 0
	;;#ASMSTART
	v_dot2_f32_f16 v73, v3, v83, v73
	;;#ASMEND
	;; [unrolled: 16-line block ×4, first 2 shown]
	ds_read_b128 v[0:3], v26 offset:64
	ds_read_b128 v[76:79], v56 offset:320
	;; [unrolled: 1-line block ×5, first 2 shown]
	s_waitcnt lgkmcnt(3)
	;;#ASMSTART
	v_dot2_f32_f16 v74, v0, v76, v74
	;;#ASMEND
	s_nop 0
	;;#ASMSTART
	v_dot2_f32_f16 v74, v1, v77, v74
	;;#ASMEND
	s_nop 0
	;;#ASMSTART
	v_dot2_f32_f16 v74, v2, v78, v74
	;;#ASMEND
	s_nop 0
	;;#ASMSTART
	v_dot2_f32_f16 v74, v3, v79, v74
	;;#ASMEND
	s_waitcnt lgkmcnt(2)
	;;#ASMSTART
	v_dot2_f32_f16 v73, v0, v80, v73
	;;#ASMEND
	s_nop 0
	;;#ASMSTART
	v_dot2_f32_f16 v73, v1, v81, v73
	;;#ASMEND
	s_nop 0
	;;#ASMSTART
	v_dot2_f32_f16 v73, v2, v82, v73
	;;#ASMEND
	s_nop 0
	;;#ASMSTART
	v_dot2_f32_f16 v73, v3, v83, v73
	;;#ASMEND
	;; [unrolled: 16-line block ×4, first 2 shown]
	ds_read_b128 v[0:3], v26 offset:80
	ds_read_b128 v[76:79], v56 offset:336
	ds_read_b128 v[80:83], v56 offset:848
	ds_read_b128 v[84:87], v56 offset:1360
	ds_read_b128 v[88:91], v56 offset:1872
	s_waitcnt lgkmcnt(3)
	;;#ASMSTART
	v_dot2_f32_f16 v74, v0, v76, v74
	;;#ASMEND
	s_nop 0
	;;#ASMSTART
	v_dot2_f32_f16 v74, v1, v77, v74
	;;#ASMEND
	s_nop 0
	;;#ASMSTART
	v_dot2_f32_f16 v74, v2, v78, v74
	;;#ASMEND
	s_nop 0
	;;#ASMSTART
	v_dot2_f32_f16 v74, v3, v79, v74
	;;#ASMEND
	s_waitcnt lgkmcnt(2)
	;;#ASMSTART
	v_dot2_f32_f16 v73, v0, v80, v73
	;;#ASMEND
	s_nop 0
	;;#ASMSTART
	v_dot2_f32_f16 v73, v1, v81, v73
	;;#ASMEND
	s_nop 0
	;;#ASMSTART
	v_dot2_f32_f16 v73, v2, v82, v73
	;;#ASMEND
	s_nop 0
	;;#ASMSTART
	v_dot2_f32_f16 v73, v3, v83, v73
	;;#ASMEND
	;; [unrolled: 16-line block ×4, first 2 shown]
	ds_read_b128 v[0:3], v26 offset:96
	ds_read_b128 v[76:79], v56 offset:352
	;; [unrolled: 1-line block ×5, first 2 shown]
	s_waitcnt lgkmcnt(3)
	;;#ASMSTART
	v_dot2_f32_f16 v74, v0, v76, v74
	;;#ASMEND
	s_nop 0
	;;#ASMSTART
	v_dot2_f32_f16 v74, v1, v77, v74
	;;#ASMEND
	s_nop 0
	;;#ASMSTART
	v_dot2_f32_f16 v74, v2, v78, v74
	;;#ASMEND
	s_nop 0
	;;#ASMSTART
	v_dot2_f32_f16 v74, v3, v79, v74
	;;#ASMEND
	s_waitcnt lgkmcnt(2)
	;;#ASMSTART
	v_dot2_f32_f16 v73, v0, v80, v73
	;;#ASMEND
	s_nop 0
	;;#ASMSTART
	v_dot2_f32_f16 v73, v1, v81, v73
	;;#ASMEND
	s_nop 0
	;;#ASMSTART
	v_dot2_f32_f16 v73, v2, v82, v73
	;;#ASMEND
	s_nop 0
	;;#ASMSTART
	v_dot2_f32_f16 v73, v3, v83, v73
	;;#ASMEND
	;; [unrolled: 16-line block ×4, first 2 shown]
	ds_read_b128 v[0:3], v26 offset:112
	ds_read_b128 v[76:79], v56 offset:368
	;; [unrolled: 1-line block ×5, first 2 shown]
	s_waitcnt lgkmcnt(3)
	;;#ASMSTART
	v_dot2_f32_f16 v74, v0, v76, v74
	;;#ASMEND
	s_nop 0
	;;#ASMSTART
	v_dot2_f32_f16 v74, v1, v77, v74
	;;#ASMEND
	s_nop 0
	;;#ASMSTART
	v_dot2_f32_f16 v74, v2, v78, v74
	;;#ASMEND
	s_nop 0
	;;#ASMSTART
	v_dot2_f32_f16 v74, v3, v79, v74
	;;#ASMEND
	s_waitcnt lgkmcnt(2)
	;;#ASMSTART
	v_dot2_f32_f16 v73, v0, v80, v73
	;;#ASMEND
	s_nop 0
	;;#ASMSTART
	v_dot2_f32_f16 v73, v1, v81, v73
	;;#ASMEND
	s_nop 0
	;;#ASMSTART
	v_dot2_f32_f16 v73, v2, v82, v73
	;;#ASMEND
	s_nop 0
	;;#ASMSTART
	v_dot2_f32_f16 v73, v3, v83, v73
	;;#ASMEND
	;; [unrolled: 16-line block ×4, first 2 shown]
	ds_read_b128 v[0:3], v26 offset:128
	ds_read_b128 v[76:79], v56 offset:384
	;; [unrolled: 1-line block ×5, first 2 shown]
	s_waitcnt lgkmcnt(3)
	;;#ASMSTART
	v_dot2_f32_f16 v74, v0, v76, v74
	;;#ASMEND
	s_nop 0
	;;#ASMSTART
	v_dot2_f32_f16 v74, v1, v77, v74
	;;#ASMEND
	s_nop 0
	;;#ASMSTART
	v_dot2_f32_f16 v74, v2, v78, v74
	;;#ASMEND
	s_nop 0
	;;#ASMSTART
	v_dot2_f32_f16 v74, v3, v79, v74
	;;#ASMEND
	s_waitcnt lgkmcnt(2)
	;;#ASMSTART
	v_dot2_f32_f16 v73, v0, v80, v73
	;;#ASMEND
	s_nop 0
	;;#ASMSTART
	v_dot2_f32_f16 v73, v1, v81, v73
	;;#ASMEND
	s_nop 0
	;;#ASMSTART
	v_dot2_f32_f16 v73, v2, v82, v73
	;;#ASMEND
	s_nop 0
	;;#ASMSTART
	v_dot2_f32_f16 v73, v3, v83, v73
	;;#ASMEND
	;; [unrolled: 16-line block ×4, first 2 shown]
	ds_read_b128 v[0:3], v26 offset:144
	ds_read_b128 v[76:79], v56 offset:400
	;; [unrolled: 1-line block ×5, first 2 shown]
	s_waitcnt lgkmcnt(3)
	;;#ASMSTART
	v_dot2_f32_f16 v74, v0, v76, v74
	;;#ASMEND
	s_nop 0
	;;#ASMSTART
	v_dot2_f32_f16 v74, v1, v77, v74
	;;#ASMEND
	s_nop 0
	;;#ASMSTART
	v_dot2_f32_f16 v74, v2, v78, v74
	;;#ASMEND
	s_nop 0
	;;#ASMSTART
	v_dot2_f32_f16 v74, v3, v79, v74
	;;#ASMEND
	s_waitcnt lgkmcnt(2)
	;;#ASMSTART
	v_dot2_f32_f16 v73, v0, v80, v73
	;;#ASMEND
	s_nop 0
	;;#ASMSTART
	v_dot2_f32_f16 v73, v1, v81, v73
	;;#ASMEND
	s_nop 0
	;;#ASMSTART
	v_dot2_f32_f16 v73, v2, v82, v73
	;;#ASMEND
	s_nop 0
	;;#ASMSTART
	v_dot2_f32_f16 v73, v3, v83, v73
	;;#ASMEND
	;; [unrolled: 16-line block ×4, first 2 shown]
	ds_read_b128 v[0:3], v26 offset:160
	ds_read_b128 v[76:79], v56 offset:416
	;; [unrolled: 1-line block ×5, first 2 shown]
	s_waitcnt lgkmcnt(3)
	;;#ASMSTART
	v_dot2_f32_f16 v74, v0, v76, v74
	;;#ASMEND
	s_nop 0
	;;#ASMSTART
	v_dot2_f32_f16 v74, v1, v77, v74
	;;#ASMEND
	s_nop 0
	;;#ASMSTART
	v_dot2_f32_f16 v74, v2, v78, v74
	;;#ASMEND
	s_nop 0
	;;#ASMSTART
	v_dot2_f32_f16 v74, v3, v79, v74
	;;#ASMEND
	s_waitcnt lgkmcnt(2)
	;;#ASMSTART
	v_dot2_f32_f16 v73, v0, v80, v73
	;;#ASMEND
	s_nop 0
	;;#ASMSTART
	v_dot2_f32_f16 v73, v1, v81, v73
	;;#ASMEND
	s_nop 0
	;;#ASMSTART
	v_dot2_f32_f16 v73, v2, v82, v73
	;;#ASMEND
	s_nop 0
	;;#ASMSTART
	v_dot2_f32_f16 v73, v3, v83, v73
	;;#ASMEND
	;; [unrolled: 16-line block ×4, first 2 shown]
	ds_read_b128 v[0:3], v26 offset:176
	ds_read_b128 v[76:79], v56 offset:432
	ds_read_b128 v[80:83], v56 offset:944
	ds_read_b128 v[84:87], v56 offset:1456
	ds_read_b128 v[88:91], v56 offset:1968
	s_waitcnt lgkmcnt(3)
	;;#ASMSTART
	v_dot2_f32_f16 v74, v0, v76, v74
	;;#ASMEND
	s_nop 0
	;;#ASMSTART
	v_dot2_f32_f16 v74, v1, v77, v74
	;;#ASMEND
	s_nop 0
	;;#ASMSTART
	v_dot2_f32_f16 v74, v2, v78, v74
	;;#ASMEND
	s_nop 0
	;;#ASMSTART
	v_dot2_f32_f16 v74, v3, v79, v74
	;;#ASMEND
	s_waitcnt lgkmcnt(2)
	;;#ASMSTART
	v_dot2_f32_f16 v73, v0, v80, v73
	;;#ASMEND
	s_nop 0
	;;#ASMSTART
	v_dot2_f32_f16 v73, v1, v81, v73
	;;#ASMEND
	s_nop 0
	;;#ASMSTART
	v_dot2_f32_f16 v73, v2, v82, v73
	;;#ASMEND
	s_nop 0
	;;#ASMSTART
	v_dot2_f32_f16 v73, v3, v83, v73
	;;#ASMEND
	;; [unrolled: 16-line block ×4, first 2 shown]
	ds_read_b128 v[0:3], v26 offset:192
	ds_read_b128 v[76:79], v56 offset:448
	;; [unrolled: 1-line block ×5, first 2 shown]
	s_waitcnt lgkmcnt(3)
	;;#ASMSTART
	v_dot2_f32_f16 v74, v0, v76, v74
	;;#ASMEND
	s_nop 0
	;;#ASMSTART
	v_dot2_f32_f16 v74, v1, v77, v74
	;;#ASMEND
	s_nop 0
	;;#ASMSTART
	v_dot2_f32_f16 v74, v2, v78, v74
	;;#ASMEND
	s_nop 0
	;;#ASMSTART
	v_dot2_f32_f16 v74, v3, v79, v74
	;;#ASMEND
	s_waitcnt lgkmcnt(2)
	;;#ASMSTART
	v_dot2_f32_f16 v73, v0, v80, v73
	;;#ASMEND
	s_nop 0
	;;#ASMSTART
	v_dot2_f32_f16 v73, v1, v81, v73
	;;#ASMEND
	s_nop 0
	;;#ASMSTART
	v_dot2_f32_f16 v73, v2, v82, v73
	;;#ASMEND
	s_nop 0
	;;#ASMSTART
	v_dot2_f32_f16 v73, v3, v83, v73
	;;#ASMEND
	;; [unrolled: 16-line block ×4, first 2 shown]
	ds_read_b128 v[0:3], v26 offset:208
	ds_read_b128 v[76:79], v56 offset:464
	;; [unrolled: 1-line block ×5, first 2 shown]
	s_waitcnt lgkmcnt(3)
	;;#ASMSTART
	v_dot2_f32_f16 v74, v0, v76, v74
	;;#ASMEND
	s_nop 0
	;;#ASMSTART
	v_dot2_f32_f16 v74, v1, v77, v74
	;;#ASMEND
	s_nop 0
	;;#ASMSTART
	v_dot2_f32_f16 v74, v2, v78, v74
	;;#ASMEND
	s_nop 0
	;;#ASMSTART
	v_dot2_f32_f16 v74, v3, v79, v74
	;;#ASMEND
	s_waitcnt lgkmcnt(2)
	;;#ASMSTART
	v_dot2_f32_f16 v73, v0, v80, v73
	;;#ASMEND
	s_nop 0
	;;#ASMSTART
	v_dot2_f32_f16 v73, v1, v81, v73
	;;#ASMEND
	s_nop 0
	;;#ASMSTART
	v_dot2_f32_f16 v73, v2, v82, v73
	;;#ASMEND
	s_nop 0
	;;#ASMSTART
	v_dot2_f32_f16 v73, v3, v83, v73
	;;#ASMEND
	;; [unrolled: 16-line block ×3, first 2 shown]
	s_waitcnt lgkmcnt(0)
	;;#ASMSTART
	v_dot2_f32_f16 v71, v0, v88, v71
	;;#ASMEND
	v_add_u32_e32 v0, s12, v38
	;;#ASMSTART
	v_dot2_f32_f16 v71, v1, v89, v71
	;;#ASMEND
	s_nop 0
	;;#ASMSTART
	v_dot2_f32_f16 v71, v2, v90, v71
	;;#ASMEND
	v_mov_b32_e32 v2, 0
	;;#ASMSTART
	v_dot2_f32_f16 v71, v3, v91, v71
	;;#ASMEND
	ds_read_b128 v[76:79], v26 offset:224
	ds_read_b128 v[80:83], v56 offset:480
	;; [unrolled: 1-line block ×5, first 2 shown]
	s_waitcnt lgkmcnt(3)
	;;#ASMSTART
	v_dot2_f32_f16 v74, v76, v80, v74
	;;#ASMEND
	s_nop 0
	;;#ASMSTART
	v_dot2_f32_f16 v74, v77, v81, v74
	;;#ASMEND
	s_nop 0
	;;#ASMSTART
	v_dot2_f32_f16 v74, v78, v82, v74
	;;#ASMEND
	s_nop 0
	;;#ASMSTART
	v_dot2_f32_f16 v74, v79, v83, v74
	;;#ASMEND
	s_waitcnt lgkmcnt(2)
	;;#ASMSTART
	v_dot2_f32_f16 v73, v76, v84, v73
	;;#ASMEND
	s_nop 0
	;;#ASMSTART
	v_dot2_f32_f16 v73, v77, v85, v73
	;;#ASMEND
	s_nop 0
	;;#ASMSTART
	v_dot2_f32_f16 v73, v78, v86, v73
	;;#ASMEND
	s_nop 0
	;;#ASMSTART
	v_dot2_f32_f16 v73, v79, v87, v73
	;;#ASMEND
	;; [unrolled: 16-line block ×4, first 2 shown]
	ds_read_b128 v[76:79], v26 offset:240
	ds_read_b128 v[80:83], v56 offset:496
	;; [unrolled: 1-line block ×5, first 2 shown]
	s_waitcnt lgkmcnt(3)
	;;#ASMSTART
	v_dot2_f32_f16 v74, v76, v80, v74
	;;#ASMEND
	s_nop 0
	;;#ASMSTART
	v_dot2_f32_f16 v74, v77, v81, v74
	;;#ASMEND
	s_nop 0
	;;#ASMSTART
	v_dot2_f32_f16 v74, v78, v82, v74
	;;#ASMEND
	s_nop 0
	;;#ASMSTART
	v_dot2_f32_f16 v74, v79, v83, v74
	;;#ASMEND
	s_waitcnt lgkmcnt(2)
	;;#ASMSTART
	v_dot2_f32_f16 v73, v76, v84, v73
	;;#ASMEND
	s_nop 0
	;;#ASMSTART
	v_dot2_f32_f16 v73, v77, v85, v73
	;;#ASMEND
	s_nop 0
	;;#ASMSTART
	v_dot2_f32_f16 v73, v78, v86, v73
	;;#ASMEND
	s_nop 0
	;;#ASMSTART
	v_dot2_f32_f16 v73, v79, v87, v73
	;;#ASMEND
	;; [unrolled: 16-line block ×4, first 2 shown]
	s_cbranch_vccnz .LBB42_10
; %bb.9:                                ;   in Loop: Header=BB42_8 Depth=1
	v_add_u32_e32 v2, v0, v27
	v_ashrrev_i32_e32 v3, 31, v2
	v_lshl_add_u64 v[2:3], v[2:3], 1, s[36:37]
	global_load_ushort v1, v[2:3], off
	s_waitcnt vmcnt(0)
	v_cvt_f32_f16_e32 v1, v1
	v_mul_f32_e32 v2, v42, v1
.LBB42_10:                              ;   in Loop: Header=BB42_8 Depth=1
	v_and_b32_e32 v1, 0x60, v23
	v_add_u32_e32 v3, 32, v1
	v_xor_b32_e32 v1, 16, v23
	v_cmp_lt_i32_e32 vcc, v1, v3
	v_add_f32_e32 v74, v74, v2
	v_add_f32_e32 v2, 0x40051340, v74
	v_cndmask_b32_e32 v1, v23, v1, vcc
	v_max_f32_e32 v75, v70, v70
	v_lshlrev_b32_e32 v1, 2, v1
	v_max_f32_e32 v2, v75, v2
	ds_bpermute_b32 v75, v1, v2
	v_xor_b32_e32 v76, 8, v23
	v_cmp_lt_i32_e32 vcc, v76, v3
	v_xor_b32_e32 v79, 1, v23
	v_mov_b32_e32 v81, 0
	v_cndmask_b32_e32 v76, v23, v76, vcc
	s_waitcnt lgkmcnt(0)
	v_max_f32_e32 v75, v75, v75
	v_lshlrev_b32_e32 v76, 2, v76
	v_max_f32_e32 v75, v2, v75
	ds_bpermute_b32 v77, v76, v75
	v_xor_b32_e32 v2, 4, v23
	v_cmp_lt_i32_e32 vcc, v2, v3
	s_waitcnt lgkmcnt(0)
	v_max_f32_e32 v77, v77, v77
	v_cndmask_b32_e32 v2, v23, v2, vcc
	v_lshlrev_b32_e32 v2, 2, v2
	v_max_f32_e32 v77, v75, v77
	ds_bpermute_b32 v78, v2, v77
	v_xor_b32_e32 v75, 2, v23
	v_cmp_lt_i32_e32 vcc, v75, v3
	s_waitcnt lgkmcnt(0)
	v_max_f32_e32 v78, v78, v78
	v_cndmask_b32_e32 v75, v23, v75, vcc
	v_lshlrev_b32_e32 v75, 2, v75
	v_max_f32_e32 v77, v77, v78
	ds_bpermute_b32 v78, v75, v77
	v_cmp_lt_i32_e32 vcc, v79, v3
	s_waitcnt lgkmcnt(0)
	v_max_f32_e32 v78, v78, v78
	v_cndmask_b32_e32 v3, v23, v79, vcc
	v_lshlrev_b32_e32 v3, 2, v3
	v_max_f32_e32 v77, v77, v78
	ds_bpermute_b32 v78, v3, v77
	s_and_b64 vcc, exec, s[4:5]
	v_mov_b32_e32 v79, 0
	s_cbranch_vccnz .LBB42_12
; %bb.11:                               ;   in Loop: Header=BB42_8 Depth=1
	v_add_u32_e32 v82, v0, v28
	v_ashrrev_i32_e32 v83, 31, v82
	v_lshl_add_u64 v[82:83], v[82:83], 1, s[36:37]
	global_load_ushort v79, v[82:83], off
	s_waitcnt vmcnt(0)
	v_cvt_f32_f16_e32 v79, v79
	v_mul_f32_e32 v79, v42, v79
.LBB42_12:                              ;   in Loop: Header=BB42_8 Depth=1
	v_add_f32_e32 v73, v73, v79
	v_add_f32_e32 v79, 0x40051340, v73
	v_max_f32_e32 v80, v69, v69
	v_max_f32_e32 v79, v80, v79
	ds_bpermute_b32 v80, v1, v79
	s_and_b64 vcc, exec, s[4:5]
	s_waitcnt lgkmcnt(0)
	v_max_f32_e32 v80, v80, v80
	v_max_f32_e32 v79, v79, v80
	ds_bpermute_b32 v80, v76, v79
	s_waitcnt lgkmcnt(0)
	v_max_f32_e32 v80, v80, v80
	v_max_f32_e32 v79, v79, v80
	ds_bpermute_b32 v80, v2, v79
	;; [unrolled: 4-line block ×4, first 2 shown]
	s_cbranch_vccnz .LBB42_14
; %bb.13:                               ;   in Loop: Header=BB42_8 Depth=1
	v_add_u32_e32 v82, v0, v29
	v_ashrrev_i32_e32 v83, 31, v82
	v_lshl_add_u64 v[82:83], v[82:83], 1, s[36:37]
	global_load_ushort v81, v[82:83], off
	s_waitcnt vmcnt(0)
	v_cvt_f32_f16_e32 v81, v81
	v_mul_f32_e32 v81, v42, v81
.LBB42_14:                              ;   in Loop: Header=BB42_8 Depth=1
	v_add_f32_e32 v72, v72, v81
	v_add_f32_e32 v81, 0x40051340, v72
	v_max_f32_e32 v82, v68, v68
	v_max_f32_e32 v81, v82, v81
	ds_bpermute_b32 v82, v1, v81
	s_and_b64 vcc, exec, s[4:5]
	s_waitcnt lgkmcnt(0)
	v_max_f32_e32 v82, v82, v82
	v_max_f32_e32 v81, v81, v82
	ds_bpermute_b32 v82, v76, v81
	s_waitcnt lgkmcnt(0)
	v_max_f32_e32 v82, v82, v82
	v_max_f32_e32 v81, v81, v82
	ds_bpermute_b32 v82, v2, v81
	;; [unrolled: 4-line block ×4, first 2 shown]
	s_cbranch_vccnz .LBB42_16
; %bb.15:                               ;   in Loop: Header=BB42_8 Depth=1
	v_add_u32_e32 v84, v0, v62
	v_ashrrev_i32_e32 v85, 31, v84
	v_lshl_add_u64 v[84:85], v[84:85], 1, s[36:37]
	global_load_ushort v0, v[84:85], off
	s_waitcnt vmcnt(0)
	v_cvt_f32_f16_e32 v0, v0
	v_mul_f32_e32 v0, v42, v0
	s_branch .LBB42_17
.LBB42_16:                              ;   in Loop: Header=BB42_8 Depth=1
	v_mov_b32_e32 v0, 0
.LBB42_17:                              ;   in Loop: Header=BB42_8 Depth=1
	v_add_f32_e32 v86, v71, v0
	v_add_f32_e32 v0, 0x40051340, v86
	v_max_f32_e32 v71, v67, v67
	v_max_f32_e32 v0, v71, v0
	ds_bpermute_b32 v1, v1, v0
	s_waitcnt lgkmcnt(1)
	v_max_f32_e32 v71, v82, v82
	v_max_f32_e32 v81, v81, v81
	;; [unrolled: 1-line block ×4, first 2 shown]
	s_waitcnt lgkmcnt(0)
	v_max_f32_e32 v1, v1, v1
	v_max_f32_e32 v0, v0, v1
	ds_bpermute_b32 v1, v76, v0
	v_max_f32_e32 v76, v79, v79
	v_max_f32_e32 v80, v80, v80
	s_mul_hi_i32 s41, s12, s2
	s_mul_i32 s40, s12, s2
	s_waitcnt lgkmcnt(0)
	v_max_f32_e32 v1, v1, v1
	v_max_f32_e32 v79, v0, v1
	ds_bpermute_b32 v82, v2, v79
	v_max_f32_e32 v2, v81, v71
	v_max_f32_e32 v0, v77, v78
	v_sub_f32_e32 v70, v70, v0
	v_max_f32_e32 v1, v76, v80
	s_waitcnt lgkmcnt(0)
	v_max_f32_e32 v71, v82, v82
	v_max_f32_e32 v71, v79, v71
	ds_bpermute_b32 v75, v75, v71
	v_mul_f32_e32 v76, 0x3fb8aa3b, v70
	v_fma_f32 v77, v70, s19, -v76
	v_rndne_f32_e32 v78, v76
	v_fmac_f32_e32 v77, 0x32a5705f, v70
	s_waitcnt lgkmcnt(0)
	v_max_f32_e32 v75, v75, v75
	v_max_f32_e32 v71, v71, v75
	ds_bpermute_b32 v3, v3, v71
	v_sub_f32_e32 v75, v76, v78
	v_add_f32_e32 v75, v75, v77
	v_cvt_i32_f32_e32 v76, v78
	v_exp_f32_e32 v75, v75
	s_waitcnt lgkmcnt(0)
	v_max_f32_e32 v3, v3, v3
	v_sub_f32_e32 v74, v74, v0
	v_max_f32_e32 v3, v71, v3
	v_ldexp_f32 v71, v75, v76
	v_mul_f32_e32 v75, 0x3fb8aa3b, v74
	v_fma_f32 v76, v74, s19, -v75
	v_rndne_f32_e32 v77, v75
	v_fmac_f32_e32 v76, 0x32a5705f, v74
	v_sub_f32_e32 v75, v75, v77
	v_add_f32_e32 v75, v75, v76
	v_exp_f32_e32 v75, v75
	v_cvt_i32_f32_e32 v76, v77
	v_cmp_ngt_f32_e32 vcc, s28, v70
	v_sub_f32_e32 v69, v69, v1
	v_sub_f32_e32 v73, v73, v1
	v_cndmask_b32_e32 v71, 0, v71, vcc
	v_cmp_nlt_f32_e32 vcc, s29, v70
	s_lshl_b64 s[40:41], s[40:41], 2
	s_add_u32 s40, s10, s40
	v_cndmask_b32_e32 v70, v66, v71, vcc
	v_ldexp_f32 v71, v75, v76
	v_cvt_f16_f32_e32 v75, v70
	v_cmp_ngt_f32_e32 vcc, s28, v74
	s_addc_u32 s41, s11, s41
	s_nop 0
	v_cndmask_b32_e32 v71, 0, v71, vcc
	v_cmp_nlt_f32_e32 vcc, s29, v74
	v_mul_u32_u24_e32 v88, 0x10001, v75
	v_pk_mul_f16 v89, v61, v88
	v_cndmask_b32_e32 v82, v66, v71, vcc
	v_mul_f32_e32 v71, 0x3fb8aa3b, v69
	v_fma_f32 v74, v69, s19, -v71
	v_rndne_f32_e32 v75, v71
	v_fmac_f32_e32 v74, 0x32a5705f, v69
	v_sub_f32_e32 v71, v71, v75
	v_add_f32_e32 v71, v71, v74
	v_exp_f32_e32 v71, v71
	v_cvt_i32_f32_e32 v74, v75
	v_mul_f32_e32 v61, 0x3fb8aa3b, v73
	v_pk_mul_f16 v90, v60, v88
	v_cmp_ngt_f32_e32 vcc, s28, v69
	v_ldexp_f32 v60, v71, v74
	v_fma_f32 v71, v73, s19, -v61
	v_rndne_f32_e32 v74, v61
	v_fmac_f32_e32 v71, 0x32a5705f, v73
	v_sub_f32_e32 v61, v61, v74
	v_add_f32_e32 v61, v61, v71
	v_exp_f32_e32 v61, v61
	v_cvt_i32_f32_e32 v74, v74
	v_cndmask_b32_e32 v60, 0, v60, vcc
	v_cmp_nlt_f32_e32 vcc, s29, v69
	s_barrier
	s_nop 0
	v_cndmask_b32_e32 v71, v66, v60, vcc
	v_ldexp_f32 v60, v61, v74
	v_cmp_ngt_f32_e32 vcc, s28, v73
	v_lshl_add_u64 v[74:75], s[40:41], 0, v[14:15]
	v_lshl_add_u64 v[84:85], v[74:75], 0, v[20:21]
	v_cndmask_b32_e32 v69, 0, v60, vcc
	v_lshl_add_u64 v[60:61], s[40:41], 0, v[12:13]
	v_lshl_add_u64 v[60:61], v[60:61], 0, v[20:21]
	global_load_dwordx4 v[74:77], v[60:61], off
	global_load_dwordx4 v[78:81], v[84:85], off
	v_sub_f32_e32 v60, v68, v2
	v_cmp_nlt_f32_e32 vcc, s29, v73
	v_mul_f32_e32 v61, 0x3fb8aa3b, v60
	v_fma_f32 v68, v60, s19, -v61
	v_cndmask_b32_e32 v83, v66, v69, vcc
	v_rndne_f32_e32 v69, v61
	v_cvt_f16_f32_e32 v87, v71
	v_fmac_f32_e32 v68, 0x32a5705f, v60
	v_sub_f32_e32 v61, v61, v69
	v_add_f32_e32 v61, v61, v68
	v_exp_f32_e32 v61, v61
	v_cvt_i32_f32_e32 v68, v69
	v_mul_u32_u24_e32 v91, 0x10001, v87
	v_pk_mul_f16 v93, v55, v91
	v_sub_f32_e32 v55, v72, v2
	v_pk_mul_f16 v92, v54, v91
	v_ldexp_f32 v54, v61, v68
	v_mul_f32_e32 v61, 0x3fb8aa3b, v55
	v_fma_f32 v68, v55, s19, -v61
	v_rndne_f32_e32 v69, v61
	v_fmac_f32_e32 v68, 0x32a5705f, v55
	v_sub_f32_e32 v61, v61, v69
	v_add_f32_e32 v61, v61, v68
	v_exp_f32_e32 v61, v61
	v_cvt_i32_f32_e32 v68, v69
	v_cmp_ngt_f32_e32 vcc, s28, v60
	v_pk_fma_f32 v[18:19], v[18:19], v[70:71], v[82:83]
	v_pk_mul_f16 v59, v59, v88
	v_cndmask_b32_e32 v54, 0, v54, vcc
	v_cmp_nlt_f32_e32 vcc, s29, v60
	v_ldexp_f32 v60, v61, v68
	v_pk_mul_f16 v57, v57, v91
	v_cndmask_b32_e32 v54, v66, v54, vcc
	v_cvt_f16_f32_e32 v61, v54
	v_cmp_ngt_f32_e32 vcc, s28, v55
	s_or_b32 s31, s12, 16
	s_mul_hi_i32 s41, s31, s2
	v_cndmask_b32_e32 v60, 0, v60, vcc
	v_cmp_nlt_f32_e32 vcc, s29, v55
	v_sub_f32_e32 v55, v67, v3
	v_mul_u32_u24_e32 v94, 0x10001, v61
	v_mul_f32_e32 v61, 0x3fb8aa3b, v55
	v_fma_f32 v67, v55, s19, -v61
	v_rndne_f32_e32 v68, v61
	v_fmac_f32_e32 v67, 0x32a5705f, v55
	v_sub_f32_e32 v61, v61, v68
	v_add_f32_e32 v61, v61, v67
	v_exp_f32_e32 v61, v61
	v_cvt_i32_f32_e32 v67, v68
	v_cndmask_b32_e32 v60, v66, v60, vcc
	v_cmp_ngt_f32_e32 vcc, s28, v55
	v_pk_mul_f16 v51, v51, v94
	v_ldexp_f32 v61, v61, v67
	v_sub_f32_e32 v67, v86, v3
	v_mul_f32_e32 v68, 0x3fb8aa3b, v67
	v_fma_f32 v69, v67, s19, -v68
	v_rndne_f32_e32 v72, v68
	v_fmac_f32_e32 v69, 0x32a5705f, v67
	v_sub_f32_e32 v68, v68, v72
	v_add_f32_e32 v68, v68, v69
	v_exp_f32_e32 v68, v68
	v_cvt_i32_f32_e32 v69, v72
	v_cndmask_b32_e32 v61, 0, v61, vcc
	v_cmp_nlt_f32_e32 vcc, s29, v55
	v_pk_mul_f16 v49, v49, v94
	v_pk_mul_f16 v50, v50, v94
	v_cndmask_b32_e32 v55, v66, v61, vcc
	v_ldexp_f32 v61, v68, v69
	v_cvt_f16_f32_e32 v68, v55
	v_cmp_ngt_f32_e32 vcc, s28, v67
	s_mul_i32 s40, s31, s2
	s_lshl_b64 s[40:41], s[40:41], 2
	v_cndmask_b32_e32 v61, 0, v61, vcc
	v_cmp_nlt_f32_e32 vcc, s29, v67
	s_add_u32 s40, s10, s40
	s_addc_u32 s41, s11, s41
	v_cndmask_b32_e32 v61, v66, v61, vcc
	v_pk_fma_f32 v[16:17], v[16:17], v[54:55], v[60:61]
	v_mul_u32_u24_e32 v54, 0x10001, v68
	v_pk_mul_f16 v55, v45, v54
	v_pk_mul_f16 v67, v44, v54
	;; [unrolled: 1-line block ×4, first 2 shown]
	v_add_u32_e32 v54, v63, v41
	v_cvt_pk_f16_f32 v45, v60, v61
	v_cvt_pk_f16_f32 v44, v82, v83
	ds_write_b64 v54, v[44:45]
	s_waitcnt vmcnt(1)
	ds_write_b128 v64, v[74:77]
	s_waitcnt vmcnt(0)
	ds_write_b128 v65, v[78:81]
	s_waitcnt lgkmcnt(0)
	s_barrier
	v_add_u32_e32 v45, 0x4000, v41
	ds_read_b128 v[68:71], v63
	ds_read2_b64 v[72:75], v45 offset1:32
	ds_read_b128 v[76:79], v63 offset:16
	ds_read_b128 v[80:83], v63 offset:32
	;; [unrolled: 1-line block ×3, first 2 shown]
	s_waitcnt lgkmcnt(4)
	v_mul_u32_u24_sdwa v44, v68, s30 dst_sel:DWORD dst_unused:UNUSED_PAD src0_sel:WORD_0 src1_sel:DWORD
	v_mul_u32_u24_sdwa v54, v68, s30 dst_sel:DWORD dst_unused:UNUSED_PAD src0_sel:WORD_1 src1_sel:DWORD
	s_waitcnt lgkmcnt(3)
	v_pk_mul_f16 v68, v72, v44
	v_mul_u32_u24_sdwa v60, v69, s30 dst_sel:DWORD dst_unused:UNUSED_PAD src0_sel:WORD_0 src1_sel:DWORD
	v_pk_fma_f16 v68, v53, v88, v68
	v_pk_mul_f16 v53, v72, v54
	v_mul_u32_u24_sdwa v61, v69, s30 dst_sel:DWORD dst_unused:UNUSED_PAD src0_sel:WORD_1 src1_sel:DWORD
	v_pk_fma_f16 v69, v52, v91, v53
	v_pk_mul_f16 v52, v72, v60
	v_pk_fma_f16 v88, v73, v60, v51
	v_pk_fma_f16 v47, v47, v94, v52
	;; [unrolled: 1-line block ×4, first 2 shown]
	ds_read2_b64 v[50:53], v45 offset0:64 offset1:96
	v_pk_fma_f16 v55, v72, v61, v55
	v_pk_fma_f16 v72, v73, v44, v89
	v_pk_fma_f16 v57, v73, v54, v57
	v_pk_fma_f16 v67, v73, v61, v67
	v_pk_fma_f16 v59, v74, v44, v59
	v_pk_fma_f16 v73, v74, v54, v92
	v_pk_fma_f16 v43, v74, v61, v43
	v_pk_fma_f16 v44, v75, v44, v90
	v_pk_fma_f16 v54, v75, v54, v93
	v_pk_fma_f16 v46, v75, v61, v46
	v_mul_u32_u24_sdwa v61, v70, s30 dst_sel:DWORD dst_unused:UNUSED_PAD src0_sel:WORD_0 src1_sel:DWORD
	v_mul_u32_u24_sdwa v70, v70, s30 dst_sel:DWORD dst_unused:UNUSED_PAD src0_sel:WORD_1 src1_sel:DWORD
	v_mul_u32_u24_sdwa v74, v71, s30 dst_sel:DWORD dst_unused:UNUSED_PAD src0_sel:WORD_0 src1_sel:DWORD
	v_mul_u32_u24_sdwa v71, v71, s30 dst_sel:DWORD dst_unused:UNUSED_PAD src0_sel:WORD_1 src1_sel:DWORD
	s_waitcnt lgkmcnt(0)
	v_pk_fma_f16 v68, v50, v61, v68
	v_pk_fma_f16 v69, v50, v70, v69
	v_pk_fma_f16 v47, v50, v74, v47
	v_pk_fma_f16 v55, v50, v71, v55
	v_pk_fma_f16 v72, v51, v61, v72
	v_pk_fma_f16 v57, v51, v70, v57
	v_pk_fma_f16 v75, v51, v74, v88
	v_pk_fma_f16 v67, v51, v71, v67
	v_pk_fma_f16 v59, v52, v61, v59
	v_pk_fma_f16 v73, v52, v70, v73
	v_pk_fma_f16 v49, v52, v74, v49
	v_pk_fma_f16 v43, v52, v71, v43
	v_pk_fma_f16 v44, v53, v61, v44
	v_pk_fma_f16 v54, v53, v70, v54
	v_pk_fma_f16 v60, v53, v74, v60
	v_pk_fma_f16 v46, v53, v71, v46
	ds_read2_b64 v[50:53], v45 offset0:128 offset1:160
	v_mul_u32_u24_sdwa v61, v76, s30 dst_sel:DWORD dst_unused:UNUSED_PAD src0_sel:WORD_0 src1_sel:DWORD
	v_mul_u32_u24_sdwa v70, v76, s30 dst_sel:DWORD dst_unused:UNUSED_PAD src0_sel:WORD_1 src1_sel:DWORD
	v_mul_u32_u24_sdwa v71, v77, s30 dst_sel:DWORD dst_unused:UNUSED_PAD src0_sel:WORD_0 src1_sel:DWORD
	v_mul_u32_u24_sdwa v74, v77, s30 dst_sel:DWORD dst_unused:UNUSED_PAD src0_sel:WORD_1 src1_sel:DWORD
	s_waitcnt lgkmcnt(0)
	v_pk_fma_f16 v68, v50, v61, v68
	v_pk_fma_f16 v69, v50, v70, v69
	;; [unrolled: 1-line block ×16, first 2 shown]
	ds_read2_b64 v[50:53], v45 offset0:192 offset1:224
	v_mul_u32_u24_sdwa v61, v78, s30 dst_sel:DWORD dst_unused:UNUSED_PAD src0_sel:WORD_0 src1_sel:DWORD
	v_mul_u32_u24_sdwa v74, v79, s30 dst_sel:DWORD dst_unused:UNUSED_PAD src0_sel:WORD_1 src1_sel:DWORD
	v_mul_u32_u24_sdwa v70, v78, s30 dst_sel:DWORD dst_unused:UNUSED_PAD src0_sel:WORD_1 src1_sel:DWORD
	v_mul_u32_u24_sdwa v71, v79, s30 dst_sel:DWORD dst_unused:UNUSED_PAD src0_sel:WORD_0 src1_sel:DWORD
	s_waitcnt lgkmcnt(0)
	v_pk_fma_f16 v68, v50, v61, v68
	v_pk_fma_f16 v72, v51, v61, v72
	;; [unrolled: 1-line block ×5, first 2 shown]
	v_add_u32_e32 v46, 0x4800, v41
	v_pk_fma_f16 v69, v50, v70, v69
	v_pk_fma_f16 v47, v50, v71, v47
	;; [unrolled: 1-line block ×11, first 2 shown]
	ds_read2_b64 v[50:53], v46 offset1:32
	v_mul_u32_u24_sdwa v70, v80, s30 dst_sel:DWORD dst_unused:UNUSED_PAD src0_sel:WORD_0 src1_sel:DWORD
	v_mul_u32_u24_sdwa v71, v80, s30 dst_sel:DWORD dst_unused:UNUSED_PAD src0_sel:WORD_1 src1_sel:DWORD
	v_mul_u32_u24_sdwa v74, v81, s30 dst_sel:DWORD dst_unused:UNUSED_PAD src0_sel:WORD_0 src1_sel:DWORD
	v_mul_u32_u24_sdwa v76, v81, s30 dst_sel:DWORD dst_unused:UNUSED_PAD src0_sel:WORD_1 src1_sel:DWORD
	s_waitcnt lgkmcnt(0)
	v_pk_fma_f16 v68, v50, v70, v68
	v_pk_fma_f16 v69, v50, v71, v69
	v_pk_fma_f16 v47, v50, v74, v47
	v_pk_fma_f16 v55, v50, v76, v55
	v_pk_fma_f16 v72, v51, v70, v72
	v_pk_fma_f16 v57, v51, v71, v57
	v_pk_fma_f16 v75, v51, v74, v75
	v_pk_fma_f16 v67, v51, v76, v67
	v_pk_fma_f16 v59, v52, v70, v59
	v_pk_fma_f16 v73, v52, v71, v73
	v_pk_fma_f16 v49, v52, v74, v49
	v_pk_fma_f16 v43, v52, v76, v43
	v_pk_fma_f16 v44, v53, v70, v44
	v_pk_fma_f16 v54, v53, v71, v54
	v_pk_fma_f16 v60, v53, v74, v60
	v_pk_fma_f16 v61, v53, v76, v61
	ds_read2_b64 v[50:53], v46 offset0:64 offset1:96
	v_mul_u32_u24_sdwa v70, v82, s30 dst_sel:DWORD dst_unused:UNUSED_PAD src0_sel:WORD_0 src1_sel:DWORD
	v_mul_u32_u24_sdwa v71, v82, s30 dst_sel:DWORD dst_unused:UNUSED_PAD src0_sel:WORD_1 src1_sel:DWORD
	v_mul_u32_u24_sdwa v74, v83, s30 dst_sel:DWORD dst_unused:UNUSED_PAD src0_sel:WORD_0 src1_sel:DWORD
	v_mul_u32_u24_sdwa v76, v83, s30 dst_sel:DWORD dst_unused:UNUSED_PAD src0_sel:WORD_1 src1_sel:DWORD
	s_waitcnt lgkmcnt(0)
	v_pk_fma_f16 v68, v50, v70, v68
	v_pk_fma_f16 v69, v50, v71, v69
	v_pk_fma_f16 v47, v50, v74, v47
	v_pk_fma_f16 v55, v50, v76, v55
	v_pk_fma_f16 v72, v51, v70, v72
	v_pk_fma_f16 v57, v51, v71, v57
	v_pk_fma_f16 v75, v51, v74, v75
	v_pk_fma_f16 v67, v51, v76, v67
	v_pk_fma_f16 v59, v52, v70, v59
	v_pk_fma_f16 v73, v52, v71, v73
	v_pk_fma_f16 v49, v52, v74, v49
	v_pk_fma_f16 v43, v52, v76, v43
	v_pk_fma_f16 v44, v53, v70, v44
	v_pk_fma_f16 v54, v53, v71, v54
	v_pk_fma_f16 v60, v53, v74, v60
	v_pk_fma_f16 v61, v53, v76, v61
	ds_read2_b64 v[50:53], v46 offset0:128 offset1:160
	;; [unrolled: 22-line block ×3, first 2 shown]
	v_mul_u32_u24_sdwa v70, v86, s30 dst_sel:DWORD dst_unused:UNUSED_PAD src0_sel:WORD_0 src1_sel:DWORD
	v_mul_u32_u24_sdwa v71, v86, s30 dst_sel:DWORD dst_unused:UNUSED_PAD src0_sel:WORD_1 src1_sel:DWORD
	v_mul_u32_u24_sdwa v76, v87, s30 dst_sel:DWORD dst_unused:UNUSED_PAD src0_sel:WORD_1 src1_sel:DWORD
	v_mul_u32_u24_sdwa v74, v87, s30 dst_sel:DWORD dst_unused:UNUSED_PAD src0_sel:WORD_0 src1_sel:DWORD
	s_waitcnt lgkmcnt(0)
	v_pk_fma_f16 v77, v50, v70, v68
	v_pk_fma_f16 v78, v50, v71, v69
	;; [unrolled: 1-line block ×8, first 2 shown]
	ds_read_b128 v[68:71], v63 offset:64
	v_pk_fma_f16 v82, v52, v76, v43
	v_add_u32_e32 v43, 0x5000, v41
	v_pk_fma_f16 v47, v50, v74, v47
	v_pk_fma_f16 v55, v50, v76, v55
	;; [unrolled: 1-line block ×7, first 2 shown]
	ds_read2_b64 v[50:53], v43 offset1:32
	ds_read_b128 v[72:75], v63 offset:80
	s_waitcnt lgkmcnt(2)
	v_mul_u32_u24_sdwa v76, v68, s30 dst_sel:DWORD dst_unused:UNUSED_PAD src0_sel:WORD_0 src1_sel:DWORD
	v_mul_u32_u24_sdwa v68, v68, s30 dst_sel:DWORD dst_unused:UNUSED_PAD src0_sel:WORD_1 src1_sel:DWORD
	v_mul_u32_u24_sdwa v83, v69, s30 dst_sel:DWORD dst_unused:UNUSED_PAD src0_sel:WORD_0 src1_sel:DWORD
	v_mul_u32_u24_sdwa v69, v69, s30 dst_sel:DWORD dst_unused:UNUSED_PAD src0_sel:WORD_1 src1_sel:DWORD
	s_waitcnt lgkmcnt(1)
	v_pk_fma_f16 v77, v50, v76, v77
	v_pk_fma_f16 v78, v50, v68, v78
	v_pk_fma_f16 v47, v50, v83, v47
	v_pk_fma_f16 v55, v50, v69, v55
	v_pk_fma_f16 v79, v51, v76, v79
	v_pk_fma_f16 v57, v51, v68, v57
	v_pk_fma_f16 v80, v51, v83, v80
	v_pk_fma_f16 v67, v51, v69, v67
	v_pk_fma_f16 v59, v52, v76, v59
	v_pk_fma_f16 v81, v52, v68, v81
	v_pk_fma_f16 v49, v52, v83, v49
	v_pk_fma_f16 v82, v52, v69, v82
	v_pk_fma_f16 v44, v53, v76, v44
	v_pk_fma_f16 v54, v53, v68, v54
	v_pk_fma_f16 v60, v53, v83, v60
	v_pk_fma_f16 v61, v53, v69, v61
	ds_read2_b64 v[50:53], v43 offset0:64 offset1:96
	v_mul_u32_u24_sdwa v68, v70, s30 dst_sel:DWORD dst_unused:UNUSED_PAD src0_sel:WORD_0 src1_sel:DWORD
	v_mul_u32_u24_sdwa v69, v70, s30 dst_sel:DWORD dst_unused:UNUSED_PAD src0_sel:WORD_1 src1_sel:DWORD
	v_mul_u32_u24_sdwa v70, v71, s30 dst_sel:DWORD dst_unused:UNUSED_PAD src0_sel:WORD_0 src1_sel:DWORD
	v_mul_u32_u24_sdwa v71, v71, s30 dst_sel:DWORD dst_unused:UNUSED_PAD src0_sel:WORD_1 src1_sel:DWORD
	s_waitcnt lgkmcnt(0)
	v_pk_fma_f16 v76, v50, v68, v77
	v_pk_fma_f16 v77, v50, v69, v78
	v_pk_fma_f16 v47, v50, v70, v47
	v_pk_fma_f16 v55, v50, v71, v55
	v_pk_fma_f16 v78, v51, v68, v79
	v_pk_fma_f16 v57, v51, v69, v57
	v_pk_fma_f16 v79, v51, v70, v80
	v_pk_fma_f16 v67, v51, v71, v67
	v_pk_fma_f16 v59, v52, v68, v59
	v_pk_fma_f16 v80, v52, v69, v81
	v_pk_fma_f16 v49, v52, v70, v49
	v_pk_fma_f16 v81, v52, v71, v82
	v_pk_fma_f16 v44, v53, v68, v44
	v_pk_fma_f16 v54, v53, v69, v54
	v_pk_fma_f16 v60, v53, v70, v60
	v_pk_fma_f16 v61, v53, v71, v61
	ds_read2_b64 v[50:53], v43 offset0:128 offset1:160
	;; [unrolled: 22-line block ×3, first 2 shown]
	v_mul_u32_u24_sdwa v68, v74, s30 dst_sel:DWORD dst_unused:UNUSED_PAD src0_sel:WORD_0 src1_sel:DWORD
	v_mul_u32_u24_sdwa v69, v74, s30 dst_sel:DWORD dst_unused:UNUSED_PAD src0_sel:WORD_1 src1_sel:DWORD
	v_mul_u32_u24_sdwa v74, v75, s30 dst_sel:DWORD dst_unused:UNUSED_PAD src0_sel:WORD_1 src1_sel:DWORD
	v_mul_u32_u24_sdwa v70, v75, s30 dst_sel:DWORD dst_unused:UNUSED_PAD src0_sel:WORD_0 src1_sel:DWORD
	s_waitcnt lgkmcnt(0)
	v_pk_fma_f16 v98, v50, v74, v55
	v_pk_fma_f16 v104, v53, v69, v54
	v_lshl_add_u64 v[54:55], s[40:41], 0, v[12:13]
	v_pk_fma_f16 v103, v53, v68, v44
	v_pk_fma_f16 v105, v53, v70, v60
	;; [unrolled: 1-line block ×3, first 2 shown]
	v_add_u32_e32 v44, 0x5800, v41
	v_lshl_add_u64 v[54:55], v[54:55], 0, v[20:21]
	v_lshl_add_u64 v[60:61], s[40:41], 0, v[14:15]
	v_pk_fma_f16 v96, v50, v68, v72
	v_pk_fma_f16 v97, v50, v69, v73
	;; [unrolled: 1-line block ×11, first 2 shown]
	ds_read_b128 v[68:71], v63 offset:96
	ds_read2_b64 v[50:53], v44 offset1:32
	ds_read_b128 v[72:75], v63 offset:112
	ds_read2_b64 v[76:79], v44 offset0:64 offset1:96
	ds_read2_b64 v[80:83], v44 offset0:128 offset1:160
	;; [unrolled: 1-line block ×3, first 2 shown]
	s_waitcnt lgkmcnt(0)
	s_barrier
	v_lshl_add_u64 v[60:61], v[60:61], 0, v[20:21]
	global_load_dwordx4 v[88:91], v[54:55], off
	global_load_dwordx4 v[92:95], v[60:61], off
	v_mul_u32_u24_sdwa v107, v68, s30 dst_sel:DWORD dst_unused:UNUSED_PAD src0_sel:WORD_0 src1_sel:DWORD
	v_mul_u32_u24_sdwa v68, v68, s30 dst_sel:DWORD dst_unused:UNUSED_PAD src0_sel:WORD_1 src1_sel:DWORD
	v_mul_u32_u24_sdwa v54, v69, s30 dst_sel:DWORD dst_unused:UNUSED_PAD src0_sel:WORD_0 src1_sel:DWORD
	v_mul_u32_u24_sdwa v55, v69, s30 dst_sel:DWORD dst_unused:UNUSED_PAD src0_sel:WORD_1 src1_sel:DWORD
	v_pk_fma_f16 v60, v50, v107, v96
	v_pk_fma_f16 v61, v50, v68, v97
	v_pk_fma_f16 v47, v50, v54, v47
	v_pk_fma_f16 v50, v50, v55, v98
	v_pk_fma_f16 v69, v51, v107, v99
	v_pk_fma_f16 v57, v51, v68, v57
	v_pk_fma_f16 v96, v51, v54, v100
	v_pk_fma_f16 v51, v51, v55, v67
	v_pk_fma_f16 v59, v52, v107, v59
	v_pk_fma_f16 v67, v52, v68, v101
	v_pk_fma_f16 v49, v52, v54, v49
	v_pk_fma_f16 v52, v52, v55, v102
	v_pk_fma_f16 v97, v53, v107, v103
	v_pk_fma_f16 v68, v53, v68, v104
	v_pk_fma_f16 v54, v53, v54, v105
	v_pk_fma_f16 v53, v53, v55, v106
	v_mul_u32_u24_sdwa v55, v70, s30 dst_sel:DWORD dst_unused:UNUSED_PAD src0_sel:WORD_0 src1_sel:DWORD
	v_mul_u32_u24_sdwa v70, v70, s30 dst_sel:DWORD dst_unused:UNUSED_PAD src0_sel:WORD_1 src1_sel:DWORD
	v_mul_u32_u24_sdwa v98, v71, s30 dst_sel:DWORD dst_unused:UNUSED_PAD src0_sel:WORD_0 src1_sel:DWORD
	v_mul_u32_u24_sdwa v71, v71, s30 dst_sel:DWORD dst_unused:UNUSED_PAD src0_sel:WORD_1 src1_sel:DWORD
	v_pk_fma_f16 v60, v76, v55, v60
	v_pk_fma_f16 v61, v76, v70, v61
	v_pk_fma_f16 v47, v76, v98, v47
	v_pk_fma_f16 v50, v76, v71, v50
	v_pk_fma_f16 v69, v77, v55, v69
	v_pk_fma_f16 v57, v77, v70, v57
	v_pk_fma_f16 v76, v77, v98, v96
	v_pk_fma_f16 v51, v77, v71, v51
	v_pk_fma_f16 v59, v78, v55, v59
	v_pk_fma_f16 v67, v78, v70, v67
	v_pk_fma_f16 v49, v78, v98, v49
	v_pk_fma_f16 v52, v78, v71, v52
	v_pk_fma_f16 v55, v79, v55, v97
	v_pk_fma_f16 v68, v79, v70, v68
	v_pk_fma_f16 v54, v79, v98, v54
	v_pk_fma_f16 v53, v79, v71, v53
	v_mul_u32_u24_sdwa v70, v72, s30 dst_sel:DWORD dst_unused:UNUSED_PAD src0_sel:WORD_0 src1_sel:DWORD
	v_mul_u32_u24_sdwa v71, v72, s30 dst_sel:DWORD dst_unused:UNUSED_PAD src0_sel:WORD_1 src1_sel:DWORD
	v_mul_u32_u24_sdwa v72, v73, s30 dst_sel:DWORD dst_unused:UNUSED_PAD src0_sel:WORD_0 src1_sel:DWORD
	v_mul_u32_u24_sdwa v73, v73, s30 dst_sel:DWORD dst_unused:UNUSED_PAD src0_sel:WORD_1 src1_sel:DWORD
	v_pk_fma_f16 v60, v80, v70, v60
	v_pk_fma_f16 v61, v80, v71, v61
	v_pk_fma_f16 v47, v80, v72, v47
	v_pk_fma_f16 v50, v80, v73, v50
	v_pk_fma_f16 v69, v81, v70, v69
	v_pk_fma_f16 v57, v81, v71, v57
	v_pk_fma_f16 v76, v81, v72, v76
	v_pk_fma_f16 v51, v81, v73, v51
	v_pk_fma_f16 v59, v82, v70, v59
	v_pk_fma_f16 v67, v82, v71, v67
	v_pk_fma_f16 v49, v82, v72, v49
	v_pk_fma_f16 v52, v82, v73, v52
	v_pk_fma_f16 v55, v83, v70, v55
	v_pk_fma_f16 v68, v83, v71, v68
	v_pk_fma_f16 v54, v83, v72, v54
	v_pk_fma_f16 v53, v83, v73, v53
	v_mul_u32_u24_sdwa v70, v74, s30 dst_sel:DWORD dst_unused:UNUSED_PAD src0_sel:WORD_0 src1_sel:DWORD
	v_mul_u32_u24_sdwa v71, v74, s30 dst_sel:DWORD dst_unused:UNUSED_PAD src0_sel:WORD_1 src1_sel:DWORD
	v_mul_u32_u24_sdwa v72, v75, s30 dst_sel:DWORD dst_unused:UNUSED_PAD src0_sel:WORD_0 src1_sel:DWORD
	v_mul_u32_u24_sdwa v73, v75, s30 dst_sel:DWORD dst_unused:UNUSED_PAD src0_sel:WORD_1 src1_sel:DWORD
	v_pk_fma_f16 v60, v84, v70, v60
	v_pk_fma_f16 v61, v84, v71, v61
	v_pk_fma_f16 v47, v84, v72, v47
	v_pk_fma_f16 v84, v84, v73, v50
	v_pk_fma_f16 v96, v85, v70, v69
	v_pk_fma_f16 v57, v85, v71, v57
	v_pk_fma_f16 v97, v85, v72, v76
	v_pk_fma_f16 v85, v85, v73, v51
	v_pk_fma_f16 v59, v86, v70, v59
	v_pk_fma_f16 v67, v86, v71, v67
	v_pk_fma_f16 v49, v86, v72, v49
	v_pk_fma_f16 v86, v86, v73, v52
	v_pk_fma_f16 v55, v87, v70, v55
	v_pk_fma_f16 v98, v87, v71, v68
	v_pk_fma_f16 v54, v87, v72, v54
	v_pk_fma_f16 v87, v87, v73, v53
	s_waitcnt vmcnt(1)
	ds_write_b128 v64, v[88:91]
	s_waitcnt vmcnt(0)
	ds_write_b128 v65, v[92:95]
	s_waitcnt lgkmcnt(0)
	s_barrier
	ds_read_b128 v[50:53], v63 offset:128
	ds_read2_b64 v[68:71], v45 offset1:32
	ds_read_b128 v[72:75], v63 offset:144
	ds_read_b128 v[76:79], v63 offset:160
	;; [unrolled: 1-line block ×3, first 2 shown]
	s_waitcnt lgkmcnt(4)
	v_mul_u32_u24_sdwa v88, v50, s30 dst_sel:DWORD dst_unused:UNUSED_PAD src0_sel:WORD_0 src1_sel:DWORD
	v_mul_u32_u24_sdwa v50, v50, s30 dst_sel:DWORD dst_unused:UNUSED_PAD src0_sel:WORD_1 src1_sel:DWORD
	v_mul_u32_u24_sdwa v89, v51, s30 dst_sel:DWORD dst_unused:UNUSED_PAD src0_sel:WORD_0 src1_sel:DWORD
	v_mul_u32_u24_sdwa v51, v51, s30 dst_sel:DWORD dst_unused:UNUSED_PAD src0_sel:WORD_1 src1_sel:DWORD
	s_waitcnt lgkmcnt(3)
	v_pk_fma_f16 v60, v68, v88, v60
	v_pk_fma_f16 v61, v68, v50, v61
	v_pk_fma_f16 v47, v68, v89, v47
	v_pk_fma_f16 v84, v68, v51, v84
	v_pk_fma_f16 v90, v69, v88, v96
	v_pk_fma_f16 v57, v69, v50, v57
	v_pk_fma_f16 v91, v69, v89, v97
	v_pk_fma_f16 v85, v69, v51, v85
	v_pk_fma_f16 v59, v70, v88, v59
	v_pk_fma_f16 v67, v70, v50, v67
	v_pk_fma_f16 v49, v70, v89, v49
	v_pk_fma_f16 v86, v70, v51, v86
	v_pk_fma_f16 v55, v71, v88, v55
	v_pk_fma_f16 v50, v71, v50, v98
	v_pk_fma_f16 v54, v71, v89, v54
	v_pk_fma_f16 v51, v71, v51, v87
	ds_read2_b64 v[68:71], v45 offset0:64 offset1:96
	v_mul_u32_u24_sdwa v87, v52, s30 dst_sel:DWORD dst_unused:UNUSED_PAD src0_sel:WORD_0 src1_sel:DWORD
	v_mul_u32_u24_sdwa v52, v52, s30 dst_sel:DWORD dst_unused:UNUSED_PAD src0_sel:WORD_1 src1_sel:DWORD
	v_mul_u32_u24_sdwa v88, v53, s30 dst_sel:DWORD dst_unused:UNUSED_PAD src0_sel:WORD_0 src1_sel:DWORD
	v_mul_u32_u24_sdwa v53, v53, s30 dst_sel:DWORD dst_unused:UNUSED_PAD src0_sel:WORD_1 src1_sel:DWORD
	s_waitcnt lgkmcnt(0)
	v_pk_fma_f16 v60, v68, v87, v60
	v_pk_fma_f16 v61, v68, v52, v61
	v_pk_fma_f16 v47, v68, v88, v47
	v_pk_fma_f16 v68, v68, v53, v84
	v_pk_fma_f16 v84, v69, v87, v90
	v_pk_fma_f16 v57, v69, v52, v57
	v_pk_fma_f16 v89, v69, v88, v91
	v_pk_fma_f16 v69, v69, v53, v85
	v_pk_fma_f16 v59, v70, v87, v59
	v_pk_fma_f16 v67, v70, v52, v67
	v_pk_fma_f16 v49, v70, v88, v49
	v_pk_fma_f16 v70, v70, v53, v86
	v_pk_fma_f16 v55, v71, v87, v55
	v_pk_fma_f16 v85, v71, v52, v50
	v_pk_fma_f16 v54, v71, v88, v54
	v_pk_fma_f16 v71, v71, v53, v51
	ds_read2_b64 v[50:53], v45 offset0:128 offset1:160
	;; [unrolled: 22-line block ×3, first 2 shown]
	v_mul_u32_u24_sdwa v45, v74, s30 dst_sel:DWORD dst_unused:UNUSED_PAD src0_sel:WORD_0 src1_sel:DWORD
	v_mul_u32_u24_sdwa v73, v74, s30 dst_sel:DWORD dst_unused:UNUSED_PAD src0_sel:WORD_1 src1_sel:DWORD
	v_mul_u32_u24_sdwa v74, v75, s30 dst_sel:DWORD dst_unused:UNUSED_PAD src0_sel:WORD_0 src1_sel:DWORD
	v_mul_u32_u24_sdwa v75, v75, s30 dst_sel:DWORD dst_unused:UNUSED_PAD src0_sel:WORD_1 src1_sel:DWORD
	s_waitcnt lgkmcnt(0)
	v_pk_fma_f16 v60, v50, v45, v60
	v_pk_fma_f16 v61, v50, v73, v61
	;; [unrolled: 1-line block ×16, first 2 shown]
	ds_read2_b64 v[50:53], v46 offset1:32
	v_mul_u32_u24_sdwa v72, v76, s30 dst_sel:DWORD dst_unused:UNUSED_PAD src0_sel:WORD_0 src1_sel:DWORD
	v_mul_u32_u24_sdwa v73, v76, s30 dst_sel:DWORD dst_unused:UNUSED_PAD src0_sel:WORD_1 src1_sel:DWORD
	v_mul_u32_u24_sdwa v74, v77, s30 dst_sel:DWORD dst_unused:UNUSED_PAD src0_sel:WORD_0 src1_sel:DWORD
	v_mul_u32_u24_sdwa v75, v77, s30 dst_sel:DWORD dst_unused:UNUSED_PAD src0_sel:WORD_1 src1_sel:DWORD
	s_waitcnt lgkmcnt(0)
	v_pk_fma_f16 v60, v50, v72, v60
	v_pk_fma_f16 v61, v50, v73, v61
	v_pk_fma_f16 v47, v50, v74, v47
	v_pk_fma_f16 v68, v50, v75, v68
	v_pk_fma_f16 v76, v51, v72, v84
	v_pk_fma_f16 v57, v51, v73, v57
	v_pk_fma_f16 v77, v51, v74, v85
	v_pk_fma_f16 v69, v51, v75, v69
	v_pk_fma_f16 v59, v52, v72, v59
	v_pk_fma_f16 v67, v52, v73, v67
	v_pk_fma_f16 v49, v52, v74, v49
	v_pk_fma_f16 v70, v52, v75, v70
	v_pk_fma_f16 v45, v53, v72, v45
	v_pk_fma_f16 v55, v53, v73, v55
	v_pk_fma_f16 v54, v53, v74, v54
	v_pk_fma_f16 v71, v53, v75, v71
	ds_read2_b64 v[50:53], v46 offset0:64 offset1:96
	v_mul_u32_u24_sdwa v72, v78, s30 dst_sel:DWORD dst_unused:UNUSED_PAD src0_sel:WORD_0 src1_sel:DWORD
	v_mul_u32_u24_sdwa v73, v78, s30 dst_sel:DWORD dst_unused:UNUSED_PAD src0_sel:WORD_1 src1_sel:DWORD
	v_mul_u32_u24_sdwa v74, v79, s30 dst_sel:DWORD dst_unused:UNUSED_PAD src0_sel:WORD_0 src1_sel:DWORD
	v_mul_u32_u24_sdwa v75, v79, s30 dst_sel:DWORD dst_unused:UNUSED_PAD src0_sel:WORD_1 src1_sel:DWORD
	s_waitcnt lgkmcnt(0)
	v_pk_fma_f16 v60, v50, v72, v60
	v_pk_fma_f16 v61, v50, v73, v61
	v_pk_fma_f16 v47, v50, v74, v47
	v_pk_fma_f16 v68, v50, v75, v68
	v_pk_fma_f16 v76, v51, v72, v76
	v_pk_fma_f16 v57, v51, v73, v57
	v_pk_fma_f16 v77, v51, v74, v77
	v_pk_fma_f16 v69, v51, v75, v69
	v_pk_fma_f16 v59, v52, v72, v59
	v_pk_fma_f16 v67, v52, v73, v67
	v_pk_fma_f16 v49, v52, v74, v49
	v_pk_fma_f16 v70, v52, v75, v70
	v_pk_fma_f16 v45, v53, v72, v45
	v_pk_fma_f16 v55, v53, v73, v55
	v_pk_fma_f16 v54, v53, v74, v54
	v_pk_fma_f16 v71, v53, v75, v71
	ds_read2_b64 v[50:53], v46 offset0:128 offset1:160
	;; [unrolled: 22-line block ×3, first 2 shown]
	v_mul_u32_u24_sdwa v46, v82, s30 dst_sel:DWORD dst_unused:UNUSED_PAD src0_sel:WORD_0 src1_sel:DWORD
	v_mul_u32_u24_sdwa v71, v82, s30 dst_sel:DWORD dst_unused:UNUSED_PAD src0_sel:WORD_1 src1_sel:DWORD
	v_mul_u32_u24_sdwa v74, v83, s30 dst_sel:DWORD dst_unused:UNUSED_PAD src0_sel:WORD_1 src1_sel:DWORD
	v_mul_u32_u24_sdwa v73, v83, s30 dst_sel:DWORD dst_unused:UNUSED_PAD src0_sel:WORD_0 src1_sel:DWORD
	s_waitcnt lgkmcnt(0)
	v_pk_fma_f16 v60, v50, v46, v60
	v_pk_fma_f16 v61, v50, v71, v61
	;; [unrolled: 1-line block ×11, first 2 shown]
	ds_read_b128 v[68:71], v63 offset:192
	v_pk_fma_f16 v47, v50, v73, v47
	v_pk_fma_f16 v77, v51, v73, v77
	;; [unrolled: 1-line block ×5, first 2 shown]
	ds_read2_b64 v[50:53], v43 offset1:32
	ds_read_b128 v[72:75], v63 offset:208
	s_waitcnt lgkmcnt(2)
	v_mul_u32_u24_sdwa v81, v68, s30 dst_sel:DWORD dst_unused:UNUSED_PAD src0_sel:WORD_0 src1_sel:DWORD
	v_mul_u32_u24_sdwa v68, v68, s30 dst_sel:DWORD dst_unused:UNUSED_PAD src0_sel:WORD_1 src1_sel:DWORD
	v_mul_u32_u24_sdwa v82, v69, s30 dst_sel:DWORD dst_unused:UNUSED_PAD src0_sel:WORD_0 src1_sel:DWORD
	v_mul_u32_u24_sdwa v69, v69, s30 dst_sel:DWORD dst_unused:UNUSED_PAD src0_sel:WORD_1 src1_sel:DWORD
	s_waitcnt lgkmcnt(1)
	v_pk_fma_f16 v60, v50, v81, v60
	v_pk_fma_f16 v61, v50, v68, v61
	v_pk_fma_f16 v47, v50, v82, v47
	v_pk_fma_f16 v78, v50, v69, v78
	v_pk_fma_f16 v76, v51, v81, v76
	v_pk_fma_f16 v57, v51, v68, v57
	v_pk_fma_f16 v77, v51, v82, v77
	v_pk_fma_f16 v79, v51, v69, v79
	v_pk_fma_f16 v59, v52, v81, v59
	v_pk_fma_f16 v67, v52, v68, v67
	v_pk_fma_f16 v49, v52, v82, v49
	v_pk_fma_f16 v80, v52, v69, v80
	v_pk_fma_f16 v45, v53, v81, v45
	v_pk_fma_f16 v46, v53, v68, v46
	v_pk_fma_f16 v54, v53, v82, v54
	v_pk_fma_f16 v55, v53, v69, v55
	ds_read2_b64 v[50:53], v43 offset0:64 offset1:96
	v_mul_u32_u24_sdwa v68, v70, s30 dst_sel:DWORD dst_unused:UNUSED_PAD src0_sel:WORD_0 src1_sel:DWORD
	v_mul_u32_u24_sdwa v69, v70, s30 dst_sel:DWORD dst_unused:UNUSED_PAD src0_sel:WORD_1 src1_sel:DWORD
	v_mul_u32_u24_sdwa v70, v71, s30 dst_sel:DWORD dst_unused:UNUSED_PAD src0_sel:WORD_0 src1_sel:DWORD
	v_mul_u32_u24_sdwa v71, v71, s30 dst_sel:DWORD dst_unused:UNUSED_PAD src0_sel:WORD_1 src1_sel:DWORD
	s_waitcnt lgkmcnt(0)
	v_pk_fma_f16 v60, v50, v68, v60
	v_pk_fma_f16 v61, v50, v69, v61
	v_pk_fma_f16 v47, v50, v70, v47
	v_pk_fma_f16 v78, v50, v71, v78
	v_pk_fma_f16 v76, v51, v68, v76
	v_pk_fma_f16 v57, v51, v69, v57
	v_pk_fma_f16 v77, v51, v70, v77
	v_pk_fma_f16 v79, v51, v71, v79
	v_pk_fma_f16 v59, v52, v68, v59
	v_pk_fma_f16 v67, v52, v69, v67
	v_pk_fma_f16 v49, v52, v70, v49
	v_pk_fma_f16 v80, v52, v71, v80
	v_pk_fma_f16 v45, v53, v68, v45
	v_pk_fma_f16 v46, v53, v69, v46
	v_pk_fma_f16 v54, v53, v70, v54
	v_pk_fma_f16 v55, v53, v71, v55
	ds_read2_b64 v[50:53], v43 offset0:128 offset1:160
	v_mul_u32_u24_sdwa v68, v72, s30 dst_sel:DWORD dst_unused:UNUSED_PAD src0_sel:WORD_0 src1_sel:DWORD
	v_mul_u32_u24_sdwa v69, v72, s30 dst_sel:DWORD dst_unused:UNUSED_PAD src0_sel:WORD_1 src1_sel:DWORD
	v_mul_u32_u24_sdwa v70, v73, s30 dst_sel:DWORD dst_unused:UNUSED_PAD src0_sel:WORD_0 src1_sel:DWORD
	v_mul_u32_u24_sdwa v71, v73, s30 dst_sel:DWORD dst_unused:UNUSED_PAD src0_sel:WORD_1 src1_sel:DWORD
	s_waitcnt lgkmcnt(0)
	v_pk_fma_f16 v60, v50, v68, v60
	v_pk_fma_f16 v61, v50, v69, v61
	v_pk_fma_f16 v47, v50, v70, v47
	v_pk_fma_f16 v72, v50, v71, v78
	v_pk_fma_f16 v73, v51, v68, v76
	v_pk_fma_f16 v57, v51, v69, v57
	v_pk_fma_f16 v76, v51, v70, v77
	v_pk_fma_f16 v77, v51, v71, v79
	v_pk_fma_f16 v59, v52, v68, v59
	v_pk_fma_f16 v67, v52, v69, v67
	v_pk_fma_f16 v49, v52, v70, v49
	v_pk_fma_f16 v78, v52, v71, v80
	v_pk_fma_f16 v45, v53, v68, v45
	v_pk_fma_f16 v46, v53, v69, v46
	v_pk_fma_f16 v54, v53, v70, v54
	v_pk_fma_f16 v55, v53, v71, v55
	ds_read2_b64 v[50:53], v43 offset0:192 offset1:224
	v_mul_u32_u24_sdwa v43, v74, s30 dst_sel:DWORD dst_unused:UNUSED_PAD src0_sel:WORD_0 src1_sel:DWORD
	v_mul_u32_u24_sdwa v68, v74, s30 dst_sel:DWORD dst_unused:UNUSED_PAD src0_sel:WORD_1 src1_sel:DWORD
	v_mul_u32_u24_sdwa v74, v75, s30 dst_sel:DWORD dst_unused:UNUSED_PAD src0_sel:WORD_0 src1_sel:DWORD
	v_mul_u32_u24_sdwa v75, v75, s30 dst_sel:DWORD dst_unused:UNUSED_PAD src0_sel:WORD_1 src1_sel:DWORD
	s_waitcnt lgkmcnt(0)
	v_pk_fma_f16 v60, v50, v43, v60
	v_pk_fma_f16 v61, v50, v68, v61
	;; [unrolled: 1-line block ×8, first 2 shown]
	ds_read_b128 v[68:71], v63 offset:224
	v_pk_fma_f16 v47, v50, v74, v47
	v_pk_fma_f16 v79, v50, v75, v72
	;; [unrolled: 1-line block ×8, first 2 shown]
	ds_read2_b64 v[50:53], v44 offset1:32
	ds_read_b128 v[72:75], v63 offset:240
	s_waitcnt lgkmcnt(2)
	v_mul_u32_u24_sdwa v55, v68, s30 dst_sel:DWORD dst_unused:UNUSED_PAD src0_sel:WORD_0 src1_sel:DWORD
	v_mul_u32_u24_sdwa v68, v68, s30 dst_sel:DWORD dst_unused:UNUSED_PAD src0_sel:WORD_1 src1_sel:DWORD
	v_mul_u32_u24_sdwa v81, v69, s30 dst_sel:DWORD dst_unused:UNUSED_PAD src0_sel:WORD_0 src1_sel:DWORD
	v_mul_u32_u24_sdwa v69, v69, s30 dst_sel:DWORD dst_unused:UNUSED_PAD src0_sel:WORD_1 src1_sel:DWORD
	s_waitcnt lgkmcnt(1)
	v_pk_fma_f16 v60, v50, v55, v60
	v_pk_fma_f16 v61, v50, v68, v61
	;; [unrolled: 1-line block ×16, first 2 shown]
	ds_read2_b64 v[50:53], v44 offset0:64 offset1:96
	v_mul_u32_u24_sdwa v55, v70, s30 dst_sel:DWORD dst_unused:UNUSED_PAD src0_sel:WORD_0 src1_sel:DWORD
	v_mul_u32_u24_sdwa v68, v70, s30 dst_sel:DWORD dst_unused:UNUSED_PAD src0_sel:WORD_1 src1_sel:DWORD
	v_mul_u32_u24_sdwa v69, v71, s30 dst_sel:DWORD dst_unused:UNUSED_PAD src0_sel:WORD_0 src1_sel:DWORD
	v_mul_u32_u24_sdwa v70, v71, s30 dst_sel:DWORD dst_unused:UNUSED_PAD src0_sel:WORD_1 src1_sel:DWORD
	s_waitcnt lgkmcnt(0)
	v_pk_fma_f16 v60, v50, v55, v60
	v_pk_fma_f16 v61, v50, v68, v61
	;; [unrolled: 1-line block ×16, first 2 shown]
	ds_read2_b64 v[50:53], v44 offset0:128 offset1:160
	v_mul_u32_u24_sdwa v55, v72, s30 dst_sel:DWORD dst_unused:UNUSED_PAD src0_sel:WORD_0 src1_sel:DWORD
	v_mul_u32_u24_sdwa v68, v72, s30 dst_sel:DWORD dst_unused:UNUSED_PAD src0_sel:WORD_1 src1_sel:DWORD
	v_mul_u32_u24_sdwa v69, v73, s30 dst_sel:DWORD dst_unused:UNUSED_PAD src0_sel:WORD_0 src1_sel:DWORD
	v_mul_u32_u24_sdwa v70, v73, s30 dst_sel:DWORD dst_unused:UNUSED_PAD src0_sel:WORD_1 src1_sel:DWORD
	s_waitcnt lgkmcnt(0)
	v_pk_fma_f16 v60, v50, v55, v60
	v_pk_fma_f16 v61, v50, v68, v61
	;; [unrolled: 1-line block ×14, first 2 shown]
	ds_read2_b64 v[68:71], v44 offset0:192 offset1:224
	s_waitcnt lgkmcnt(0)
	s_barrier
	s_load_dword s31, s[6:7], 0x4
	v_pk_fma_f16 v59, v52, v55, v59
	v_pk_fma_f16 v55, v53, v55, v43
	v_mul_u32_u24_sdwa v80, v74, s30 dst_sel:DWORD dst_unused:UNUSED_PAD src0_sel:WORD_0 src1_sel:DWORD
	v_mul_u32_u24_sdwa v74, v74, s30 dst_sel:DWORD dst_unused:UNUSED_PAD src0_sel:WORD_1 src1_sel:DWORD
	s_waitcnt lgkmcnt(0)
	s_lshl_b32 s31, s31, 5
	v_mul_u32_u24_sdwa v81, v75, s30 dst_sel:DWORD dst_unused:UNUSED_PAD src0_sel:WORD_0 src1_sel:DWORD
	v_mul_u32_u24_sdwa v75, v75, s30 dst_sel:DWORD dst_unused:UNUSED_PAD src0_sel:WORD_1 src1_sel:DWORD
	s_add_i32 s12, s31, s12
	v_pk_fma_f16 v53, v68, v80, v60
	v_pk_fma_f16 v52, v68, v74, v61
	;; [unrolled: 1-line block ×15, first 2 shown]
	s_cmp_lt_i32 s12, s13
	v_pk_fma_f16 v46, v71, v75, v79
	s_cbranch_scc0 .LBB42_20
; %bb.18:                               ;   in Loop: Header=BB42_8 Depth=1
	v_mov_b32_e32 v70, v0
	v_mov_b32_e32 v69, v1
	;; [unrolled: 1-line block ×4, first 2 shown]
	s_branch .LBB42_8
.LBB42_19:
	v_mov_b32_e32 v0, 0xfeffffff
	v_mov_b32_e32 v1, v0
	;; [unrolled: 1-line block ×23, first 2 shown]
.LBB42_20:
	s_cmp_gt_i32 s38, s12
	s_cbranch_scc1 .LBB42_22
; %bb.21:
	v_mbcnt_hi_u32_b32 v12, -1, v58
	v_and_b32_e32 v6, 0x60, v12
	v_add_u32_e32 v13, 32, v6
	v_xor_b32_e32 v15, 16, v12
	v_xor_b32_e32 v26, 8, v12
	;; [unrolled: 1-line block ×5, first 2 shown]
	s_cbranch_execz .LBB42_23
	s_branch .LBB42_43
.LBB42_22:
                                        ; implicit-def: $vgpr12
                                        ; implicit-def: $vgpr13
                                        ; implicit-def: $vgpr15
                                        ; implicit-def: $vgpr26
                                        ; implicit-def: $vgpr27
                                        ; implicit-def: $vgpr25
                                        ; implicit-def: $vgpr14
.LBB42_23:
	s_mul_hi_i32 s5, s12, s8
	s_mul_i32 s4, s12, s8
	s_sub_i32 s13, s38, s12
	s_lshl_b64 s[4:5], s[4:5], 2
	v_lshl_add_u32 v10, v40, 1, v5
	s_mov_b64 s[6:7], src_private_base
	s_add_u32 s28, s9, s4
	v_mul_lo_u32 v8, s8, v10
	s_mov_b32 s4, 0
	s_addc_u32 s29, s18, s5
	v_ashrrev_i32_e32 v9, 31, v8
	s_mov_b32 s6, s4
	v_lshlrev_b32_e32 v24, 2, v4
	v_mov_b32_e32 v25, 0
	s_mov_b32 s5, s4
	v_mov_b32_e32 v66, s6
	v_lshl_add_u64 v[4:5], v[8:9], 2, s[28:29]
	v_mov_b32_e32 v65, s5
	v_mov_b32_e32 v64, s4
	v_lshl_add_u64 v[28:29], v[4:5], 0, v[24:25]
	v_mov_b32_e32 v23, s7
	v_cmp_gt_i32_e64 s[4:5], s13, v10
	v_mov_b32_e32 v63, 0
	scratch_store_dword off, v25, off
	scratch_store_dwordx3 off, v[64:66], off offset:4
	v_cndmask_b32_e64 v5, v23, v29, s[4:5]
	v_cndmask_b32_e64 v4, v63, v28, s[4:5]
	flat_load_dwordx4 v[4:7], v[4:5]
	v_lshl_add_u32 v8, s8, 4, v8
	s_movk_i32 s6, 0x110
	v_ashrrev_i32_e32 v9, 31, v8
	v_mad_u32_u24 v62, v10, s6, v24
	v_add_u32_e32 v10, 16, v10
	v_lshl_add_u64 v[8:9], v[8:9], 2, s[28:29]
	v_lshl_add_u64 v[26:27], v[8:9], 0, v[24:25]
	v_cmp_gt_i32_e32 vcc, s13, v10
	scratch_store_dword off, v25, off
	scratch_store_dwordx3 off, v[64:66], off offset:4
	v_cndmask_b32_e32 v9, v23, v27, vcc
	v_cndmask_b32_e32 v8, v63, v26, vcc
	v_mul_u32_u24_e32 v21, 0x110, v38
	s_mov_b64 s[6:7], 0x100
	v_lshl_add_u64 v[28:29], v[28:29], 0, s[6:7]
	v_cndmask_b32_e64 v29, v23, v29, s[4:5]
	v_cndmask_b32_e64 v28, v63, v28, s[4:5]
	s_cmp_lg_u64 s[36:37], 0
	s_cselect_b64 s[4:5], -1, 0
	v_add_u32_e32 v24, s12, v38
	s_waitcnt vmcnt(0) lgkmcnt(0)
	ds_write_b128 v62, v[4:7] offset:16384
	flat_load_dwordx4 v[8:11], v[8:9]
	v_mov_b32_e32 v6, v25
	v_mov_b32_e32 v7, v25
	;; [unrolled: 1-line block ×4, first 2 shown]
	s_waitcnt vmcnt(0) lgkmcnt(0)
	ds_write_b128 v62, v[8:11] offset:20736
	s_waitcnt lgkmcnt(0)
	s_barrier
	ds_read_b128 v[8:11], v21 offset:16384
	ds_read_b128 v[12:15], v56
	ds_read_b128 v[68:71], v56 offset:512
	ds_read_b128 v[72:75], v56 offset:1024
	;; [unrolled: 1-line block ×3, first 2 shown]
	s_waitcnt lgkmcnt(3)
	;;#ASMSTART
	v_dot2_f32_f16 v6, v8, v12, v6
	;;#ASMEND
	s_nop 0
	;;#ASMSTART
	v_dot2_f32_f16 v6, v9, v13, v6
	;;#ASMEND
	s_nop 0
	;;#ASMSTART
	v_dot2_f32_f16 v6, v10, v14, v6
	;;#ASMEND
	s_nop 0
	;;#ASMSTART
	v_dot2_f32_f16 v6, v11, v15, v6
	;;#ASMEND
	s_waitcnt lgkmcnt(2)
	;;#ASMSTART
	v_dot2_f32_f16 v7, v8, v68, v7
	;;#ASMEND
	s_nop 0
	;;#ASMSTART
	v_dot2_f32_f16 v7, v9, v69, v7
	;;#ASMEND
	s_nop 0
	;;#ASMSTART
	v_dot2_f32_f16 v7, v10, v70, v7
	;;#ASMEND
	s_nop 0
	;;#ASMSTART
	v_dot2_f32_f16 v7, v11, v71, v7
	;;#ASMEND
	;; [unrolled: 16-line block ×4, first 2 shown]
	ds_read_b128 v[8:11], v21 offset:16400
	ds_read_b128 v[12:15], v56 offset:16
	;; [unrolled: 1-line block ×5, first 2 shown]
	s_waitcnt lgkmcnt(3)
	;;#ASMSTART
	v_dot2_f32_f16 v6, v8, v12, v6
	;;#ASMEND
	s_nop 0
	;;#ASMSTART
	v_dot2_f32_f16 v6, v9, v13, v6
	;;#ASMEND
	s_nop 0
	;;#ASMSTART
	v_dot2_f32_f16 v6, v10, v14, v6
	;;#ASMEND
	s_nop 0
	;;#ASMSTART
	v_dot2_f32_f16 v6, v11, v15, v6
	;;#ASMEND
	s_waitcnt lgkmcnt(2)
	;;#ASMSTART
	v_dot2_f32_f16 v7, v8, v68, v7
	;;#ASMEND
	s_nop 0
	;;#ASMSTART
	v_dot2_f32_f16 v7, v9, v69, v7
	;;#ASMEND
	s_nop 0
	;;#ASMSTART
	v_dot2_f32_f16 v7, v10, v70, v7
	;;#ASMEND
	s_nop 0
	;;#ASMSTART
	v_dot2_f32_f16 v7, v11, v71, v7
	;;#ASMEND
	;; [unrolled: 16-line block ×4, first 2 shown]
	ds_read_b128 v[8:11], v21 offset:16416
	ds_read_b128 v[12:15], v56 offset:32
	;; [unrolled: 1-line block ×5, first 2 shown]
	s_waitcnt lgkmcnt(3)
	;;#ASMSTART
	v_dot2_f32_f16 v6, v8, v12, v6
	;;#ASMEND
	s_nop 0
	;;#ASMSTART
	v_dot2_f32_f16 v6, v9, v13, v6
	;;#ASMEND
	s_nop 0
	;;#ASMSTART
	v_dot2_f32_f16 v6, v10, v14, v6
	;;#ASMEND
	s_nop 0
	;;#ASMSTART
	v_dot2_f32_f16 v6, v11, v15, v6
	;;#ASMEND
	s_waitcnt lgkmcnt(2)
	;;#ASMSTART
	v_dot2_f32_f16 v7, v8, v68, v7
	;;#ASMEND
	s_nop 0
	;;#ASMSTART
	v_dot2_f32_f16 v7, v9, v69, v7
	;;#ASMEND
	s_nop 0
	;;#ASMSTART
	v_dot2_f32_f16 v7, v10, v70, v7
	;;#ASMEND
	s_nop 0
	;;#ASMSTART
	v_dot2_f32_f16 v7, v11, v71, v7
	;;#ASMEND
	;; [unrolled: 16-line block ×4, first 2 shown]
	ds_read_b128 v[8:11], v21 offset:16432
	ds_read_b128 v[12:15], v56 offset:48
	;; [unrolled: 1-line block ×5, first 2 shown]
	s_waitcnt lgkmcnt(3)
	;;#ASMSTART
	v_dot2_f32_f16 v6, v8, v12, v6
	;;#ASMEND
	s_nop 0
	;;#ASMSTART
	v_dot2_f32_f16 v6, v9, v13, v6
	;;#ASMEND
	s_nop 0
	;;#ASMSTART
	v_dot2_f32_f16 v6, v10, v14, v6
	;;#ASMEND
	s_nop 0
	;;#ASMSTART
	v_dot2_f32_f16 v6, v11, v15, v6
	;;#ASMEND
	s_waitcnt lgkmcnt(2)
	;;#ASMSTART
	v_dot2_f32_f16 v7, v8, v68, v7
	;;#ASMEND
	s_nop 0
	;;#ASMSTART
	v_dot2_f32_f16 v7, v9, v69, v7
	;;#ASMEND
	s_nop 0
	;;#ASMSTART
	v_dot2_f32_f16 v7, v10, v70, v7
	;;#ASMEND
	s_nop 0
	;;#ASMSTART
	v_dot2_f32_f16 v7, v11, v71, v7
	;;#ASMEND
	s_waitcnt lgkmcnt(1)
	;;#ASMSTART
	v_dot2_f32_f16 v4, v8, v72, v4
	;;#ASMEND
	s_nop 0
	;;#ASMSTART
	v_dot2_f32_f16 v4, v9, v73, v4
	;;#ASMEND
	s_nop 0
	;;#ASMSTART
	v_dot2_f32_f16 v4, v10, v74, v4
	;;#ASMEND
	s_nop 0
	;;#ASMSTART
	v_dot2_f32_f16 v4, v11, v75, v4
	;;#ASMEND
	s_waitcnt lgkmcnt(0)
	;;#ASMSTART
	v_dot2_f32_f16 v5, v8, v76, v5
	;;#ASMEND
	s_nop 0
	;;#ASMSTART
	v_dot2_f32_f16 v5, v9, v77, v5
	;;#ASMEND
	s_nop 0
	;;#ASMSTART
	v_dot2_f32_f16 v5, v10, v78, v5
	;;#ASMEND
	s_nop 0
	;;#ASMSTART
	v_dot2_f32_f16 v5, v11, v79, v5
	;;#ASMEND
	ds_read_b128 v[8:11], v21 offset:16448
	ds_read_b128 v[12:15], v56 offset:64
	;; [unrolled: 1-line block ×5, first 2 shown]
	s_waitcnt lgkmcnt(3)
	;;#ASMSTART
	v_dot2_f32_f16 v6, v8, v12, v6
	;;#ASMEND
	s_nop 0
	;;#ASMSTART
	v_dot2_f32_f16 v6, v9, v13, v6
	;;#ASMEND
	s_nop 0
	;;#ASMSTART
	v_dot2_f32_f16 v6, v10, v14, v6
	;;#ASMEND
	s_nop 0
	;;#ASMSTART
	v_dot2_f32_f16 v6, v11, v15, v6
	;;#ASMEND
	s_waitcnt lgkmcnt(2)
	;;#ASMSTART
	v_dot2_f32_f16 v7, v8, v68, v7
	;;#ASMEND
	s_nop 0
	;;#ASMSTART
	v_dot2_f32_f16 v7, v9, v69, v7
	;;#ASMEND
	s_nop 0
	;;#ASMSTART
	v_dot2_f32_f16 v7, v10, v70, v7
	;;#ASMEND
	s_nop 0
	;;#ASMSTART
	v_dot2_f32_f16 v7, v11, v71, v7
	;;#ASMEND
	;; [unrolled: 16-line block ×4, first 2 shown]
	ds_read_b128 v[8:11], v21 offset:16464
	ds_read_b128 v[12:15], v56 offset:80
	;; [unrolled: 1-line block ×5, first 2 shown]
	s_waitcnt lgkmcnt(3)
	;;#ASMSTART
	v_dot2_f32_f16 v6, v8, v12, v6
	;;#ASMEND
	s_nop 0
	;;#ASMSTART
	v_dot2_f32_f16 v6, v9, v13, v6
	;;#ASMEND
	s_nop 0
	;;#ASMSTART
	v_dot2_f32_f16 v6, v10, v14, v6
	;;#ASMEND
	s_nop 0
	;;#ASMSTART
	v_dot2_f32_f16 v6, v11, v15, v6
	;;#ASMEND
	s_waitcnt lgkmcnt(2)
	;;#ASMSTART
	v_dot2_f32_f16 v7, v8, v68, v7
	;;#ASMEND
	s_nop 0
	;;#ASMSTART
	v_dot2_f32_f16 v7, v9, v69, v7
	;;#ASMEND
	s_nop 0
	;;#ASMSTART
	v_dot2_f32_f16 v7, v10, v70, v7
	;;#ASMEND
	s_nop 0
	;;#ASMSTART
	v_dot2_f32_f16 v7, v11, v71, v7
	;;#ASMEND
	;; [unrolled: 16-line block ×4, first 2 shown]
	ds_read_b128 v[8:11], v21 offset:16480
	ds_read_b128 v[12:15], v56 offset:96
	;; [unrolled: 1-line block ×5, first 2 shown]
	s_waitcnt lgkmcnt(3)
	;;#ASMSTART
	v_dot2_f32_f16 v6, v8, v12, v6
	;;#ASMEND
	s_nop 0
	;;#ASMSTART
	v_dot2_f32_f16 v6, v9, v13, v6
	;;#ASMEND
	s_nop 0
	;;#ASMSTART
	v_dot2_f32_f16 v6, v10, v14, v6
	;;#ASMEND
	s_nop 0
	;;#ASMSTART
	v_dot2_f32_f16 v6, v11, v15, v6
	;;#ASMEND
	s_waitcnt lgkmcnt(2)
	;;#ASMSTART
	v_dot2_f32_f16 v7, v8, v68, v7
	;;#ASMEND
	s_nop 0
	;;#ASMSTART
	v_dot2_f32_f16 v7, v9, v69, v7
	;;#ASMEND
	s_nop 0
	;;#ASMSTART
	v_dot2_f32_f16 v7, v10, v70, v7
	;;#ASMEND
	s_nop 0
	;;#ASMSTART
	v_dot2_f32_f16 v7, v11, v71, v7
	;;#ASMEND
	;; [unrolled: 16-line block ×4, first 2 shown]
	ds_read_b128 v[8:11], v21 offset:16496
	ds_read_b128 v[12:15], v56 offset:112
	;; [unrolled: 1-line block ×5, first 2 shown]
	s_waitcnt lgkmcnt(3)
	;;#ASMSTART
	v_dot2_f32_f16 v6, v8, v12, v6
	;;#ASMEND
	s_nop 0
	;;#ASMSTART
	v_dot2_f32_f16 v6, v9, v13, v6
	;;#ASMEND
	s_nop 0
	;;#ASMSTART
	v_dot2_f32_f16 v6, v10, v14, v6
	;;#ASMEND
	s_nop 0
	;;#ASMSTART
	v_dot2_f32_f16 v6, v11, v15, v6
	;;#ASMEND
	s_waitcnt lgkmcnt(2)
	;;#ASMSTART
	v_dot2_f32_f16 v7, v8, v68, v7
	;;#ASMEND
	s_nop 0
	;;#ASMSTART
	v_dot2_f32_f16 v7, v9, v69, v7
	;;#ASMEND
	s_nop 0
	;;#ASMSTART
	v_dot2_f32_f16 v7, v10, v70, v7
	;;#ASMEND
	s_nop 0
	;;#ASMSTART
	v_dot2_f32_f16 v7, v11, v71, v7
	;;#ASMEND
	s_waitcnt lgkmcnt(1)
	;;#ASMSTART
	v_dot2_f32_f16 v4, v8, v72, v4
	;;#ASMEND
	s_nop 0
	;;#ASMSTART
	v_dot2_f32_f16 v4, v9, v73, v4
	;;#ASMEND
	s_nop 0
	;;#ASMSTART
	v_dot2_f32_f16 v4, v10, v74, v4
	;;#ASMEND
	s_nop 0
	;;#ASMSTART
	v_dot2_f32_f16 v4, v11, v75, v4
	;;#ASMEND
	s_waitcnt lgkmcnt(0)
	;;#ASMSTART
	v_dot2_f32_f16 v5, v8, v76, v5
	;;#ASMEND
	s_nop 0
	;;#ASMSTART
	v_dot2_f32_f16 v5, v9, v77, v5
	;;#ASMEND
	s_nop 0
	;;#ASMSTART
	v_dot2_f32_f16 v5, v10, v78, v5
	;;#ASMEND
	s_nop 0
	;;#ASMSTART
	v_dot2_f32_f16 v5, v11, v79, v5
	;;#ASMEND
	ds_read_b128 v[8:11], v21 offset:16512
	ds_read_b128 v[12:15], v56 offset:128
	;; [unrolled: 1-line block ×5, first 2 shown]
	s_waitcnt lgkmcnt(3)
	;;#ASMSTART
	v_dot2_f32_f16 v6, v8, v12, v6
	;;#ASMEND
	s_nop 0
	;;#ASMSTART
	v_dot2_f32_f16 v6, v9, v13, v6
	;;#ASMEND
	s_nop 0
	;;#ASMSTART
	v_dot2_f32_f16 v6, v10, v14, v6
	;;#ASMEND
	s_nop 0
	;;#ASMSTART
	v_dot2_f32_f16 v6, v11, v15, v6
	;;#ASMEND
	s_waitcnt lgkmcnt(2)
	;;#ASMSTART
	v_dot2_f32_f16 v7, v8, v68, v7
	;;#ASMEND
	s_nop 0
	;;#ASMSTART
	v_dot2_f32_f16 v7, v9, v69, v7
	;;#ASMEND
	s_nop 0
	;;#ASMSTART
	v_dot2_f32_f16 v7, v10, v70, v7
	;;#ASMEND
	s_nop 0
	;;#ASMSTART
	v_dot2_f32_f16 v7, v11, v71, v7
	;;#ASMEND
	s_waitcnt lgkmcnt(1)
	;;#ASMSTART
	v_dot2_f32_f16 v4, v8, v72, v4
	;;#ASMEND
	s_nop 0
	;;#ASMSTART
	v_dot2_f32_f16 v4, v9, v73, v4
	;;#ASMEND
	s_nop 0
	;;#ASMSTART
	v_dot2_f32_f16 v4, v10, v74, v4
	;;#ASMEND
	s_nop 0
	;;#ASMSTART
	v_dot2_f32_f16 v4, v11, v75, v4
	;;#ASMEND
	s_waitcnt lgkmcnt(0)
	;;#ASMSTART
	v_dot2_f32_f16 v5, v8, v76, v5
	;;#ASMEND
	s_nop 0
	;;#ASMSTART
	v_dot2_f32_f16 v5, v9, v77, v5
	;;#ASMEND
	s_nop 0
	;;#ASMSTART
	v_dot2_f32_f16 v5, v10, v78, v5
	;;#ASMEND
	s_nop 0
	;;#ASMSTART
	v_dot2_f32_f16 v5, v11, v79, v5
	;;#ASMEND
	ds_read_b128 v[8:11], v21 offset:16528
	ds_read_b128 v[12:15], v56 offset:144
	;; [unrolled: 1-line block ×5, first 2 shown]
	s_waitcnt lgkmcnt(3)
	;;#ASMSTART
	v_dot2_f32_f16 v6, v8, v12, v6
	;;#ASMEND
	s_nop 0
	;;#ASMSTART
	v_dot2_f32_f16 v6, v9, v13, v6
	;;#ASMEND
	s_nop 0
	;;#ASMSTART
	v_dot2_f32_f16 v6, v10, v14, v6
	;;#ASMEND
	s_nop 0
	;;#ASMSTART
	v_dot2_f32_f16 v6, v11, v15, v6
	;;#ASMEND
	s_waitcnt lgkmcnt(2)
	;;#ASMSTART
	v_dot2_f32_f16 v7, v8, v68, v7
	;;#ASMEND
	s_nop 0
	;;#ASMSTART
	v_dot2_f32_f16 v7, v9, v69, v7
	;;#ASMEND
	s_nop 0
	;;#ASMSTART
	v_dot2_f32_f16 v7, v10, v70, v7
	;;#ASMEND
	s_nop 0
	;;#ASMSTART
	v_dot2_f32_f16 v7, v11, v71, v7
	;;#ASMEND
	;; [unrolled: 16-line block ×4, first 2 shown]
	ds_read_b128 v[8:11], v21 offset:16544
	ds_read_b128 v[12:15], v56 offset:160
	;; [unrolled: 1-line block ×5, first 2 shown]
	s_waitcnt lgkmcnt(3)
	;;#ASMSTART
	v_dot2_f32_f16 v6, v8, v12, v6
	;;#ASMEND
	s_nop 0
	;;#ASMSTART
	v_dot2_f32_f16 v6, v9, v13, v6
	;;#ASMEND
	s_nop 0
	;;#ASMSTART
	v_dot2_f32_f16 v6, v10, v14, v6
	;;#ASMEND
	s_nop 0
	;;#ASMSTART
	v_dot2_f32_f16 v6, v11, v15, v6
	;;#ASMEND
	s_waitcnt lgkmcnt(2)
	;;#ASMSTART
	v_dot2_f32_f16 v7, v8, v68, v7
	;;#ASMEND
	s_nop 0
	;;#ASMSTART
	v_dot2_f32_f16 v7, v9, v69, v7
	;;#ASMEND
	s_nop 0
	;;#ASMSTART
	v_dot2_f32_f16 v7, v10, v70, v7
	;;#ASMEND
	s_nop 0
	;;#ASMSTART
	v_dot2_f32_f16 v7, v11, v71, v7
	;;#ASMEND
	s_waitcnt lgkmcnt(1)
	;;#ASMSTART
	v_dot2_f32_f16 v4, v8, v72, v4
	;;#ASMEND
	s_nop 0
	;;#ASMSTART
	v_dot2_f32_f16 v4, v9, v73, v4
	;;#ASMEND
	s_nop 0
	;;#ASMSTART
	v_dot2_f32_f16 v4, v10, v74, v4
	;;#ASMEND
	s_nop 0
	;;#ASMSTART
	v_dot2_f32_f16 v4, v11, v75, v4
	;;#ASMEND
	s_waitcnt lgkmcnt(0)
	;;#ASMSTART
	v_dot2_f32_f16 v5, v8, v76, v5
	;;#ASMEND
	s_nop 0
	;;#ASMSTART
	v_dot2_f32_f16 v5, v9, v77, v5
	;;#ASMEND
	s_nop 0
	;;#ASMSTART
	v_dot2_f32_f16 v5, v10, v78, v5
	;;#ASMEND
	s_nop 0
	;;#ASMSTART
	v_dot2_f32_f16 v5, v11, v79, v5
	;;#ASMEND
	ds_read_b128 v[8:11], v21 offset:16560
	ds_read_b128 v[12:15], v56 offset:176
	;; [unrolled: 1-line block ×5, first 2 shown]
	s_waitcnt lgkmcnt(3)
	;;#ASMSTART
	v_dot2_f32_f16 v6, v8, v12, v6
	;;#ASMEND
	s_nop 0
	;;#ASMSTART
	v_dot2_f32_f16 v6, v9, v13, v6
	;;#ASMEND
	s_nop 0
	;;#ASMSTART
	v_dot2_f32_f16 v6, v10, v14, v6
	;;#ASMEND
	s_nop 0
	;;#ASMSTART
	v_dot2_f32_f16 v6, v11, v15, v6
	;;#ASMEND
	s_waitcnt lgkmcnt(2)
	;;#ASMSTART
	v_dot2_f32_f16 v7, v8, v68, v7
	;;#ASMEND
	s_nop 0
	;;#ASMSTART
	v_dot2_f32_f16 v7, v9, v69, v7
	;;#ASMEND
	s_nop 0
	;;#ASMSTART
	v_dot2_f32_f16 v7, v10, v70, v7
	;;#ASMEND
	s_nop 0
	;;#ASMSTART
	v_dot2_f32_f16 v7, v11, v71, v7
	;;#ASMEND
	;; [unrolled: 16-line block ×4, first 2 shown]
	ds_read_b128 v[8:11], v21 offset:16576
	ds_read_b128 v[12:15], v56 offset:192
	;; [unrolled: 1-line block ×5, first 2 shown]
	s_waitcnt lgkmcnt(3)
	;;#ASMSTART
	v_dot2_f32_f16 v6, v8, v12, v6
	;;#ASMEND
	s_nop 0
	;;#ASMSTART
	v_dot2_f32_f16 v6, v9, v13, v6
	;;#ASMEND
	s_nop 0
	;;#ASMSTART
	v_dot2_f32_f16 v6, v10, v14, v6
	;;#ASMEND
	s_nop 0
	;;#ASMSTART
	v_dot2_f32_f16 v6, v11, v15, v6
	;;#ASMEND
	s_waitcnt lgkmcnt(2)
	;;#ASMSTART
	v_dot2_f32_f16 v7, v8, v68, v7
	;;#ASMEND
	s_nop 0
	;;#ASMSTART
	v_dot2_f32_f16 v7, v9, v69, v7
	;;#ASMEND
	s_nop 0
	;;#ASMSTART
	v_dot2_f32_f16 v7, v10, v70, v7
	;;#ASMEND
	s_nop 0
	;;#ASMSTART
	v_dot2_f32_f16 v7, v11, v71, v7
	;;#ASMEND
	;; [unrolled: 16-line block ×4, first 2 shown]
	ds_read_b128 v[8:11], v21 offset:16592
	ds_read_b128 v[12:15], v56 offset:208
	;; [unrolled: 1-line block ×5, first 2 shown]
	s_waitcnt lgkmcnt(3)
	;;#ASMSTART
	v_dot2_f32_f16 v6, v8, v12, v6
	;;#ASMEND
	s_nop 0
	;;#ASMSTART
	v_dot2_f32_f16 v6, v9, v13, v6
	;;#ASMEND
	s_nop 0
	;;#ASMSTART
	v_dot2_f32_f16 v6, v10, v14, v6
	;;#ASMEND
	s_nop 0
	;;#ASMSTART
	v_dot2_f32_f16 v6, v11, v15, v6
	;;#ASMEND
	s_waitcnt lgkmcnt(2)
	;;#ASMSTART
	v_dot2_f32_f16 v7, v8, v68, v7
	;;#ASMEND
	s_nop 0
	;;#ASMSTART
	v_dot2_f32_f16 v7, v9, v69, v7
	;;#ASMEND
	s_nop 0
	;;#ASMSTART
	v_dot2_f32_f16 v7, v10, v70, v7
	;;#ASMEND
	s_nop 0
	;;#ASMSTART
	v_dot2_f32_f16 v7, v11, v71, v7
	;;#ASMEND
	;; [unrolled: 16-line block ×4, first 2 shown]
	ds_read_b128 v[8:11], v21 offset:16608
	ds_read_b128 v[12:15], v56 offset:224
	;; [unrolled: 1-line block ×5, first 2 shown]
	s_waitcnt lgkmcnt(3)
	;;#ASMSTART
	v_dot2_f32_f16 v6, v8, v12, v6
	;;#ASMEND
	s_nop 0
	;;#ASMSTART
	v_dot2_f32_f16 v6, v9, v13, v6
	;;#ASMEND
	s_nop 0
	;;#ASMSTART
	v_dot2_f32_f16 v6, v10, v14, v6
	;;#ASMEND
	s_nop 0
	;;#ASMSTART
	v_dot2_f32_f16 v6, v11, v15, v6
	;;#ASMEND
	s_waitcnt lgkmcnt(2)
	;;#ASMSTART
	v_dot2_f32_f16 v7, v8, v68, v7
	;;#ASMEND
	s_nop 0
	;;#ASMSTART
	v_dot2_f32_f16 v7, v9, v69, v7
	;;#ASMEND
	s_nop 0
	;;#ASMSTART
	v_dot2_f32_f16 v7, v10, v70, v7
	;;#ASMEND
	s_nop 0
	;;#ASMSTART
	v_dot2_f32_f16 v7, v11, v71, v7
	;;#ASMEND
	;; [unrolled: 16-line block ×4, first 2 shown]
	ds_read_b128 v[8:11], v21 offset:16624
	ds_read_b128 v[12:15], v56 offset:240
	;; [unrolled: 1-line block ×5, first 2 shown]
	s_waitcnt lgkmcnt(3)
	;;#ASMSTART
	v_dot2_f32_f16 v6, v8, v12, v6
	;;#ASMEND
	s_nop 0
	;;#ASMSTART
	v_dot2_f32_f16 v6, v9, v13, v6
	;;#ASMEND
	v_lshl_add_u64 v[12:13], v[26:27], 0, s[6:7]
	;;#ASMSTART
	v_dot2_f32_f16 v6, v10, v14, v6
	;;#ASMEND
	v_cndmask_b32_e32 v13, v23, v13, vcc
	;;#ASMSTART
	v_dot2_f32_f16 v6, v11, v15, v6
	;;#ASMEND
	s_waitcnt lgkmcnt(2)
	;;#ASMSTART
	v_dot2_f32_f16 v7, v8, v68, v7
	;;#ASMEND
	v_cndmask_b32_e32 v12, v63, v12, vcc
	;;#ASMSTART
	v_dot2_f32_f16 v7, v9, v69, v7
	;;#ASMEND
	v_cmp_gt_i32_e64 s[6:7], s13, v38
	;;#ASMSTART
	v_dot2_f32_f16 v7, v10, v70, v7
	;;#ASMEND
	s_nop 0
	;;#ASMSTART
	v_dot2_f32_f16 v7, v11, v71, v7
	;;#ASMEND
	s_waitcnt lgkmcnt(1)
	;;#ASMSTART
	v_dot2_f32_f16 v4, v8, v72, v4
	;;#ASMEND
	s_nop 0
	;;#ASMSTART
	v_dot2_f32_f16 v4, v9, v73, v4
	;;#ASMEND
	s_nop 0
	;; [unrolled: 4-line block ×3, first 2 shown]
	;;#ASMSTART
	v_dot2_f32_f16 v4, v11, v75, v4
	;;#ASMEND
	s_waitcnt lgkmcnt(0)
	;;#ASMSTART
	v_dot2_f32_f16 v5, v8, v76, v5
	;;#ASMEND
	s_nop 0
	;;#ASMSTART
	v_dot2_f32_f16 v5, v9, v77, v5
	;;#ASMEND
	s_nop 0
	;; [unrolled: 4-line block ×3, first 2 shown]
	;;#ASMSTART
	v_dot2_f32_f16 v5, v11, v79, v5
	;;#ASMEND
	s_barrier
	scratch_store_dword off, v25, off
	scratch_store_dwordx3 off, v[64:66], off offset:4
	flat_load_dwordx4 v[8:11], v[28:29]
	s_nop 0
	scratch_store_dword off, v25, off
	scratch_store_dwordx3 off, v[64:66], off offset:4
	s_waitcnt vmcnt(0) lgkmcnt(0)
	ds_write_b128 v62, v[8:11] offset:16384
	flat_load_dwordx4 v[8:11], v[12:13]
	s_waitcnt vmcnt(0) lgkmcnt(0)
	ds_write_b128 v62, v[8:11] offset:20736
	s_waitcnt lgkmcnt(0)
	s_barrier
	ds_read_b128 v[8:11], v21 offset:16384
	ds_read_b128 v[12:15], v56 offset:256
	;; [unrolled: 1-line block ×5, first 2 shown]
	s_waitcnt lgkmcnt(3)
	;;#ASMSTART
	v_dot2_f32_f16 v6, v8, v12, v6
	;;#ASMEND
	s_nop 0
	;;#ASMSTART
	v_dot2_f32_f16 v6, v9, v13, v6
	;;#ASMEND
	s_nop 0
	;;#ASMSTART
	v_dot2_f32_f16 v6, v10, v14, v6
	;;#ASMEND
	s_nop 0
	;;#ASMSTART
	v_dot2_f32_f16 v6, v11, v15, v6
	;;#ASMEND
	s_waitcnt lgkmcnt(2)
	;;#ASMSTART
	v_dot2_f32_f16 v7, v8, v26, v7
	;;#ASMEND
	s_nop 0
	;;#ASMSTART
	v_dot2_f32_f16 v7, v9, v27, v7
	;;#ASMEND
	s_nop 0
	;;#ASMSTART
	v_dot2_f32_f16 v7, v10, v28, v7
	;;#ASMEND
	s_nop 0
	;;#ASMSTART
	v_dot2_f32_f16 v7, v11, v29, v7
	;;#ASMEND
	;; [unrolled: 16-line block ×4, first 2 shown]
	ds_read_b128 v[8:11], v21 offset:16400
	ds_read_b128 v[12:15], v56 offset:272
	ds_read_b128 v[26:29], v56 offset:784
	ds_read_b128 v[62:65], v56 offset:1296
	ds_read_b128 v[66:69], v56 offset:1808
	s_waitcnt lgkmcnt(3)
	;;#ASMSTART
	v_dot2_f32_f16 v6, v8, v12, v6
	;;#ASMEND
	s_nop 0
	;;#ASMSTART
	v_dot2_f32_f16 v6, v9, v13, v6
	;;#ASMEND
	s_nop 0
	;;#ASMSTART
	v_dot2_f32_f16 v6, v10, v14, v6
	;;#ASMEND
	s_nop 0
	;;#ASMSTART
	v_dot2_f32_f16 v6, v11, v15, v6
	;;#ASMEND
	s_waitcnt lgkmcnt(2)
	;;#ASMSTART
	v_dot2_f32_f16 v7, v8, v26, v7
	;;#ASMEND
	s_nop 0
	;;#ASMSTART
	v_dot2_f32_f16 v7, v9, v27, v7
	;;#ASMEND
	s_nop 0
	;;#ASMSTART
	v_dot2_f32_f16 v7, v10, v28, v7
	;;#ASMEND
	s_nop 0
	;;#ASMSTART
	v_dot2_f32_f16 v7, v11, v29, v7
	;;#ASMEND
	;; [unrolled: 16-line block ×4, first 2 shown]
	ds_read_b128 v[8:11], v21 offset:16416
	ds_read_b128 v[12:15], v56 offset:288
	;; [unrolled: 1-line block ×5, first 2 shown]
	s_waitcnt lgkmcnt(3)
	;;#ASMSTART
	v_dot2_f32_f16 v6, v8, v12, v6
	;;#ASMEND
	s_nop 0
	;;#ASMSTART
	v_dot2_f32_f16 v6, v9, v13, v6
	;;#ASMEND
	s_nop 0
	;;#ASMSTART
	v_dot2_f32_f16 v6, v10, v14, v6
	;;#ASMEND
	s_nop 0
	;;#ASMSTART
	v_dot2_f32_f16 v6, v11, v15, v6
	;;#ASMEND
	s_waitcnt lgkmcnt(2)
	;;#ASMSTART
	v_dot2_f32_f16 v7, v8, v26, v7
	;;#ASMEND
	s_nop 0
	;;#ASMSTART
	v_dot2_f32_f16 v7, v9, v27, v7
	;;#ASMEND
	s_nop 0
	;;#ASMSTART
	v_dot2_f32_f16 v7, v10, v28, v7
	;;#ASMEND
	s_nop 0
	;;#ASMSTART
	v_dot2_f32_f16 v7, v11, v29, v7
	;;#ASMEND
	s_waitcnt lgkmcnt(1)
	;;#ASMSTART
	v_dot2_f32_f16 v4, v8, v62, v4
	;;#ASMEND
	s_nop 0
	;;#ASMSTART
	v_dot2_f32_f16 v4, v9, v63, v4
	;;#ASMEND
	s_nop 0
	;;#ASMSTART
	v_dot2_f32_f16 v4, v10, v64, v4
	;;#ASMEND
	s_nop 0
	;;#ASMSTART
	v_dot2_f32_f16 v4, v11, v65, v4
	;;#ASMEND
	s_waitcnt lgkmcnt(0)
	;;#ASMSTART
	v_dot2_f32_f16 v5, v8, v66, v5
	;;#ASMEND
	s_nop 0
	;;#ASMSTART
	v_dot2_f32_f16 v5, v9, v67, v5
	;;#ASMEND
	s_nop 0
	;;#ASMSTART
	v_dot2_f32_f16 v5, v10, v68, v5
	;;#ASMEND
	s_nop 0
	;;#ASMSTART
	v_dot2_f32_f16 v5, v11, v69, v5
	;;#ASMEND
	ds_read_b128 v[8:11], v21 offset:16432
	ds_read_b128 v[12:15], v56 offset:304
	;; [unrolled: 1-line block ×5, first 2 shown]
	s_waitcnt lgkmcnt(3)
	;;#ASMSTART
	v_dot2_f32_f16 v6, v8, v12, v6
	;;#ASMEND
	s_nop 0
	;;#ASMSTART
	v_dot2_f32_f16 v6, v9, v13, v6
	;;#ASMEND
	s_nop 0
	;;#ASMSTART
	v_dot2_f32_f16 v6, v10, v14, v6
	;;#ASMEND
	s_nop 0
	;;#ASMSTART
	v_dot2_f32_f16 v6, v11, v15, v6
	;;#ASMEND
	s_waitcnt lgkmcnt(2)
	;;#ASMSTART
	v_dot2_f32_f16 v7, v8, v26, v7
	;;#ASMEND
	s_nop 0
	;;#ASMSTART
	v_dot2_f32_f16 v7, v9, v27, v7
	;;#ASMEND
	s_nop 0
	;;#ASMSTART
	v_dot2_f32_f16 v7, v10, v28, v7
	;;#ASMEND
	s_nop 0
	;;#ASMSTART
	v_dot2_f32_f16 v7, v11, v29, v7
	;;#ASMEND
	;; [unrolled: 16-line block ×4, first 2 shown]
	ds_read_b128 v[8:11], v21 offset:16448
	ds_read_b128 v[12:15], v56 offset:320
	ds_read_b128 v[26:29], v56 offset:832
	ds_read_b128 v[62:65], v56 offset:1344
	ds_read_b128 v[66:69], v56 offset:1856
	s_waitcnt lgkmcnt(3)
	;;#ASMSTART
	v_dot2_f32_f16 v6, v8, v12, v6
	;;#ASMEND
	s_nop 0
	;;#ASMSTART
	v_dot2_f32_f16 v6, v9, v13, v6
	;;#ASMEND
	s_nop 0
	;;#ASMSTART
	v_dot2_f32_f16 v6, v10, v14, v6
	;;#ASMEND
	s_nop 0
	;;#ASMSTART
	v_dot2_f32_f16 v6, v11, v15, v6
	;;#ASMEND
	s_waitcnt lgkmcnt(2)
	;;#ASMSTART
	v_dot2_f32_f16 v7, v8, v26, v7
	;;#ASMEND
	s_nop 0
	;;#ASMSTART
	v_dot2_f32_f16 v7, v9, v27, v7
	;;#ASMEND
	s_nop 0
	;;#ASMSTART
	v_dot2_f32_f16 v7, v10, v28, v7
	;;#ASMEND
	s_nop 0
	;;#ASMSTART
	v_dot2_f32_f16 v7, v11, v29, v7
	;;#ASMEND
	;; [unrolled: 16-line block ×4, first 2 shown]
	ds_read_b128 v[8:11], v21 offset:16464
	ds_read_b128 v[12:15], v56 offset:336
	;; [unrolled: 1-line block ×5, first 2 shown]
	s_waitcnt lgkmcnt(3)
	;;#ASMSTART
	v_dot2_f32_f16 v6, v8, v12, v6
	;;#ASMEND
	s_nop 0
	;;#ASMSTART
	v_dot2_f32_f16 v6, v9, v13, v6
	;;#ASMEND
	s_nop 0
	;;#ASMSTART
	v_dot2_f32_f16 v6, v10, v14, v6
	;;#ASMEND
	s_nop 0
	;;#ASMSTART
	v_dot2_f32_f16 v6, v11, v15, v6
	;;#ASMEND
	s_waitcnt lgkmcnt(2)
	;;#ASMSTART
	v_dot2_f32_f16 v7, v8, v26, v7
	;;#ASMEND
	s_nop 0
	;;#ASMSTART
	v_dot2_f32_f16 v7, v9, v27, v7
	;;#ASMEND
	s_nop 0
	;;#ASMSTART
	v_dot2_f32_f16 v7, v10, v28, v7
	;;#ASMEND
	s_nop 0
	;;#ASMSTART
	v_dot2_f32_f16 v7, v11, v29, v7
	;;#ASMEND
	;; [unrolled: 16-line block ×4, first 2 shown]
	ds_read_b128 v[8:11], v21 offset:16480
	ds_read_b128 v[12:15], v56 offset:352
	;; [unrolled: 1-line block ×5, first 2 shown]
	s_waitcnt lgkmcnt(3)
	;;#ASMSTART
	v_dot2_f32_f16 v6, v8, v12, v6
	;;#ASMEND
	s_nop 0
	;;#ASMSTART
	v_dot2_f32_f16 v6, v9, v13, v6
	;;#ASMEND
	s_nop 0
	;;#ASMSTART
	v_dot2_f32_f16 v6, v10, v14, v6
	;;#ASMEND
	s_nop 0
	;;#ASMSTART
	v_dot2_f32_f16 v6, v11, v15, v6
	;;#ASMEND
	s_waitcnt lgkmcnt(2)
	;;#ASMSTART
	v_dot2_f32_f16 v7, v8, v26, v7
	;;#ASMEND
	s_nop 0
	;;#ASMSTART
	v_dot2_f32_f16 v7, v9, v27, v7
	;;#ASMEND
	s_nop 0
	;;#ASMSTART
	v_dot2_f32_f16 v7, v10, v28, v7
	;;#ASMEND
	s_nop 0
	;;#ASMSTART
	v_dot2_f32_f16 v7, v11, v29, v7
	;;#ASMEND
	;; [unrolled: 16-line block ×4, first 2 shown]
	ds_read_b128 v[8:11], v21 offset:16496
	ds_read_b128 v[12:15], v56 offset:368
	;; [unrolled: 1-line block ×5, first 2 shown]
	s_waitcnt lgkmcnt(3)
	;;#ASMSTART
	v_dot2_f32_f16 v6, v8, v12, v6
	;;#ASMEND
	s_nop 0
	;;#ASMSTART
	v_dot2_f32_f16 v6, v9, v13, v6
	;;#ASMEND
	s_nop 0
	;;#ASMSTART
	v_dot2_f32_f16 v6, v10, v14, v6
	;;#ASMEND
	s_nop 0
	;;#ASMSTART
	v_dot2_f32_f16 v6, v11, v15, v6
	;;#ASMEND
	s_waitcnt lgkmcnt(2)
	;;#ASMSTART
	v_dot2_f32_f16 v7, v8, v26, v7
	;;#ASMEND
	s_nop 0
	;;#ASMSTART
	v_dot2_f32_f16 v7, v9, v27, v7
	;;#ASMEND
	s_nop 0
	;;#ASMSTART
	v_dot2_f32_f16 v7, v10, v28, v7
	;;#ASMEND
	s_nop 0
	;;#ASMSTART
	v_dot2_f32_f16 v7, v11, v29, v7
	;;#ASMEND
	;; [unrolled: 16-line block ×4, first 2 shown]
	ds_read_b128 v[8:11], v21 offset:16512
	ds_read_b128 v[12:15], v56 offset:384
	;; [unrolled: 1-line block ×5, first 2 shown]
	s_waitcnt lgkmcnt(3)
	;;#ASMSTART
	v_dot2_f32_f16 v6, v8, v12, v6
	;;#ASMEND
	s_nop 0
	;;#ASMSTART
	v_dot2_f32_f16 v6, v9, v13, v6
	;;#ASMEND
	s_nop 0
	;;#ASMSTART
	v_dot2_f32_f16 v6, v10, v14, v6
	;;#ASMEND
	s_nop 0
	;;#ASMSTART
	v_dot2_f32_f16 v6, v11, v15, v6
	;;#ASMEND
	s_waitcnt lgkmcnt(2)
	;;#ASMSTART
	v_dot2_f32_f16 v7, v8, v26, v7
	;;#ASMEND
	s_nop 0
	;;#ASMSTART
	v_dot2_f32_f16 v7, v9, v27, v7
	;;#ASMEND
	s_nop 0
	;;#ASMSTART
	v_dot2_f32_f16 v7, v10, v28, v7
	;;#ASMEND
	s_nop 0
	;;#ASMSTART
	v_dot2_f32_f16 v7, v11, v29, v7
	;;#ASMEND
	;; [unrolled: 16-line block ×4, first 2 shown]
	ds_read_b128 v[8:11], v21 offset:16528
	ds_read_b128 v[12:15], v56 offset:400
	;; [unrolled: 1-line block ×5, first 2 shown]
	s_waitcnt lgkmcnt(3)
	;;#ASMSTART
	v_dot2_f32_f16 v6, v8, v12, v6
	;;#ASMEND
	s_nop 0
	;;#ASMSTART
	v_dot2_f32_f16 v6, v9, v13, v6
	;;#ASMEND
	s_nop 0
	;;#ASMSTART
	v_dot2_f32_f16 v6, v10, v14, v6
	;;#ASMEND
	s_nop 0
	;;#ASMSTART
	v_dot2_f32_f16 v6, v11, v15, v6
	;;#ASMEND
	s_waitcnt lgkmcnt(2)
	;;#ASMSTART
	v_dot2_f32_f16 v7, v8, v26, v7
	;;#ASMEND
	s_nop 0
	;;#ASMSTART
	v_dot2_f32_f16 v7, v9, v27, v7
	;;#ASMEND
	s_nop 0
	;;#ASMSTART
	v_dot2_f32_f16 v7, v10, v28, v7
	;;#ASMEND
	s_nop 0
	;;#ASMSTART
	v_dot2_f32_f16 v7, v11, v29, v7
	;;#ASMEND
	;; [unrolled: 16-line block ×4, first 2 shown]
	ds_read_b128 v[8:11], v21 offset:16544
	ds_read_b128 v[12:15], v56 offset:416
	;; [unrolled: 1-line block ×5, first 2 shown]
	s_waitcnt lgkmcnt(3)
	;;#ASMSTART
	v_dot2_f32_f16 v6, v8, v12, v6
	;;#ASMEND
	s_nop 0
	;;#ASMSTART
	v_dot2_f32_f16 v6, v9, v13, v6
	;;#ASMEND
	s_nop 0
	;;#ASMSTART
	v_dot2_f32_f16 v6, v10, v14, v6
	;;#ASMEND
	s_nop 0
	;;#ASMSTART
	v_dot2_f32_f16 v6, v11, v15, v6
	;;#ASMEND
	s_waitcnt lgkmcnt(2)
	;;#ASMSTART
	v_dot2_f32_f16 v7, v8, v26, v7
	;;#ASMEND
	s_nop 0
	;;#ASMSTART
	v_dot2_f32_f16 v7, v9, v27, v7
	;;#ASMEND
	s_nop 0
	;;#ASMSTART
	v_dot2_f32_f16 v7, v10, v28, v7
	;;#ASMEND
	s_nop 0
	;;#ASMSTART
	v_dot2_f32_f16 v7, v11, v29, v7
	;;#ASMEND
	;; [unrolled: 16-line block ×4, first 2 shown]
	ds_read_b128 v[12:15], v21 offset:16560
	ds_read_b128 v[26:29], v56 offset:432
	;; [unrolled: 1-line block ×5, first 2 shown]
	s_waitcnt lgkmcnt(3)
	;;#ASMSTART
	v_dot2_f32_f16 v6, v12, v26, v6
	;;#ASMEND
	s_nop 0
	;;#ASMSTART
	v_dot2_f32_f16 v6, v13, v27, v6
	;;#ASMEND
	v_mov_b64_e32 v[10:11], v[2:3]
	;;#ASMSTART
	v_dot2_f32_f16 v6, v14, v28, v6
	;;#ASMEND
	v_mov_b64_e32 v[8:9], v[0:1]
	;;#ASMSTART
	v_dot2_f32_f16 v6, v15, v29, v6
	;;#ASMEND
	s_waitcnt lgkmcnt(2)
	;;#ASMSTART
	v_dot2_f32_f16 v7, v12, v62, v7
	;;#ASMEND
	v_cndmask_b32_e64 v8, 0, 1, s[4:5]
	;;#ASMSTART
	v_dot2_f32_f16 v7, v13, v63, v7
	;;#ASMEND
	v_cmp_ne_u32_e64 s[4:5], 1, v8
	;;#ASMSTART
	v_dot2_f32_f16 v7, v14, v64, v7
	;;#ASMEND
	s_nop 0
	;;#ASMSTART
	v_dot2_f32_f16 v7, v15, v65, v7
	;;#ASMEND
	s_waitcnt lgkmcnt(1)
	;;#ASMSTART
	v_dot2_f32_f16 v4, v12, v66, v4
	;;#ASMEND
	s_nop 0
	;;#ASMSTART
	v_dot2_f32_f16 v4, v13, v67, v4
	;;#ASMEND
	s_nop 0
	;; [unrolled: 4-line block ×3, first 2 shown]
	;;#ASMSTART
	v_dot2_f32_f16 v4, v15, v69, v4
	;;#ASMEND
	s_waitcnt lgkmcnt(0)
	;;#ASMSTART
	v_dot2_f32_f16 v5, v12, v70, v5
	;;#ASMEND
	s_nop 0
	;;#ASMSTART
	v_dot2_f32_f16 v5, v13, v71, v5
	;;#ASMEND
	s_nop 0
	;; [unrolled: 4-line block ×3, first 2 shown]
	;;#ASMSTART
	v_dot2_f32_f16 v5, v15, v73, v5
	;;#ASMEND
	ds_read_b128 v[12:15], v21 offset:16576
	ds_read_b128 v[26:29], v56 offset:448
	;; [unrolled: 1-line block ×5, first 2 shown]
	s_waitcnt lgkmcnt(3)
	;;#ASMSTART
	v_dot2_f32_f16 v6, v12, v26, v6
	;;#ASMEND
	s_nop 0
	;;#ASMSTART
	v_dot2_f32_f16 v6, v13, v27, v6
	;;#ASMEND
	s_nop 0
	;;#ASMSTART
	v_dot2_f32_f16 v6, v14, v28, v6
	;;#ASMEND
	s_nop 0
	;;#ASMSTART
	v_dot2_f32_f16 v6, v15, v29, v6
	;;#ASMEND
	s_waitcnt lgkmcnt(2)
	;;#ASMSTART
	v_dot2_f32_f16 v7, v12, v62, v7
	;;#ASMEND
	s_nop 0
	;;#ASMSTART
	v_dot2_f32_f16 v7, v13, v63, v7
	;;#ASMEND
	s_nop 0
	;;#ASMSTART
	v_dot2_f32_f16 v7, v14, v64, v7
	;;#ASMEND
	s_nop 0
	;;#ASMSTART
	v_dot2_f32_f16 v7, v15, v65, v7
	;;#ASMEND
	;; [unrolled: 16-line block ×4, first 2 shown]
	ds_read_b128 v[12:15], v21 offset:16592
	ds_read_b128 v[26:29], v56 offset:464
	;; [unrolled: 1-line block ×5, first 2 shown]
	s_waitcnt lgkmcnt(3)
	;;#ASMSTART
	v_dot2_f32_f16 v6, v12, v26, v6
	;;#ASMEND
	s_nop 0
	;;#ASMSTART
	v_dot2_f32_f16 v6, v13, v27, v6
	;;#ASMEND
	s_nop 0
	;;#ASMSTART
	v_dot2_f32_f16 v6, v14, v28, v6
	;;#ASMEND
	s_nop 0
	;;#ASMSTART
	v_dot2_f32_f16 v6, v15, v29, v6
	;;#ASMEND
	s_waitcnt lgkmcnt(2)
	;;#ASMSTART
	v_dot2_f32_f16 v7, v12, v62, v7
	;;#ASMEND
	s_nop 0
	;;#ASMSTART
	v_dot2_f32_f16 v7, v13, v63, v7
	;;#ASMEND
	s_nop 0
	;;#ASMSTART
	v_dot2_f32_f16 v7, v14, v64, v7
	;;#ASMEND
	s_nop 0
	;;#ASMSTART
	v_dot2_f32_f16 v7, v15, v65, v7
	;;#ASMEND
	;; [unrolled: 16-line block ×4, first 2 shown]
	ds_read_b128 v[12:15], v21 offset:16608
	ds_read_b128 v[26:29], v56 offset:480
	;; [unrolled: 1-line block ×5, first 2 shown]
	s_waitcnt lgkmcnt(3)
	;;#ASMSTART
	v_dot2_f32_f16 v6, v12, v26, v6
	;;#ASMEND
	s_nop 0
	;;#ASMSTART
	v_dot2_f32_f16 v6, v13, v27, v6
	;;#ASMEND
	s_nop 0
	;;#ASMSTART
	v_dot2_f32_f16 v6, v14, v28, v6
	;;#ASMEND
	s_nop 0
	;;#ASMSTART
	v_dot2_f32_f16 v6, v15, v29, v6
	;;#ASMEND
	s_waitcnt lgkmcnt(2)
	;;#ASMSTART
	v_dot2_f32_f16 v7, v12, v62, v7
	;;#ASMEND
	s_nop 0
	;;#ASMSTART
	v_dot2_f32_f16 v7, v13, v63, v7
	;;#ASMEND
	s_nop 0
	;;#ASMSTART
	v_dot2_f32_f16 v7, v14, v64, v7
	;;#ASMEND
	s_nop 0
	;;#ASMSTART
	v_dot2_f32_f16 v7, v15, v65, v7
	;;#ASMEND
	;; [unrolled: 16-line block ×4, first 2 shown]
	ds_read_b128 v[12:15], v21 offset:16624
	ds_read_b128 v[26:29], v56 offset:496
	;; [unrolled: 1-line block ×5, first 2 shown]
	s_waitcnt lgkmcnt(3)
	;;#ASMSTART
	v_dot2_f32_f16 v6, v12, v26, v6
	;;#ASMEND
	s_nop 0
	;;#ASMSTART
	v_dot2_f32_f16 v6, v13, v27, v6
	;;#ASMEND
	s_nop 0
	;;#ASMSTART
	v_dot2_f32_f16 v6, v14, v28, v6
	;;#ASMEND
	s_nop 0
	;;#ASMSTART
	v_dot2_f32_f16 v6, v15, v29, v6
	;;#ASMEND
	s_waitcnt lgkmcnt(2)
	;;#ASMSTART
	v_dot2_f32_f16 v7, v12, v62, v7
	;;#ASMEND
	s_nop 0
	;;#ASMSTART
	v_dot2_f32_f16 v7, v13, v63, v7
	;;#ASMEND
	s_nop 0
	;;#ASMSTART
	v_dot2_f32_f16 v7, v14, v64, v7
	;;#ASMEND
	s_nop 0
	;;#ASMSTART
	v_dot2_f32_f16 v7, v15, v65, v7
	;;#ASMEND
	;; [unrolled: 16-line block ×3, first 2 shown]
	s_waitcnt lgkmcnt(0)
	;;#ASMSTART
	v_dot2_f32_f16 v5, v12, v70, v5
	;;#ASMEND
	s_nop 0
	;;#ASMSTART
	v_dot2_f32_f16 v5, v13, v71, v5
	;;#ASMEND
	s_nop 0
	;;#ASMSTART
	v_dot2_f32_f16 v5, v14, v72, v5
	;;#ASMEND
	v_mov_b32_e32 v14, v0
	;;#ASMSTART
	v_dot2_f32_f16 v5, v15, v73, v5
	;;#ASMEND
	s_and_saveexec_b64 s[8:9], s[6:7]
	s_cbranch_execz .LBB42_27
; %bb.24:
	s_and_b64 vcc, exec, s[4:5]
	s_cbranch_vccnz .LBB42_26
; %bb.25:
	v_mad_u64_u32 v[8:9], s[18:19], v48, s15, v[24:25]
	v_ashrrev_i32_e32 v9, 31, v8
	v_lshl_add_u64 v[8:9], v[8:9], 1, s[36:37]
	global_load_ushort v8, v[8:9], off
	s_waitcnt vmcnt(0)
	v_cvt_f32_f16_e32 v8, v8
	v_mul_f32_e32 v25, v42, v8
.LBB42_26:
	v_add_f32_e32 v6, v6, v25
	v_add_f32_e32 v8, 0x40051340, v6
	v_max_f32_e32 v9, v0, v0
	v_max_f32_e32 v14, v9, v8
	v_mov_b64_e32 v[10:11], v[2:3]
	v_mov_b64_e32 v[8:9], v[0:1]
.LBB42_27:
	s_or_b64 exec, exec, s[8:9]
	v_mbcnt_hi_u32_b32 v12, -1, v58
	v_and_b32_e32 v8, 0x60, v12
	v_add_u32_e32 v13, 32, v8
	v_xor_b32_e32 v15, 16, v12
	v_cmp_lt_i32_e32 vcc, v15, v13
	v_xor_b32_e32 v26, 8, v12
	v_xor_b32_e32 v27, 4, v12
	v_cndmask_b32_e32 v8, v12, v15, vcc
	v_lshlrev_b32_e32 v29, 2, v8
	ds_bpermute_b32 v8, v29, v14
	v_cmp_lt_i32_e32 vcc, v26, v13
	v_max_f32_e32 v14, v14, v14
	v_xor_b32_e32 v25, 2, v12
	v_cndmask_b32_e32 v21, v12, v26, vcc
	s_waitcnt lgkmcnt(0)
	v_max_f32_e32 v8, v8, v8
	v_lshlrev_b32_e32 v48, 2, v21
	v_max_f32_e32 v8, v14, v8
	ds_bpermute_b32 v14, v48, v8
	v_cmp_lt_i32_e32 vcc, v27, v13
	s_waitcnt lgkmcnt(0)
	v_max_f32_e32 v14, v14, v14
	v_cndmask_b32_e32 v21, v12, v27, vcc
	v_lshlrev_b32_e32 v28, 2, v21
	v_max_f32_e32 v8, v8, v14
	ds_bpermute_b32 v14, v28, v8
	v_cmp_lt_i32_e32 vcc, v25, v13
	s_waitcnt lgkmcnt(0)
	v_max_f32_e32 v14, v14, v14
	v_cndmask_b32_e32 v21, v12, v25, vcc
	v_lshlrev_b32_e32 v23, 2, v21
	v_max_f32_e32 v8, v8, v14
	ds_bpermute_b32 v56, v23, v8
	v_xor_b32_e32 v14, 1, v12
	v_cmp_lt_i32_e32 vcc, v14, v13
	s_waitcnt lgkmcnt(0)
	v_max_f32_e32 v56, v56, v56
	v_cndmask_b32_e32 v21, v12, v14, vcc
	v_lshlrev_b32_e32 v21, 2, v21
	v_max_f32_e32 v8, v8, v56
	ds_bpermute_b32 v56, v21, v8
	s_waitcnt lgkmcnt(0)
	v_max_f32_e32 v56, v56, v56
	v_max_f32_e32 v8, v8, v56
	s_and_saveexec_b64 s[8:9], s[6:7]
	s_cbranch_execz .LBB42_32
; %bb.28:
	s_and_b64 vcc, exec, s[4:5]
	s_cbranch_vccnz .LBB42_30
; %bb.29:
	v_or_b32_e32 v56, 1, v39
	v_mul_hi_u32 v58, s24, v56
	v_add_u32_e32 v58, v56, v58
	v_lshrrev_b32_e32 v58, s25, v58
	v_mul_lo_u32 v58, v58, s26
	v_sub_u32_e32 v56, v56, v58
	v_mad_u64_u32 v[62:63], s[18:19], v56, s15, v[24:25]
	v_ashrrev_i32_e32 v63, 31, v62
	v_lshl_add_u64 v[62:63], v[62:63], 1, s[36:37]
	global_load_ushort v56, v[62:63], off
	s_waitcnt vmcnt(0)
	v_cvt_f32_f16_e32 v56, v56
	v_mul_f32_e32 v56, v42, v56
	s_branch .LBB42_31
.LBB42_30:
	v_mov_b32_e32 v56, 0
.LBB42_31:
	v_add_f32_e32 v7, v7, v56
	v_add_f32_e32 v56, 0x40051340, v7
	v_max_f32_e32 v9, v9, v9
	v_max_f32_e32 v9, v9, v56
.LBB42_32:
	s_or_b64 exec, exec, s[8:9]
	ds_bpermute_b32 v56, v29, v9
	v_max_f32_e32 v9, v9, v9
	s_waitcnt lgkmcnt(0)
	v_max_f32_e32 v56, v56, v56
	v_max_f32_e32 v9, v9, v56
	ds_bpermute_b32 v56, v48, v9
	s_waitcnt lgkmcnt(0)
	v_max_f32_e32 v56, v56, v56
	v_max_f32_e32 v9, v9, v56
	ds_bpermute_b32 v56, v28, v9
	;; [unrolled: 4-line block ×4, first 2 shown]
	s_waitcnt lgkmcnt(0)
	v_max_f32_e32 v56, v56, v56
	v_max_f32_e32 v9, v9, v56
	s_and_saveexec_b64 s[8:9], s[6:7]
	s_cbranch_execz .LBB42_37
; %bb.33:
	s_and_b64 vcc, exec, s[4:5]
	s_cbranch_vccnz .LBB42_35
; %bb.34:
	v_or_b32_e32 v56, 2, v39
	v_mul_hi_u32 v58, s24, v56
	v_add_u32_e32 v58, v56, v58
	v_lshrrev_b32_e32 v58, s25, v58
	v_mul_lo_u32 v58, v58, s26
	v_sub_u32_e32 v56, v56, v58
	v_mad_u64_u32 v[62:63], s[18:19], v56, s15, v[24:25]
	v_ashrrev_i32_e32 v63, 31, v62
	v_lshl_add_u64 v[62:63], v[62:63], 1, s[36:37]
	global_load_ushort v56, v[62:63], off
	s_waitcnt vmcnt(0)
	v_cvt_f32_f16_e32 v56, v56
	v_mul_f32_e32 v56, v42, v56
	s_branch .LBB42_36
.LBB42_35:
	v_mov_b32_e32 v56, 0
.LBB42_36:
	v_add_f32_e32 v4, v4, v56
	v_add_f32_e32 v56, 0x40051340, v4
	v_max_f32_e32 v10, v10, v10
	v_max_f32_e32 v10, v10, v56
.LBB42_37:
	s_or_b64 exec, exec, s[8:9]
	ds_bpermute_b32 v56, v29, v10
	v_max_f32_e32 v10, v10, v10
	s_waitcnt lgkmcnt(0)
	v_max_f32_e32 v56, v56, v56
	v_max_f32_e32 v10, v10, v56
	ds_bpermute_b32 v56, v48, v10
	s_waitcnt lgkmcnt(0)
	v_max_f32_e32 v56, v56, v56
	v_max_f32_e32 v10, v10, v56
	ds_bpermute_b32 v56, v28, v10
	;; [unrolled: 4-line block ×4, first 2 shown]
	s_waitcnt lgkmcnt(0)
	v_max_f32_e32 v56, v56, v56
	v_max_f32_e32 v10, v10, v56
	s_and_saveexec_b64 s[8:9], s[6:7]
	s_cbranch_execz .LBB42_42
; %bb.38:
	s_and_b64 vcc, exec, s[4:5]
	s_cbranch_vccnz .LBB42_40
; %bb.39:
	v_or_b32_e32 v56, 3, v39
	v_mul_hi_u32 v58, s24, v56
	v_add_u32_e32 v58, v56, v58
	v_lshrrev_b32_e32 v58, s25, v58
	v_mul_lo_u32 v58, v58, s26
	v_sub_u32_e32 v56, v56, v58
	v_mad_u64_u32 v[62:63], s[4:5], v56, s15, v[24:25]
	v_ashrrev_i32_e32 v63, 31, v62
	v_lshl_add_u64 v[62:63], v[62:63], 1, s[36:37]
	global_load_ushort v24, v[62:63], off
	s_waitcnt vmcnt(0)
	v_cvt_f32_f16_e32 v24, v24
	v_mul_f32_e32 v24, v42, v24
	s_branch .LBB42_41
.LBB42_40:
	v_mov_b32_e32 v24, 0
.LBB42_41:
	v_add_f32_e32 v5, v5, v24
	v_add_f32_e32 v24, 0x40051340, v5
	v_max_f32_e32 v11, v11, v11
	v_max_f32_e32 v11, v11, v24
.LBB42_42:
	s_or_b64 exec, exec, s[8:9]
	ds_bpermute_b32 v24, v29, v11
	v_max_f32_e32 v11, v11, v11
	s_mov_b64 s[6:7], src_private_base
	v_sub_f32_e32 v6, v6, v8
	s_mov_b32 s6, 0x3fb8aa3b
	s_waitcnt lgkmcnt(0)
	v_max_f32_e32 v24, v24, v24
	v_max_f32_e32 v11, v11, v24
	ds_bpermute_b32 v29, v48, v11
	s_mov_b32 s9, 0xc2ce8ed0
	v_cmp_ngt_f32_e32 vcc, s9, v6
	v_sub_f32_e32 v7, v7, v9
	s_mov_b32 s8, 0x42b17218
	s_waitcnt lgkmcnt(0)
	v_max_f32_e32 v29, v29, v29
	v_max_f32_e32 v11, v11, v29
	ds_bpermute_b32 v28, v28, v11
	v_mul_f32_e32 v29, 0x3fb8aa3b, v6
	v_fma_f32 v42, v6, s6, -v29
	v_rndne_f32_e32 v48, v29
	v_fmac_f32_e32 v42, 0x32a5705f, v6
	s_waitcnt lgkmcnt(0)
	v_max_f32_e32 v28, v28, v28
	v_max_f32_e32 v11, v11, v28
	ds_bpermute_b32 v23, v23, v11
	v_sub_f32_e32 v28, v29, v48
	v_add_f32_e32 v28, v28, v42
	v_cvt_i32_f32_e32 v29, v48
	v_exp_f32_e32 v28, v28
	s_waitcnt lgkmcnt(0)
	v_max_f32_e32 v23, v23, v23
	v_max_f32_e32 v11, v11, v23
	ds_bpermute_b32 v21, v21, v11
	v_ldexp_f32 v23, v28, v29
	v_mov_b32_e32 v48, 0x7f800000
	v_sub_f32_e32 v4, v4, v10
	v_cmp_ngt_f32_e64 s[4:5], s9, v7
	s_waitcnt lgkmcnt(0)
	v_max_f32_e32 v21, v21, v21
	v_max_f32_e32 v11, v11, v21
	v_cndmask_b32_e32 v21, 0, v23, vcc
	v_mul_f32_e32 v23, 0x3fb8aa3b, v7
	v_fma_f32 v28, v7, s6, -v23
	v_rndne_f32_e32 v29, v23
	v_fmac_f32_e32 v28, 0x32a5705f, v7
	v_sub_f32_e32 v23, v23, v29
	v_add_f32_e32 v23, v23, v28
	v_exp_f32_e32 v23, v23
	v_cvt_i32_f32_e32 v28, v29
	v_cmp_nlt_f32_e32 vcc, s8, v6
	v_sub_f32_e32 v5, v5, v11
	v_lshlrev_b32_e32 v24, 8, v40
	v_cndmask_b32_e32 v6, v48, v21, vcc
	v_cmp_gt_u32_e32 vcc, s13, v38
	v_mul_f32_e32 v21, 0x3fb8aa3b, v4
	s_mov_b32 s28, 0
	v_cndmask_b32_e32 v56, 0, v6, vcc
	v_ldexp_f32 v6, v23, v28
	v_fma_f32 v23, v4, s6, -v21
	v_rndne_f32_e32 v28, v21
	v_fmac_f32_e32 v23, 0x32a5705f, v4
	v_sub_f32_e32 v21, v21, v28
	v_add_f32_e32 v21, v21, v23
	v_exp_f32_e32 v21, v21
	v_cvt_i32_f32_e32 v23, v28
	v_cndmask_b32_e64 v6, 0, v6, s[4:5]
	v_cmp_nlt_f32_e64 s[4:5], s8, v7
	v_mul_f32_e32 v7, 0x3fb8aa3b, v5
	s_nop 0
	v_cndmask_b32_e64 v6, v48, v6, s[4:5]
	v_cndmask_b32_e32 v58, 0, v6, vcc
	v_ldexp_f32 v6, v21, v23
	v_fma_f32 v21, v5, s6, -v7
	v_rndne_f32_e32 v23, v7
	v_fmac_f32_e32 v21, 0x32a5705f, v5
	v_sub_f32_e32 v7, v7, v23
	v_add_f32_e32 v7, v7, v21
	v_exp_f32_e32 v7, v7
	v_cvt_i32_f32_e32 v21, v23
	v_cmp_ngt_f32_e64 s[4:5], s9, v4
	v_ashrrev_i32_e32 v23, 31, v22
	s_barrier
	v_cndmask_b32_e64 v6, 0, v6, s[4:5]
	v_cmp_nlt_f32_e64 s[4:5], s8, v4
	s_mov_b32 s30, s28
	s_nop 0
	v_cndmask_b32_e64 v4, v48, v6, s[4:5]
	v_cndmask_b32_e32 v65, 0, v4, vcc
	v_ldexp_f32 v4, v7, v21
	v_cmp_ngt_f32_e64 s[4:5], s9, v5
	v_mov_b32_e32 v21, 0
	s_mov_b32 s29, s28
	v_cndmask_b32_e64 v4, 0, v4, s[4:5]
	v_cmp_nlt_f32_e64 s[4:5], s8, v5
	v_mov_b32_e32 v64, s30
	v_mov_b32_e32 v63, s29
	v_cndmask_b32_e64 v4, v48, v4, s[4:5]
	s_movk_i32 s4, 0x6200
	v_add3_u32 v6, v24, s4, v41
	s_mul_hi_i32 s5, s12, s2
	s_mul_i32 s4, s12, s2
	v_cndmask_b32_e32 v70, 0, v4, vcc
	s_lshl_b64 s[4:5], s[4:5], 2
	v_cvt_pk_f16_f32 v5, v65, v70
	v_cvt_pk_f16_f32 v4, v56, v58
	s_add_u32 s18, s10, s4
	ds_write_b64 v6, v[4:5]
	s_addc_u32 s19, s11, s5
	v_lshlrev_b64 v[4:5], 2, v[22:23]
	v_lshl_add_u64 v[6:7], s[18:19], 0, v[4:5]
	v_mov_b32_e32 v62, s28
	v_lshl_add_u64 v[6:7], v[6:7], 0, v[20:21]
	v_mov_b32_e32 v23, s7
	v_cmp_gt_i32_e32 vcc, s13, v40
	v_mov_b32_e32 v28, 0
	scratch_store_dword off, v21, off
	scratch_store_dwordx3 off, v[62:64], off offset:4
	v_cndmask_b32_e32 v7, v23, v7, vcc
	v_cndmask_b32_e32 v6, v28, v6, vcc
	flat_load_dwordx4 v[66:69], v[6:7]
	v_sub_f32_e32 v71, v0, v8
	v_lshl_add_u32 v0, s2, 3, v22
	v_sub_f32_e32 v72, v1, v9
	v_ashrrev_i32_e32 v1, 31, v0
	v_lshlrev_b64 v[0:1], 2, v[0:1]
	v_add_u32_e32 v29, 8, v40
	v_lshl_add_u64 v[6:7], s[18:19], 0, v[0:1]
	v_lshl_add_u32 v42, v40, 9, v20
	v_lshl_add_u64 v[6:7], v[6:7], 0, v[20:21]
	v_cmp_gt_i32_e32 vcc, s13, v29
	scratch_store_dword off, v21, off
	scratch_store_dwordx3 off, v[62:64], off offset:4
	v_cndmask_b32_e32 v7, v23, v7, vcc
	v_cndmask_b32_e32 v6, v28, v6, vcc
	v_sub_f32_e32 v2, v2, v10
	v_mul_f32_e32 v22, 0x3fb8aa3b, v2
	v_fma_f32 v77, v2, s6, -v22
	v_rndne_f32_e32 v78, v22
	v_fmac_f32_e32 v77, 0x32a5705f, v2
	v_sub_f32_e32 v22, v22, v78
	v_add_f32_e32 v22, v22, v77
	v_cvt_i32_f32_e32 v78, v78
	v_cmp_ngt_f32_e32 vcc, s9, v71
	v_sub_f32_e32 v3, v3, v11
	s_mov_b32 s4, 0x10001
	s_or_b32 s5, s12, 16
	s_mul_hi_i32 s7, s5, s2
	s_waitcnt vmcnt(0) lgkmcnt(0)
	ds_write_b128 v42, v[66:69] offset:16384
	flat_load_dwordx4 v[66:69], v[6:7]
	v_mul_f32_e32 v6, 0x3fb8aa3b, v71
	v_mul_f32_e32 v7, 0x3fb8aa3b, v72
	v_fma_f32 v73, v71, s6, -v6
	v_rndne_f32_e32 v74, v6
	v_fma_f32 v75, v72, s6, -v7
	v_rndne_f32_e32 v76, v7
	v_fmac_f32_e32 v73, 0x32a5705f, v71
	v_sub_f32_e32 v6, v6, v74
	v_fmac_f32_e32 v75, 0x32a5705f, v72
	v_sub_f32_e32 v7, v7, v76
	v_add_f32_e32 v6, v6, v73
	v_cvt_i32_f32_e32 v74, v74
	v_add_f32_e32 v7, v7, v75
	v_exp_f32_e32 v6, v6
	v_cvt_i32_f32_e32 v76, v76
	v_exp_f32_e32 v7, v7
	v_exp_f32_e32 v73, v22
	v_ldexp_f32 v6, v6, v74
	v_cndmask_b32_e32 v6, 0, v6, vcc
	v_ldexp_f32 v7, v7, v76
	v_cmp_ngt_f32_e32 vcc, s9, v72
	v_ldexp_f32 v73, v73, v78
	v_lshl_add_u32 v22, v29, 9, v20
	v_cndmask_b32_e32 v7, 0, v7, vcc
	v_cmp_ngt_f32_e32 vcc, s9, v2
	s_waitcnt vmcnt(0) lgkmcnt(0)
	ds_write_b128 v22, v[66:69] offset:16384
	v_cndmask_b32_e32 v73, 0, v73, vcc
	v_cmp_nlt_f32_e32 vcc, s8, v71
	s_waitcnt lgkmcnt(0)
	s_barrier
	v_cndmask_b32_e32 v6, v48, v6, vcc
	v_cmp_nlt_f32_e32 vcc, s8, v72
	v_cvt_f16_f32_e32 v71, v6
	v_fma_f32 v18, v18, v6, v56
	v_cndmask_b32_e32 v7, v48, v7, vcc
	v_cvt_f16_f32_e32 v72, v7
	v_fma_f32 v19, v19, v7, v58
	v_mul_f32_e32 v6, 0x3fb8aa3b, v3
	v_fma_f32 v56, v3, s6, -v6
	v_mul_u32_u24_e32 v7, 0x10001, v72
	v_pk_mul_f16 v77, v57, v7
	v_rndne_f32_e32 v57, v6
	v_fmac_f32_e32 v56, 0x32a5705f, v3
	v_sub_f32_e32 v6, v6, v57
	v_add_f32_e32 v6, v6, v56
	v_cvt_i32_f32_e32 v57, v57
	v_exp_f32_e32 v6, v6
	v_cmp_nlt_f32_e32 vcc, s8, v2
	v_pk_mul_f16 v78, v54, v7
	v_pk_mul_f16 v79, v55, v7
	v_cndmask_b32_e32 v2, v48, v73, vcc
	v_ldexp_f32 v6, v6, v57
	v_cmp_ngt_f32_e32 vcc, s9, v3
	v_cvt_f16_f32_e32 v73, v2
	v_fma_f32 v16, v16, v2, v65
	v_cndmask_b32_e32 v6, 0, v6, vcc
	v_cmp_nlt_f32_e32 vcc, s8, v3
	v_mul_u32_u24_e32 v2, 0x10001, v71
	v_mul_u32_u24_e32 v65, 0x10001, v73
	v_cndmask_b32_e32 v3, v48, v6, vcc
	v_cvt_f16_f32_e32 v6, v3
	v_pk_mul_f16 v74, v61, v2
	v_pk_mul_f16 v75, v59, v2
	;; [unrolled: 1-line block ×6, first 2 shown]
	v_fma_f32 v17, v17, v3, v70
	v_mul_u32_u24_e32 v3, 0x10001, v6
	v_add_u32_e32 v6, 0x4000, v41
	ds_read_b128 v[48:51], v24 offset:25088
	ds_read2_b64 v[54:57], v6 offset1:32
	ds_read_b128 v[58:61], v24 offset:25104
	ds_read_b128 v[66:69], v24 offset:25120
	ds_read_b128 v[70:73], v24 offset:25136
	v_pk_mul_f16 v45, v45, v3
	v_pk_mul_f16 v44, v44, v3
	;; [unrolled: 1-line block ×4, first 2 shown]
	s_waitcnt lgkmcnt(4)
	v_mul_u32_u24_sdwa v46, v48, s4 dst_sel:DWORD dst_unused:UNUSED_PAD src0_sel:WORD_0 src1_sel:DWORD
	v_mul_u32_u24_sdwa v48, v48, s4 dst_sel:DWORD dst_unused:UNUSED_PAD src0_sel:WORD_1 src1_sel:DWORD
	s_waitcnt lgkmcnt(3)
	v_pk_mul_f16 v84, v54, v46
	v_mul_u32_u24_sdwa v83, v49, s4 dst_sel:DWORD dst_unused:UNUSED_PAD src0_sel:WORD_0 src1_sel:DWORD
	v_pk_fma_f16 v2, v53, v2, v84
	v_pk_mul_f16 v53, v54, v48
	v_mul_u32_u24_sdwa v49, v49, s4 dst_sel:DWORD dst_unused:UNUSED_PAD src0_sel:WORD_1 src1_sel:DWORD
	v_pk_fma_f16 v7, v52, v7, v53
	v_pk_mul_f16 v52, v54, v83
	v_pk_fma_f16 v53, v54, v49, v45
	v_pk_fma_f16 v52, v47, v65, v52
	;; [unrolled: 1-line block ×11, first 2 shown]
	ds_read2_b64 v[44:47], v6 offset0:64 offset1:96
	v_pk_fma_f16 v48, v57, v48, v79
	v_pk_fma_f16 v76, v57, v83, v82
	;; [unrolled: 1-line block ×3, first 2 shown]
	v_mul_u32_u24_sdwa v49, v50, s4 dst_sel:DWORD dst_unused:UNUSED_PAD src0_sel:WORD_0 src1_sel:DWORD
	v_mul_u32_u24_sdwa v50, v50, s4 dst_sel:DWORD dst_unused:UNUSED_PAD src0_sel:WORD_1 src1_sel:DWORD
	v_mul_u32_u24_sdwa v57, v51, s4 dst_sel:DWORD dst_unused:UNUSED_PAD src0_sel:WORD_0 src1_sel:DWORD
	v_mul_u32_u24_sdwa v51, v51, s4 dst_sel:DWORD dst_unused:UNUSED_PAD src0_sel:WORD_1 src1_sel:DWORD
	s_waitcnt lgkmcnt(0)
	v_pk_fma_f16 v2, v44, v49, v2
	v_pk_fma_f16 v7, v44, v50, v7
	;; [unrolled: 1-line block ×16, first 2 shown]
	ds_read2_b64 v[44:47], v6 offset0:128 offset1:160
	v_mul_u32_u24_sdwa v51, v58, s4 dst_sel:DWORD dst_unused:UNUSED_PAD src0_sel:WORD_0 src1_sel:DWORD
	v_mul_u32_u24_sdwa v56, v58, s4 dst_sel:DWORD dst_unused:UNUSED_PAD src0_sel:WORD_1 src1_sel:DWORD
	v_mul_u32_u24_sdwa v57, v59, s4 dst_sel:DWORD dst_unused:UNUSED_PAD src0_sel:WORD_0 src1_sel:DWORD
	v_mul_u32_u24_sdwa v58, v59, s4 dst_sel:DWORD dst_unused:UNUSED_PAD src0_sel:WORD_1 src1_sel:DWORD
	s_waitcnt lgkmcnt(0)
	v_pk_fma_f16 v2, v44, v51, v2
	v_pk_fma_f16 v7, v44, v56, v7
	;; [unrolled: 1-line block ×16, first 2 shown]
	ds_read2_b64 v[44:47], v6 offset0:192 offset1:224
	v_mul_u32_u24_sdwa v56, v60, s4 dst_sel:DWORD dst_unused:UNUSED_PAD src0_sel:WORD_1 src1_sel:DWORD
	v_mul_u32_u24_sdwa v51, v60, s4 dst_sel:DWORD dst_unused:UNUSED_PAD src0_sel:WORD_0 src1_sel:DWORD
	v_mul_u32_u24_sdwa v57, v61, s4 dst_sel:DWORD dst_unused:UNUSED_PAD src0_sel:WORD_0 src1_sel:DWORD
	v_mul_u32_u24_sdwa v58, v61, s4 dst_sel:DWORD dst_unused:UNUSED_PAD src0_sel:WORD_1 src1_sel:DWORD
	s_waitcnt lgkmcnt(0)
	v_pk_fma_f16 v60, v44, v56, v7
	v_add_u32_e32 v7, 0x4800, v41
	v_pk_fma_f16 v2, v44, v51, v2
	v_pk_fma_f16 v52, v44, v57, v52
	v_pk_fma_f16 v53, v44, v58, v53
	v_pk_fma_f16 v54, v45, v51, v54
	v_pk_fma_f16 v59, v45, v56, v59
	v_pk_fma_f16 v61, v45, v57, v65
	v_pk_fma_f16 v55, v45, v58, v55
	v_pk_fma_f16 v65, v46, v51, v74
	v_pk_fma_f16 v74, v46, v56, v75
	v_pk_fma_f16 v75, v46, v57, v76
	v_pk_fma_f16 v43, v46, v58, v43
	v_pk_fma_f16 v49, v47, v51, v49
	v_pk_fma_f16 v48, v47, v56, v48
	v_pk_fma_f16 v50, v47, v57, v50
	v_pk_fma_f16 v3, v47, v58, v3
	ds_read2_b64 v[44:47], v7 offset1:32
	v_mul_u32_u24_sdwa v51, v66, s4 dst_sel:DWORD dst_unused:UNUSED_PAD src0_sel:WORD_0 src1_sel:DWORD
	v_mul_u32_u24_sdwa v56, v66, s4 dst_sel:DWORD dst_unused:UNUSED_PAD src0_sel:WORD_1 src1_sel:DWORD
	v_mul_u32_u24_sdwa v57, v67, s4 dst_sel:DWORD dst_unused:UNUSED_PAD src0_sel:WORD_0 src1_sel:DWORD
	v_mul_u32_u24_sdwa v58, v67, s4 dst_sel:DWORD dst_unused:UNUSED_PAD src0_sel:WORD_1 src1_sel:DWORD
	s_waitcnt lgkmcnt(0)
	v_pk_fma_f16 v2, v44, v51, v2
	v_pk_fma_f16 v60, v44, v56, v60
	v_pk_fma_f16 v52, v44, v57, v52
	v_pk_fma_f16 v53, v44, v58, v53
	v_pk_fma_f16 v54, v45, v51, v54
	v_pk_fma_f16 v59, v45, v56, v59
	v_pk_fma_f16 v61, v45, v57, v61
	v_pk_fma_f16 v55, v45, v58, v55
	v_pk_fma_f16 v65, v46, v51, v65
	v_pk_fma_f16 v66, v46, v56, v74
	v_pk_fma_f16 v67, v46, v57, v75
	v_pk_fma_f16 v43, v46, v58, v43
	v_pk_fma_f16 v49, v47, v51, v49
	v_pk_fma_f16 v48, v47, v56, v48
	v_pk_fma_f16 v50, v47, v57, v50
	v_pk_fma_f16 v3, v47, v58, v3
	ds_read2_b64 v[44:47], v7 offset0:64 offset1:96
	v_mul_u32_u24_sdwa v51, v68, s4 dst_sel:DWORD dst_unused:UNUSED_PAD src0_sel:WORD_0 src1_sel:DWORD
	v_mul_u32_u24_sdwa v56, v68, s4 dst_sel:DWORD dst_unused:UNUSED_PAD src0_sel:WORD_1 src1_sel:DWORD
	v_mul_u32_u24_sdwa v57, v69, s4 dst_sel:DWORD dst_unused:UNUSED_PAD src0_sel:WORD_0 src1_sel:DWORD
	v_mul_u32_u24_sdwa v58, v69, s4 dst_sel:DWORD dst_unused:UNUSED_PAD src0_sel:WORD_1 src1_sel:DWORD
	s_waitcnt lgkmcnt(0)
	v_pk_fma_f16 v2, v44, v51, v2
	v_pk_fma_f16 v60, v44, v56, v60
	v_pk_fma_f16 v52, v44, v57, v52
	v_pk_fma_f16 v53, v44, v58, v53
	v_pk_fma_f16 v54, v45, v51, v54
	v_pk_fma_f16 v59, v45, v56, v59
	v_pk_fma_f16 v61, v45, v57, v61
	v_pk_fma_f16 v55, v45, v58, v55
	v_pk_fma_f16 v65, v46, v51, v65
	v_pk_fma_f16 v66, v46, v56, v66
	v_pk_fma_f16 v67, v46, v57, v67
	v_pk_fma_f16 v43, v46, v58, v43
	v_pk_fma_f16 v49, v47, v51, v49
	v_pk_fma_f16 v48, v47, v56, v48
	v_pk_fma_f16 v50, v47, v57, v50
	v_pk_fma_f16 v3, v47, v58, v3
	ds_read2_b64 v[44:47], v7 offset0:128 offset1:160
	;; [unrolled: 22-line block ×3, first 2 shown]
	s_mul_i32 s6, s5, s2
	s_lshl_b64 s[6:7], s[6:7], 2
	s_add_u32 s6, s10, s6
	s_addc_u32 s7, s11, s7
	v_mul_u32_u24_sdwa v51, v72, s4 dst_sel:DWORD dst_unused:UNUSED_PAD src0_sel:WORD_0 src1_sel:DWORD
	v_mul_u32_u24_sdwa v58, v73, s4 dst_sel:DWORD dst_unused:UNUSED_PAD src0_sel:WORD_1 src1_sel:DWORD
	s_add_i32 s13, s13, -16
	v_lshl_add_u64 v[4:5], s[6:7], 0, v[4:5]
	v_mul_u32_u24_sdwa v56, v72, s4 dst_sel:DWORD dst_unused:UNUSED_PAD src0_sel:WORD_1 src1_sel:DWORD
	v_mul_u32_u24_sdwa v57, v73, s4 dst_sel:DWORD dst_unused:UNUSED_PAD src0_sel:WORD_0 src1_sel:DWORD
	s_waitcnt lgkmcnt(0)
	v_pk_fma_f16 v102, v44, v51, v2
	v_pk_fma_f16 v113, v47, v58, v3
	v_add_u32_e32 v3, 0x5000, v41
	v_add_u32_e32 v2, 0x5800, v41
	v_lshl_add_u64 v[4:5], v[4:5], 0, v[20:21]
	v_cmp_gt_i32_e32 vcc, s13, v40
	v_pk_fma_f16 v60, v44, v56, v60
	v_pk_fma_f16 v103, v44, v57, v52
	;; [unrolled: 1-line block ×14, first 2 shown]
	ds_read_b128 v[48:51], v24 offset:25152
	ds_read2_b64 v[44:47], v3 offset1:32
	ds_read_b128 v[52:55], v24 offset:25168
	ds_read2_b64 v[56:59], v3 offset0:64 offset1:96
	ds_read2_b64 v[66:69], v3 offset0:128 offset1:160
	;; [unrolled: 1-line block ×3, first 2 shown]
	ds_read2_b64 v[74:77], v2 offset1:32
	ds_read2_b64 v[78:81], v2 offset0:64 offset1:96
	ds_read2_b64 v[82:85], v2 offset0:128 offset1:160
	ds_read_b128 v[86:89], v24 offset:25184
	ds_read_b128 v[90:93], v24 offset:25200
	ds_read2_b64 v[94:97], v2 offset0:192 offset1:224
	s_waitcnt lgkmcnt(0)
	s_barrier
	scratch_store_dword off, v21, off
	scratch_store_dwordx3 off, v[62:64], off offset:4
	v_cndmask_b32_e32 v5, v23, v5, vcc
	v_cndmask_b32_e32 v4, v28, v4, vcc
	flat_load_dwordx4 v[98:101], v[4:5]
	v_mul_u32_u24_sdwa v114, v48, s4 dst_sel:DWORD dst_unused:UNUSED_PAD src0_sel:WORD_0 src1_sel:DWORD
	v_mul_u32_u24_sdwa v48, v48, s4 dst_sel:DWORD dst_unused:UNUSED_PAD src0_sel:WORD_1 src1_sel:DWORD
	v_mul_u32_u24_sdwa v4, v49, s4 dst_sel:DWORD dst_unused:UNUSED_PAD src0_sel:WORD_0 src1_sel:DWORD
	v_mul_u32_u24_sdwa v5, v49, s4 dst_sel:DWORD dst_unused:UNUSED_PAD src0_sel:WORD_1 src1_sel:DWORD
	v_pk_fma_f16 v40, v44, v114, v102
	v_pk_fma_f16 v41, v44, v48, v60
	;; [unrolled: 1-line block ×16, first 2 shown]
	v_mul_u32_u24_sdwa v47, v50, s4 dst_sel:DWORD dst_unused:UNUSED_PAD src0_sel:WORD_0 src1_sel:DWORD
	v_mul_u32_u24_sdwa v50, v50, s4 dst_sel:DWORD dst_unused:UNUSED_PAD src0_sel:WORD_1 src1_sel:DWORD
	v_mul_u32_u24_sdwa v105, v51, s4 dst_sel:DWORD dst_unused:UNUSED_PAD src0_sel:WORD_0 src1_sel:DWORD
	v_mul_u32_u24_sdwa v51, v51, s4 dst_sel:DWORD dst_unused:UNUSED_PAD src0_sel:WORD_1 src1_sel:DWORD
	v_lshl_add_u64 v[0:1], s[6:7], 0, v[0:1]
	v_pk_fma_f16 v40, v56, v47, v40
	v_pk_fma_f16 v41, v56, v50, v41
	v_pk_fma_f16 v49, v56, v105, v49
	v_pk_fma_f16 v44, v56, v51, v44
	v_pk_fma_f16 v56, v57, v47, v60
	v_pk_fma_f16 v60, v57, v50, v102
	v_pk_fma_f16 v61, v57, v105, v61
	v_pk_fma_f16 v45, v57, v51, v45
	v_pk_fma_f16 v57, v58, v47, v65
	v_pk_fma_f16 v65, v58, v50, v103
	v_pk_fma_f16 v43, v58, v51, v43
	v_pk_fma_f16 v46, v59, v47, v46
	v_pk_fma_f16 v47, v59, v50, v48
	v_pk_fma_f16 v5, v59, v51, v5
	v_mul_u32_u24_sdwa v48, v52, s4 dst_sel:DWORD dst_unused:UNUSED_PAD src0_sel:WORD_0 src1_sel:DWORD
	v_mul_u32_u24_sdwa v50, v52, s4 dst_sel:DWORD dst_unused:UNUSED_PAD src0_sel:WORD_1 src1_sel:DWORD
	v_mul_u32_u24_sdwa v52, v53, s4 dst_sel:DWORD dst_unused:UNUSED_PAD src0_sel:WORD_1 src1_sel:DWORD
	v_lshl_add_u64 v[0:1], v[0:1], 0, v[20:21]
	v_cmp_gt_i32_e32 vcc, s13, v29
	v_pk_fma_f16 v102, v58, v105, v104
	v_pk_fma_f16 v4, v59, v105, v4
	v_mul_u32_u24_sdwa v51, v53, s4 dst_sel:DWORD dst_unused:UNUSED_PAD src0_sel:WORD_0 src1_sel:DWORD
	v_pk_fma_f16 v40, v66, v48, v40
	v_pk_fma_f16 v41, v66, v50, v41
	;; [unrolled: 1-line block ×12, first 2 shown]
	v_mul_u32_u24_sdwa v48, v54, s4 dst_sel:DWORD dst_unused:UNUSED_PAD src0_sel:WORD_0 src1_sel:DWORD
	v_mul_u32_u24_sdwa v50, v54, s4 dst_sel:DWORD dst_unused:UNUSED_PAD src0_sel:WORD_1 src1_sel:DWORD
	v_mul_u32_u24_sdwa v52, v55, s4 dst_sel:DWORD dst_unused:UNUSED_PAD src0_sel:WORD_1 src1_sel:DWORD
	v_cndmask_b32_e32 v1, v23, v1, vcc
	v_cndmask_b32_e32 v0, v28, v0, vcc
	v_pk_fma_f16 v49, v66, v51, v49
	v_pk_fma_f16 v58, v67, v51, v61
	;; [unrolled: 1-line block ×4, first 2 shown]
	v_mul_u32_u24_sdwa v51, v55, s4 dst_sel:DWORD dst_unused:UNUSED_PAD src0_sel:WORD_0 src1_sel:DWORD
	v_pk_fma_f16 v54, v70, v48, v40
	v_pk_fma_f16 v55, v70, v50, v41
	;; [unrolled: 1-line block ×10, first 2 shown]
	s_waitcnt vmcnt(0) lgkmcnt(0)
	ds_write_b128 v42, v[98:101] offset:16384
	scratch_store_dword off, v21, off
	scratch_store_dwordx3 off, v[62:64], off offset:4
	flat_load_dwordx4 v[40:43], v[0:1]
	v_pk_fma_f16 v59, v72, v50, v59
	v_pk_fma_f16 v60, v72, v51, v60
	v_pk_fma_f16 v46, v73, v48, v46
	v_pk_fma_f16 v47, v73, v50, v47
	v_pk_fma_f16 v4, v73, v51, v4
	v_pk_fma_f16 v5, v73, v52, v5
	v_mul_u32_u24_sdwa v48, v86, s4 dst_sel:DWORD dst_unused:UNUSED_PAD src0_sel:WORD_0 src1_sel:DWORD
	v_mul_u32_u24_sdwa v0, v86, s4 dst_sel:DWORD dst_unused:UNUSED_PAD src0_sel:WORD_1 src1_sel:DWORD
	v_mul_u32_u24_sdwa v1, v87, s4 dst_sel:DWORD dst_unused:UNUSED_PAD src0_sel:WORD_0 src1_sel:DWORD
	v_mul_u32_u24_sdwa v20, v87, s4 dst_sel:DWORD dst_unused:UNUSED_PAD src0_sel:WORD_1 src1_sel:DWORD
	v_pk_fma_f16 v21, v74, v48, v54
	v_pk_fma_f16 v23, v74, v0, v55
	v_pk_fma_f16 v28, v74, v1, v49
	v_pk_fma_f16 v29, v74, v20, v44
	v_pk_fma_f16 v44, v75, v48, v53
	v_pk_fma_f16 v49, v75, v0, v56
	v_pk_fma_f16 v50, v75, v1, v58
	v_pk_fma_f16 v45, v75, v20, v45
	v_pk_fma_f16 v51, v76, v48, v57
	v_pk_fma_f16 v52, v76, v0, v59
	v_pk_fma_f16 v53, v76, v1, v60
	v_pk_fma_f16 v54, v76, v20, v61
	v_pk_fma_f16 v46, v77, v48, v46
	v_pk_fma_f16 v0, v77, v0, v47
	v_pk_fma_f16 v1, v77, v1, v4
	v_pk_fma_f16 v4, v77, v20, v5
	v_mul_u32_u24_sdwa v5, v88, s4 dst_sel:DWORD dst_unused:UNUSED_PAD src0_sel:WORD_0 src1_sel:DWORD
	v_mul_u32_u24_sdwa v20, v88, s4 dst_sel:DWORD dst_unused:UNUSED_PAD src0_sel:WORD_1 src1_sel:DWORD
	v_mul_u32_u24_sdwa v47, v89, s4 dst_sel:DWORD dst_unused:UNUSED_PAD src0_sel:WORD_0 src1_sel:DWORD
	v_mul_u32_u24_sdwa v48, v89, s4 dst_sel:DWORD dst_unused:UNUSED_PAD src0_sel:WORD_1 src1_sel:DWORD
	v_pk_fma_f16 v21, v78, v5, v21
	v_pk_fma_f16 v23, v78, v20, v23
	v_pk_fma_f16 v28, v78, v47, v28
	v_pk_fma_f16 v29, v78, v48, v29
	v_pk_fma_f16 v44, v79, v5, v44
	v_pk_fma_f16 v49, v79, v20, v49
	v_pk_fma_f16 v50, v79, v47, v50
	v_pk_fma_f16 v45, v79, v48, v45
	v_pk_fma_f16 v51, v80, v5, v51
	v_pk_fma_f16 v52, v80, v20, v52
	;; [unrolled: 20-line block ×4, first 2 shown]
	v_pk_fma_f16 v64, v96, v47, v53
	v_pk_fma_f16 v65, v96, v48, v54
	;; [unrolled: 1-line block ×6, first 2 shown]
	s_waitcnt vmcnt(0) lgkmcnt(0)
	ds_write_b128 v22, v[40:43] offset:16384
	s_waitcnt lgkmcnt(0)
	s_barrier
	ds_read_b128 v[20:23], v24 offset:25216
	ds_read2_b64 v[40:43], v6 offset1:32
	ds_read_b128 v[44:47], v24 offset:25232
	ds_read_b128 v[48:51], v24 offset:25248
	;; [unrolled: 1-line block ×3, first 2 shown]
	s_waitcnt lgkmcnt(4)
	v_mul_u32_u24_sdwa v66, v20, s4 dst_sel:DWORD dst_unused:UNUSED_PAD src0_sel:WORD_0 src1_sel:DWORD
	v_mul_u32_u24_sdwa v20, v20, s4 dst_sel:DWORD dst_unused:UNUSED_PAD src0_sel:WORD_1 src1_sel:DWORD
	v_mul_u32_u24_sdwa v67, v21, s4 dst_sel:DWORD dst_unused:UNUSED_PAD src0_sel:WORD_0 src1_sel:DWORD
	v_mul_u32_u24_sdwa v21, v21, s4 dst_sel:DWORD dst_unused:UNUSED_PAD src0_sel:WORD_1 src1_sel:DWORD
	s_waitcnt lgkmcnt(3)
	v_pk_fma_f16 v56, v40, v66, v56
	v_pk_fma_f16 v57, v40, v20, v57
	v_pk_fma_f16 v28, v40, v67, v28
	v_pk_fma_f16 v29, v40, v21, v29
	v_pk_fma_f16 v58, v41, v66, v58
	v_pk_fma_f16 v59, v41, v20, v59
	v_pk_fma_f16 v60, v41, v67, v60
	v_pk_fma_f16 v61, v41, v21, v61
	v_pk_fma_f16 v62, v42, v66, v62
	v_pk_fma_f16 v63, v42, v20, v63
	v_pk_fma_f16 v64, v42, v67, v64
	v_pk_fma_f16 v65, v42, v21, v65
	v_pk_fma_f16 v5, v43, v66, v5
	v_pk_fma_f16 v0, v43, v20, v0
	v_pk_fma_f16 v1, v43, v67, v1
	v_pk_fma_f16 v4, v43, v21, v4
	ds_read2_b64 v[40:43], v6 offset0:64 offset1:96
	v_mul_u32_u24_sdwa v20, v22, s4 dst_sel:DWORD dst_unused:UNUSED_PAD src0_sel:WORD_0 src1_sel:DWORD
	v_mul_u32_u24_sdwa v21, v22, s4 dst_sel:DWORD dst_unused:UNUSED_PAD src0_sel:WORD_1 src1_sel:DWORD
	v_mul_u32_u24_sdwa v22, v23, s4 dst_sel:DWORD dst_unused:UNUSED_PAD src0_sel:WORD_0 src1_sel:DWORD
	v_mul_u32_u24_sdwa v23, v23, s4 dst_sel:DWORD dst_unused:UNUSED_PAD src0_sel:WORD_1 src1_sel:DWORD
	s_waitcnt lgkmcnt(0)
	v_pk_fma_f16 v56, v40, v20, v56
	v_pk_fma_f16 v57, v40, v21, v57
	v_pk_fma_f16 v28, v40, v22, v28
	v_pk_fma_f16 v29, v40, v23, v29
	v_pk_fma_f16 v40, v41, v20, v58
	v_pk_fma_f16 v58, v41, v21, v59
	v_pk_fma_f16 v59, v41, v22, v60
	v_pk_fma_f16 v41, v41, v23, v61
	v_pk_fma_f16 v60, v42, v20, v62
	v_pk_fma_f16 v61, v42, v21, v63
	v_pk_fma_f16 v62, v42, v22, v64
	v_pk_fma_f16 v42, v42, v23, v65
	v_pk_fma_f16 v5, v43, v20, v5
	v_pk_fma_f16 v0, v43, v21, v0
	v_pk_fma_f16 v1, v43, v22, v1
	v_pk_fma_f16 v4, v43, v23, v4
	ds_read2_b64 v[20:23], v6 offset0:128 offset1:160
	;; [unrolled: 22-line block ×3, first 2 shown]
	v_mul_u32_u24_sdwa v6, v46, s4 dst_sel:DWORD dst_unused:UNUSED_PAD src0_sel:WORD_0 src1_sel:DWORD
	v_mul_u32_u24_sdwa v43, v46, s4 dst_sel:DWORD dst_unused:UNUSED_PAD src0_sel:WORD_1 src1_sel:DWORD
	v_mul_u32_u24_sdwa v44, v47, s4 dst_sel:DWORD dst_unused:UNUSED_PAD src0_sel:WORD_0 src1_sel:DWORD
	v_mul_u32_u24_sdwa v45, v47, s4 dst_sel:DWORD dst_unused:UNUSED_PAD src0_sel:WORD_1 src1_sel:DWORD
	s_waitcnt lgkmcnt(0)
	v_pk_fma_f16 v46, v20, v6, v56
	v_pk_fma_f16 v47, v20, v43, v57
	;; [unrolled: 1-line block ×16, first 2 shown]
	ds_read2_b64 v[20:23], v7 offset1:32
	v_mul_u32_u24_sdwa v6, v48, s4 dst_sel:DWORD dst_unused:UNUSED_PAD src0_sel:WORD_0 src1_sel:DWORD
	v_mul_u32_u24_sdwa v43, v48, s4 dst_sel:DWORD dst_unused:UNUSED_PAD src0_sel:WORD_1 src1_sel:DWORD
	v_mul_u32_u24_sdwa v44, v49, s4 dst_sel:DWORD dst_unused:UNUSED_PAD src0_sel:WORD_0 src1_sel:DWORD
	v_mul_u32_u24_sdwa v45, v49, s4 dst_sel:DWORD dst_unused:UNUSED_PAD src0_sel:WORD_1 src1_sel:DWORD
	s_waitcnt lgkmcnt(0)
	v_pk_fma_f16 v46, v20, v6, v46
	v_pk_fma_f16 v47, v20, v43, v47
	;; [unrolled: 1-line block ×16, first 2 shown]
	ds_read2_b64 v[20:23], v7 offset0:64 offset1:96
	v_mul_u32_u24_sdwa v6, v50, s4 dst_sel:DWORD dst_unused:UNUSED_PAD src0_sel:WORD_0 src1_sel:DWORD
	v_mul_u32_u24_sdwa v43, v50, s4 dst_sel:DWORD dst_unused:UNUSED_PAD src0_sel:WORD_1 src1_sel:DWORD
	v_mul_u32_u24_sdwa v44, v51, s4 dst_sel:DWORD dst_unused:UNUSED_PAD src0_sel:WORD_0 src1_sel:DWORD
	v_mul_u32_u24_sdwa v45, v51, s4 dst_sel:DWORD dst_unused:UNUSED_PAD src0_sel:WORD_1 src1_sel:DWORD
	s_waitcnt lgkmcnt(0)
	v_pk_fma_f16 v46, v20, v6, v46
	v_pk_fma_f16 v47, v20, v43, v47
	;; [unrolled: 1-line block ×16, first 2 shown]
	ds_read2_b64 v[20:23], v7 offset0:128 offset1:160
	v_mul_u32_u24_sdwa v6, v52, s4 dst_sel:DWORD dst_unused:UNUSED_PAD src0_sel:WORD_0 src1_sel:DWORD
	v_mul_u32_u24_sdwa v43, v52, s4 dst_sel:DWORD dst_unused:UNUSED_PAD src0_sel:WORD_1 src1_sel:DWORD
	v_mul_u32_u24_sdwa v44, v53, s4 dst_sel:DWORD dst_unused:UNUSED_PAD src0_sel:WORD_0 src1_sel:DWORD
	v_mul_u32_u24_sdwa v45, v53, s4 dst_sel:DWORD dst_unused:UNUSED_PAD src0_sel:WORD_1 src1_sel:DWORD
	s_waitcnt lgkmcnt(0)
	v_pk_fma_f16 v46, v20, v6, v46
	v_pk_fma_f16 v47, v20, v43, v47
	;; [unrolled: 1-line block ×15, first 2 shown]
	ds_read2_b64 v[4:7], v7 offset0:192 offset1:224
	v_pk_fma_f16 v1, v23, v44, v1
	v_mul_u32_u24_sdwa v23, v54, s4 dst_sel:DWORD dst_unused:UNUSED_PAD src0_sel:WORD_0 src1_sel:DWORD
	v_mul_u32_u24_sdwa v51, v55, s4 dst_sel:DWORD dst_unused:UNUSED_PAD src0_sel:WORD_1 src1_sel:DWORD
	v_mul_u32_u24_sdwa v44, v54, s4 dst_sel:DWORD dst_unused:UNUSED_PAD src0_sel:WORD_1 src1_sel:DWORD
	v_mul_u32_u24_sdwa v45, v55, s4 dst_sel:DWORD dst_unused:UNUSED_PAD src0_sel:WORD_0 src1_sel:DWORD
	s_waitcnt lgkmcnt(0)
	v_pk_fma_f16 v46, v4, v23, v46
	v_pk_fma_f16 v52, v4, v51, v20
	;; [unrolled: 1-line block ×7, first 2 shown]
	ds_read_b128 v[20:23], v24 offset:25280
	v_pk_fma_f16 v47, v4, v44, v47
	v_pk_fma_f16 v28, v4, v45, v28
	;; [unrolled: 1-line block ×9, first 2 shown]
	ds_read2_b64 v[4:7], v3 offset1:32
	ds_read_b128 v[40:43], v24 offset:25296
	s_waitcnt lgkmcnt(2)
	v_mul_u32_u24_sdwa v45, v20, s4 dst_sel:DWORD dst_unused:UNUSED_PAD src0_sel:WORD_0 src1_sel:DWORD
	v_mul_u32_u24_sdwa v20, v20, s4 dst_sel:DWORD dst_unused:UNUSED_PAD src0_sel:WORD_1 src1_sel:DWORD
	v_mul_u32_u24_sdwa v51, v21, s4 dst_sel:DWORD dst_unused:UNUSED_PAD src0_sel:WORD_0 src1_sel:DWORD
	v_mul_u32_u24_sdwa v21, v21, s4 dst_sel:DWORD dst_unused:UNUSED_PAD src0_sel:WORD_1 src1_sel:DWORD
	s_waitcnt lgkmcnt(1)
	v_pk_fma_f16 v46, v4, v45, v46
	v_pk_fma_f16 v47, v4, v20, v47
	v_pk_fma_f16 v28, v4, v51, v28
	v_pk_fma_f16 v52, v4, v21, v52
	v_pk_fma_f16 v29, v5, v45, v29
	v_pk_fma_f16 v53, v5, v20, v53
	v_pk_fma_f16 v48, v5, v51, v48
	v_pk_fma_f16 v54, v5, v21, v54
	v_pk_fma_f16 v55, v6, v45, v55
	v_pk_fma_f16 v49, v6, v20, v49
	v_pk_fma_f16 v50, v6, v51, v50
	v_pk_fma_f16 v56, v6, v21, v56
	v_pk_fma_f16 v45, v7, v45, v57
	v_pk_fma_f16 v0, v7, v20, v0
	v_pk_fma_f16 v1, v7, v51, v1
	v_pk_fma_f16 v20, v7, v21, v44
	ds_read2_b64 v[4:7], v3 offset0:64 offset1:96
	v_mul_u32_u24_sdwa v21, v22, s4 dst_sel:DWORD dst_unused:UNUSED_PAD src0_sel:WORD_0 src1_sel:DWORD
	v_mul_u32_u24_sdwa v22, v22, s4 dst_sel:DWORD dst_unused:UNUSED_PAD src0_sel:WORD_1 src1_sel:DWORD
	v_mul_u32_u24_sdwa v44, v23, s4 dst_sel:DWORD dst_unused:UNUSED_PAD src0_sel:WORD_0 src1_sel:DWORD
	v_mul_u32_u24_sdwa v23, v23, s4 dst_sel:DWORD dst_unused:UNUSED_PAD src0_sel:WORD_1 src1_sel:DWORD
	s_waitcnt lgkmcnt(0)
	v_pk_fma_f16 v46, v4, v21, v46
	v_pk_fma_f16 v47, v4, v22, v47
	v_pk_fma_f16 v28, v4, v44, v28
	v_pk_fma_f16 v51, v4, v23, v52
	v_pk_fma_f16 v29, v5, v21, v29
	v_pk_fma_f16 v52, v5, v22, v53
	v_pk_fma_f16 v48, v5, v44, v48
	v_pk_fma_f16 v53, v5, v23, v54
	v_pk_fma_f16 v54, v6, v21, v55
	v_pk_fma_f16 v49, v6, v22, v49
	v_pk_fma_f16 v50, v6, v44, v50
	v_pk_fma_f16 v55, v6, v23, v56
	v_pk_fma_f16 v21, v7, v21, v45
	v_pk_fma_f16 v0, v7, v22, v0
	v_pk_fma_f16 v1, v7, v44, v1
	v_pk_fma_f16 v20, v7, v23, v20
	ds_read2_b64 v[4:7], v3 offset0:128 offset1:160
	;; [unrolled: 22-line block ×3, first 2 shown]
	v_mul_u32_u24_sdwa v3, v42, s4 dst_sel:DWORD dst_unused:UNUSED_PAD src0_sel:WORD_0 src1_sel:DWORD
	v_mul_u32_u24_sdwa v20, v42, s4 dst_sel:DWORD dst_unused:UNUSED_PAD src0_sel:WORD_1 src1_sel:DWORD
	v_mul_u32_u24_sdwa v41, v43, s4 dst_sel:DWORD dst_unused:UNUSED_PAD src0_sel:WORD_0 src1_sel:DWORD
	v_mul_u32_u24_sdwa v42, v43, s4 dst_sel:DWORD dst_unused:UNUSED_PAD src0_sel:WORD_1 src1_sel:DWORD
	s_waitcnt lgkmcnt(0)
	v_pk_fma_f16 v44, v4, v3, v44
	v_pk_fma_f16 v45, v4, v20, v45
	;; [unrolled: 1-line block ×8, first 2 shown]
	ds_read_b128 v[20:23], v24 offset:25312
	v_pk_fma_f16 v28, v4, v41, v28
	v_pk_fma_f16 v46, v4, v42, v46
	;; [unrolled: 1-line block ×8, first 2 shown]
	ds_read2_b64 v[4:7], v2 offset1:32
	ds_read_b128 v[40:43], v24 offset:25328
	s_waitcnt lgkmcnt(2)
	v_mul_u32_u24_sdwa v24, v20, s4 dst_sel:DWORD dst_unused:UNUSED_PAD src0_sel:WORD_0 src1_sel:DWORD
	v_mul_u32_u24_sdwa v20, v20, s4 dst_sel:DWORD dst_unused:UNUSED_PAD src0_sel:WORD_1 src1_sel:DWORD
	v_mul_u32_u24_sdwa v55, v21, s4 dst_sel:DWORD dst_unused:UNUSED_PAD src0_sel:WORD_0 src1_sel:DWORD
	v_mul_u32_u24_sdwa v21, v21, s4 dst_sel:DWORD dst_unused:UNUSED_PAD src0_sel:WORD_1 src1_sel:DWORD
	s_waitcnt lgkmcnt(1)
	v_pk_fma_f16 v44, v4, v24, v44
	v_pk_fma_f16 v45, v4, v20, v45
	;; [unrolled: 1-line block ×16, first 2 shown]
	ds_read2_b64 v[4:7], v2 offset0:64 offset1:96
	v_mul_u32_u24_sdwa v21, v22, s4 dst_sel:DWORD dst_unused:UNUSED_PAD src0_sel:WORD_0 src1_sel:DWORD
	v_mul_u32_u24_sdwa v22, v22, s4 dst_sel:DWORD dst_unused:UNUSED_PAD src0_sel:WORD_1 src1_sel:DWORD
	v_mul_u32_u24_sdwa v24, v23, s4 dst_sel:DWORD dst_unused:UNUSED_PAD src0_sel:WORD_0 src1_sel:DWORD
	v_mul_u32_u24_sdwa v23, v23, s4 dst_sel:DWORD dst_unused:UNUSED_PAD src0_sel:WORD_1 src1_sel:DWORD
	s_waitcnt lgkmcnt(0)
	v_pk_fma_f16 v44, v4, v21, v44
	v_pk_fma_f16 v45, v4, v22, v45
	;; [unrolled: 1-line block ×16, first 2 shown]
	ds_read2_b64 v[4:7], v2 offset0:128 offset1:160
	v_mul_u32_u24_sdwa v21, v40, s4 dst_sel:DWORD dst_unused:UNUSED_PAD src0_sel:WORD_0 src1_sel:DWORD
	v_mul_u32_u24_sdwa v22, v40, s4 dst_sel:DWORD dst_unused:UNUSED_PAD src0_sel:WORD_1 src1_sel:DWORD
	v_mul_u32_u24_sdwa v23, v41, s4 dst_sel:DWORD dst_unused:UNUSED_PAD src0_sel:WORD_0 src1_sel:DWORD
	v_mul_u32_u24_sdwa v24, v41, s4 dst_sel:DWORD dst_unused:UNUSED_PAD src0_sel:WORD_1 src1_sel:DWORD
	s_waitcnt lgkmcnt(0)
	v_pk_fma_f16 v40, v4, v21, v44
	v_pk_fma_f16 v41, v4, v22, v45
	;; [unrolled: 1-line block ×13, first 2 shown]
	ds_read2_b64 v[0:3], v2 offset0:192 offset1:224
	v_pk_fma_f16 v5, v5, v24, v51
	v_pk_fma_f16 v6, v6, v24, v53
	;; [unrolled: 1-line block ×3, first 2 shown]
	v_mul_u32_u24_sdwa v20, v42, s4 dst_sel:DWORD dst_unused:UNUSED_PAD src0_sel:WORD_0 src1_sel:DWORD
	v_mul_u32_u24_sdwa v24, v42, s4 dst_sel:DWORD dst_unused:UNUSED_PAD src0_sel:WORD_1 src1_sel:DWORD
	v_mul_u32_u24_sdwa v42, v43, s4 dst_sel:DWORD dst_unused:UNUSED_PAD src0_sel:WORD_0 src1_sel:DWORD
	v_mul_u32_u24_sdwa v56, v43, s4 dst_sel:DWORD dst_unused:UNUSED_PAD src0_sel:WORD_1 src1_sel:DWORD
	s_waitcnt lgkmcnt(0)
	v_pk_fma_f16 v53, v0, v20, v40
	v_pk_fma_f16 v52, v0, v24, v41
	;; [unrolled: 1-line block ×16, first 2 shown]
	v_mov_b64_e32 v[0:1], v[8:9]
	v_mov_b64_e32 v[2:3], v[10:11]
	s_barrier
.LBB42_43:
	v_cmp_lt_i32_e32 vcc, v15, v13
	s_cmp_eq_u64 s[16:17], 0
	s_cselect_b64 s[4:5], -1, 0
	v_cndmask_b32_e32 v4, v12, v15, vcc
	v_cmp_lt_i32_e32 vcc, v26, v13
	v_lshlrev_b32_e32 v7, 2, v4
	ds_bpermute_b32 v5, v7, v19
	v_cndmask_b32_e32 v4, v12, v26, vcc
	v_cmp_lt_i32_e32 vcc, v27, v13
	v_lshlrev_b32_e32 v11, 2, v4
	ds_bpermute_b32 v6, v7, v16
	v_cndmask_b32_e32 v4, v12, v27, vcc
	v_lshlrev_b32_e32 v15, 2, v4
	ds_bpermute_b32 v4, v7, v18
	ds_bpermute_b32 v7, v7, v17
	v_cmp_lt_i32_e32 vcc, v25, v13
	s_cmp_lg_u32 s3, 0
	s_cselect_b64 s[6:7], -1, 0
	s_waitcnt lgkmcnt(1)
	v_pk_add_f32 v[4:5], v[18:19], v[4:5]
	s_waitcnt lgkmcnt(0)
	v_pk_add_f32 v[6:7], v[16:17], v[6:7]
	ds_bpermute_b32 v8, v11, v4
	ds_bpermute_b32 v9, v11, v5
	;; [unrolled: 1-line block ×4, first 2 shown]
	v_cndmask_b32_e32 v20, v12, v25, vcc
	v_lshlrev_b32_e32 v16, 2, v20
	s_waitcnt lgkmcnt(2)
	v_pk_add_f32 v[4:5], v[4:5], v[8:9]
	ds_bpermute_b32 v8, v15, v4
	s_waitcnt lgkmcnt(1)
	v_pk_add_f32 v[6:7], v[6:7], v[10:11]
	ds_bpermute_b32 v9, v15, v5
	ds_bpermute_b32 v10, v15, v6
	;; [unrolled: 1-line block ×3, first 2 shown]
	v_cmp_lt_i32_e32 vcc, v14, v13
	s_or_b64 s[4:5], s[6:7], s[4:5]
	s_waitcnt lgkmcnt(2)
	v_pk_add_f32 v[4:5], v[4:5], v[8:9]
	ds_bpermute_b32 v8, v16, v4
	s_waitcnt lgkmcnt(1)
	v_pk_add_f32 v[6:7], v[6:7], v[10:11]
	ds_bpermute_b32 v9, v16, v5
	ds_bpermute_b32 v10, v16, v6
	;; [unrolled: 1-line block ×3, first 2 shown]
	v_cndmask_b32_e32 v12, v12, v14, vcc
	v_lshlrev_b32_e32 v13, 2, v12
	s_waitcnt lgkmcnt(2)
	v_pk_add_f32 v[4:5], v[4:5], v[8:9]
	ds_bpermute_b32 v8, v13, v4
	s_waitcnt lgkmcnt(1)
	v_pk_add_f32 v[10:11], v[6:7], v[10:11]
	ds_bpermute_b32 v9, v13, v5
	ds_bpermute_b32 v12, v13, v10
	;; [unrolled: 1-line block ×3, first 2 shown]
	s_and_b64 vcc, exec, s[4:5]
	s_waitcnt lgkmcnt(2)
	v_pk_add_f32 v[6:7], v[4:5], v[8:9]
	s_waitcnt lgkmcnt(0)
	v_pk_add_f32 v[4:5], v[10:11], v[12:13]
	s_cbranch_vccnz .LBB42_45
; %bb.44:
	s_lshl_b64 s[4:5], s[34:35], 2
	s_add_u32 s4, s16, s4
	s_addc_u32 s5, s17, s5
	v_mov_b32_e32 v8, 0
	global_load_dword v15, v8, s[4:5]
	v_max_f32_e32 v8, v0, v0
	v_max_f32_e32 v9, v1, v1
	s_mov_b32 s5, 0x3fb8aa3b
	s_mov_b32 s2, 0xc2ce8ed0
	v_max_f32_e32 v10, v2, v2
	s_mov_b32 s4, 0x42b17218
	v_mov_b32_e32 v16, 0x7f800000
	s_waitcnt vmcnt(0)
	v_max_f32_e32 v11, v15, v15
	v_max_f32_e32 v8, v8, v11
	v_sub_f32_e32 v0, v0, v8
	v_max_f32_e32 v9, v9, v11
	v_sub_f32_e32 v12, v15, v8
	v_mul_f32_e32 v17, 0x3fb8aa3b, v0
	v_sub_f32_e32 v1, v1, v9
	v_mul_f32_e32 v18, 0x3fb8aa3b, v12
	v_fma_f32 v23, v0, s5, -v17
	v_rndne_f32_e32 v24, v17
	v_sub_f32_e32 v13, v15, v9
	v_mul_f32_e32 v19, 0x3fb8aa3b, v1
	v_fma_f32 v25, v12, s5, -v18
	v_rndne_f32_e32 v26, v18
	v_fmac_f32_e32 v23, 0x32a5705f, v0
	v_sub_f32_e32 v17, v17, v24
	v_mul_f32_e32 v20, 0x3fb8aa3b, v13
	v_fma_f32 v27, v1, s5, -v19
	v_rndne_f32_e32 v28, v19
	v_fmac_f32_e32 v25, 0x32a5705f, v12
	v_sub_f32_e32 v18, v18, v26
	v_add_f32_e32 v17, v17, v23
	v_fma_f32 v29, v13, s5, -v20
	v_rndne_f32_e32 v40, v20
	v_cvt_i32_f32_e32 v24, v24
	v_fmac_f32_e32 v27, 0x32a5705f, v1
	v_sub_f32_e32 v19, v19, v28
	v_add_f32_e32 v18, v18, v25
	v_exp_f32_e32 v17, v17
	v_cvt_i32_f32_e32 v26, v26
	v_fmac_f32_e32 v29, 0x32a5705f, v13
	v_sub_f32_e32 v20, v20, v40
	v_add_f32_e32 v19, v19, v27
	v_exp_f32_e32 v18, v18
	v_cvt_i32_f32_e32 v28, v28
	v_add_f32_e32 v20, v20, v29
	v_exp_f32_e32 v19, v19
	v_cvt_i32_f32_e32 v40, v40
	v_exp_f32_e32 v20, v20
	v_max_f32_e32 v10, v10, v11
	v_ldexp_f32 v17, v17, v24
	v_cmp_ngt_f32_e32 vcc, s2, v0
	v_sub_f32_e32 v2, v2, v10
	v_ldexp_f32 v18, v18, v26
	v_cndmask_b32_e32 v17, 0, v17, vcc
	v_cmp_ngt_f32_e32 vcc, s2, v12
	v_mul_f32_e32 v21, 0x3fb8aa3b, v2
	v_ldexp_f32 v19, v19, v28
	v_cndmask_b32_e32 v18, 0, v18, vcc
	v_cmp_ngt_f32_e32 vcc, s2, v1
	v_fma_f32 v41, v2, s5, -v21
	v_rndne_f32_e32 v42, v21
	v_ldexp_f32 v20, v20, v40
	v_cndmask_b32_e32 v19, 0, v19, vcc
	v_cmp_ngt_f32_e32 vcc, s2, v13
	v_fmac_f32_e32 v41, 0x32a5705f, v2
	v_sub_f32_e32 v21, v21, v42
	v_cndmask_b32_e32 v20, 0, v20, vcc
	v_cmp_nlt_f32_e32 vcc, s4, v0
	v_add_f32_e32 v21, v21, v41
	v_sub_f32_e32 v14, v15, v10
	v_cndmask_b32_e32 v0, v16, v17, vcc
	v_cmp_nlt_f32_e32 vcc, s4, v12
	v_cvt_i32_f32_e32 v42, v42
	v_exp_f32_e32 v21, v21
	v_cndmask_b32_e32 v12, v16, v18, vcc
	v_cmp_nlt_f32_e32 vcc, s4, v1
	v_cvt_f16_f32_e32 v17, v0
	v_mul_f32_e32 v22, 0x3fb8aa3b, v14
	v_cndmask_b32_e32 v1, v16, v19, vcc
	v_fma_f32 v48, v14, s5, -v22
	v_rndne_f32_e32 v56, v22
	v_cvt_f16_f32_e32 v18, v1
	v_fmac_f32_e32 v48, 0x32a5705f, v14
	v_sub_f32_e32 v22, v22, v56
	v_cmp_nlt_f32_e32 vcc, s4, v13
	v_add_f32_e32 v22, v22, v48
	v_ldexp_f32 v21, v21, v42
	v_cndmask_b32_e32 v13, v16, v20, vcc
	v_mul_u32_u24_e32 v17, 0x10001, v17
	v_cmp_ngt_f32_e32 vcc, s2, v2
	v_cvt_i32_f32_e32 v56, v56
	v_exp_f32_e32 v22, v22
	v_pk_mul_f16 v53, v53, v17
	v_pk_mul_f16 v61, v61, v17
	;; [unrolled: 1-line block ×4, first 2 shown]
	v_cndmask_b32_e32 v17, 0, v21, vcc
	v_cmp_nlt_f32_e32 vcc, s4, v2
	v_mul_u32_u24_e32 v18, 0x10001, v18
	v_pk_mul_f16 v52, v52, v18
	v_cndmask_b32_e32 v2, v16, v17, vcc
	v_pk_mul_f16 v57, v57, v18
	v_pk_mul_f16 v54, v54, v18
	;; [unrolled: 1-line block ×3, first 2 shown]
	v_cvt_f16_f32_e32 v18, v2
	v_ldexp_f32 v17, v22, v56
	v_cmp_ngt_f32_e32 vcc, s2, v14
	v_pk_fma_f32 v[6:7], v[6:7], v[0:1], v[12:13]
	s_nop 0
	v_cndmask_b32_e32 v17, 0, v17, vcc
	v_cmp_nlt_f32_e32 vcc, s4, v14
	s_nop 1
	v_cndmask_b32_e32 v14, v16, v17, vcc
	v_mul_u32_u24_e32 v17, 0x10001, v18
	v_max_f32_e32 v18, v3, v3
	v_max_f32_e32 v11, v18, v11
	v_sub_f32_e32 v3, v3, v11
	v_mul_f32_e32 v18, 0x3fb8aa3b, v3
	v_fma_f32 v19, v3, s5, -v18
	v_rndne_f32_e32 v20, v18
	v_fmac_f32_e32 v19, 0x32a5705f, v3
	v_sub_f32_e32 v18, v18, v20
	v_add_f32_e32 v18, v18, v19
	v_exp_f32_e32 v18, v18
	v_cvt_i32_f32_e32 v19, v20
	v_sub_f32_e32 v15, v15, v11
	v_pk_mul_f16 v47, v47, v17
	v_pk_mul_f16 v51, v51, v17
	;; [unrolled: 1-line block ×4, first 2 shown]
	v_ldexp_f32 v17, v18, v19
	v_mul_f32_e32 v18, 0x3fb8aa3b, v15
	v_fma_f32 v19, v15, s5, -v18
	v_rndne_f32_e32 v20, v18
	v_fmac_f32_e32 v19, 0x32a5705f, v15
	v_sub_f32_e32 v18, v18, v20
	v_add_f32_e32 v18, v18, v19
	v_exp_f32_e32 v18, v18
	v_cvt_i32_f32_e32 v19, v20
	v_cmp_ngt_f32_e32 vcc, s2, v3
	s_nop 1
	v_cndmask_b32_e32 v17, 0, v17, vcc
	v_cmp_nlt_f32_e32 vcc, s4, v3
	s_nop 1
	v_cndmask_b32_e32 v3, v16, v17, vcc
	v_ldexp_f32 v17, v18, v19
	v_cvt_f16_f32_e32 v18, v3
	v_cmp_ngt_f32_e32 vcc, s2, v15
	s_nop 1
	v_cndmask_b32_e32 v17, 0, v17, vcc
	v_cmp_nlt_f32_e32 vcc, s4, v15
	s_nop 1
	v_cndmask_b32_e32 v15, v16, v17, vcc
	v_mul_u32_u24_e32 v16, 0x10001, v18
	v_pk_fma_f32 v[4:5], v[4:5], v[2:3], v[14:15]
	v_mov_b64_e32 v[0:1], v[8:9]
	v_pk_mul_f16 v45, v45, v16
	v_pk_mul_f16 v44, v44, v16
	;; [unrolled: 1-line block ×4, first 2 shown]
	v_mov_b64_e32 v[2:3], v[10:11]
.LBB42_45:
	v_cmp_gt_i32_e32 vcc, s26, v39
	s_and_saveexec_b64 s[4:5], vcc
	s_cbranch_execz .LBB42_65
; %bb.46:
	s_load_dword s2, s[0:1], 0xd4
	v_mov_b32_e32 v8, 1.0
	s_waitcnt lgkmcnt(0)
	s_cmp_lg_u32 s2, 1
	s_cselect_b64 s[0:1], -1, 0
	s_cmp_eq_u32 s2, 1
	s_cselect_b64 s[6:7], -1, 0
	s_and_b64 vcc, exec, s[0:1]
	s_cbranch_vccnz .LBB42_48
; %bb.47:
	v_div_scale_f32 v8, s[4:5], v6, v6, 1.0
	v_rcp_f32_e32 v9, v8
	v_div_scale_f32 v10, vcc, 1.0, v6, 1.0
	v_fma_f32 v11, -v8, v9, 1.0
	v_fmac_f32_e32 v9, v11, v9
	v_mul_f32_e32 v11, v10, v9
	v_fma_f32 v12, -v8, v11, v10
	v_fmac_f32_e32 v11, v12, v9
	v_fma_f32 v8, -v8, v11, v10
	v_div_fmas_f32 v8, v8, v9, v11
	v_div_fixup_f32 v8, v8, v6, 1.0
.LBB42_48:
	s_mul_i32 s8, s33, s26
	s_add_i32 s8, s8, s14
	v_add_u32_e32 v9, s8, v37
	v_mul_lo_u32 v9, v9, s27
	v_add_u32_e32 v9, s34, v9
	v_cvt_f32_f16_sdwa v13, v53 dst_sel:DWORD dst_unused:UNUSED_PAD src0_sel:WORD_1
	v_cvt_f32_f16_e32 v12, v53
	v_cvt_f32_f16_sdwa v15, v61 dst_sel:DWORD dst_unused:UNUSED_PAD src0_sel:WORD_1
	v_cvt_f32_f16_e32 v14, v61
	v_mul_lo_u32 v9, s2, v9
	v_add_u32_e32 v10, s3, v9
	v_lshl_add_u32 v16, v10, 8, v31
	v_mov_b32_e32 v17, 0
	v_lshl_add_u64 v[18:19], v[16:17], 2, s[20:21]
	v_pk_mul_f32 v[12:13], v[8:9], v[12:13] op_sel_hi:[0,1]
	v_pk_mul_f32 v[14:15], v[8:9], v[14:15] op_sel_hi:[0,1]
	global_store_dwordx4 v[18:19], v[12:15], off
	v_cmp_eq_u32_e32 vcc, 0, v38
	v_add_u32_e32 v16, 0x80, v16
	v_cvt_f32_f16_sdwa v13, v59 dst_sel:DWORD dst_unused:UNUSED_PAD src0_sel:WORD_1
	v_cvt_f32_f16_e32 v12, v59
	v_cvt_f32_f16_sdwa v15, v60 dst_sel:DWORD dst_unused:UNUSED_PAD src0_sel:WORD_1
	v_cvt_f32_f16_e32 v14, v60
	v_lshl_add_u64 v[16:17], v[16:17], 2, s[20:21]
	v_pk_mul_f32 v[12:13], v[8:9], v[12:13] op_sel_hi:[0,1]
	s_and_b64 s[4:5], vcc, s[0:1]
	v_pk_mul_f32 v[14:15], v[8:9], v[14:15] op_sel_hi:[0,1]
	global_store_dwordx4 v[16:17], v[12:15], off
	s_and_saveexec_b64 s[0:1], s[4:5]
	s_cbranch_execz .LBB42_50
; %bb.49:
	v_ashrrev_i32_e32 v11, 31, v10
	v_lshl_add_u64 v[8:9], v[10:11], 3, s[22:23]
	v_mov_b32_e32 v10, v0
	v_mov_b32_e32 v11, v6
	global_store_dwordx2 v[8:9], v[10:11], off
.LBB42_50:
	s_or_b64 exec, exec, s[0:1]
	v_cmp_gt_i32_e32 vcc, s26, v36
	s_and_b64 exec, exec, vcc
	s_cbranch_execz .LBB42_65
; %bb.51:
	v_cndmask_b32_e64 v0, 0, 1, s[6:7]
	v_cmp_ne_u32_e64 s[0:1], 1, v0
	s_andn2_b64 vcc, exec, s[6:7]
	v_mov_b32_e32 v0, 1.0
	s_cbranch_vccnz .LBB42_53
; %bb.52:
	v_div_scale_f32 v0, s[6:7], v7, v7, 1.0
	v_rcp_f32_e32 v6, v0
	v_div_scale_f32 v8, vcc, 1.0, v7, 1.0
	v_fma_f32 v9, -v0, v6, 1.0
	v_fmac_f32_e32 v6, v9, v6
	v_mul_f32_e32 v9, v8, v6
	v_fma_f32 v10, -v0, v9, v8
	v_fmac_f32_e32 v9, v10, v6
	v_fma_f32 v0, -v0, v9, v8
	v_div_fmas_f32 v0, v0, v6, v9
	v_div_fixup_f32 v0, v0, v7, 1.0
.LBB42_53:
	v_add_u32_e32 v6, s8, v35
	v_mul_lo_u32 v6, v6, s27
	v_add_u32_e32 v6, s34, v6
	v_cvt_f32_f16_sdwa v11, v52 dst_sel:DWORD dst_unused:UNUSED_PAD src0_sel:WORD_1
	v_cvt_f32_f16_e32 v10, v52
	v_cvt_f32_f16_sdwa v13, v57 dst_sel:DWORD dst_unused:UNUSED_PAD src0_sel:WORD_1
	v_cvt_f32_f16_e32 v12, v57
	v_mul_lo_u32 v6, s2, v6
	v_add_u32_e32 v8, s3, v6
	v_lshl_add_u32 v14, v8, 8, v31
	v_mov_b32_e32 v15, 0
	v_lshl_add_u64 v[16:17], v[14:15], 2, s[20:21]
	v_pk_mul_f32 v[10:11], v[0:1], v[10:11] op_sel_hi:[0,1]
	v_pk_mul_f32 v[12:13], v[0:1], v[12:13] op_sel_hi:[0,1]
	global_store_dwordx4 v[16:17], v[10:13], off
	v_add_u32_e32 v14, 0x80, v14
	v_lshl_add_u64 v[14:15], v[14:15], 2, s[20:21]
	v_cvt_f32_f16_sdwa v11, v54 dst_sel:DWORD dst_unused:UNUSED_PAD src0_sel:WORD_1
	v_cvt_f32_f16_e32 v10, v54
	v_cvt_f32_f16_sdwa v13, v55 dst_sel:DWORD dst_unused:UNUSED_PAD src0_sel:WORD_1
	v_cvt_f32_f16_e32 v12, v55
	v_pk_mul_f32 v[10:11], v[0:1], v[10:11] op_sel_hi:[0,1]
	v_pk_mul_f32 v[12:13], v[0:1], v[12:13] op_sel_hi:[0,1]
	global_store_dwordx4 v[14:15], v[10:13], off
	s_and_saveexec_b64 s[6:7], s[4:5]
	s_cbranch_execz .LBB42_55
; %bb.54:
	v_ashrrev_i32_e32 v9, 31, v8
	v_lshl_add_u64 v[8:9], v[8:9], 3, s[22:23]
	v_mov_b32_e32 v6, v1
	global_store_dwordx2 v[8:9], v[6:7], off
.LBB42_55:
	s_or_b64 exec, exec, s[6:7]
	v_cmp_gt_i32_e32 vcc, s26, v34
	s_and_b64 exec, exec, vcc
	s_cbranch_execz .LBB42_65
; %bb.56:
	s_and_b64 vcc, exec, s[0:1]
	v_mov_b32_e32 v6, 1.0
	s_cbranch_vccnz .LBB42_58
; %bb.57:
	v_div_scale_f32 v0, s[6:7], v4, v4, 1.0
	v_rcp_f32_e32 v1, v0
	v_div_scale_f32 v6, vcc, 1.0, v4, 1.0
	v_fma_f32 v7, -v0, v1, 1.0
	v_fmac_f32_e32 v1, v7, v1
	v_mul_f32_e32 v7, v6, v1
	v_fma_f32 v8, -v0, v7, v6
	v_fmac_f32_e32 v7, v8, v1
	v_fma_f32 v0, -v0, v7, v6
	v_div_fmas_f32 v0, v0, v1, v7
	v_div_fixup_f32 v6, v0, v4, 1.0
.LBB42_58:
	v_add_u32_e32 v0, s8, v33
	v_mul_lo_u32 v0, v0, s27
	v_add_u32_e32 v0, s34, v0
	v_cvt_f32_f16_sdwa v9, v47 dst_sel:DWORD dst_unused:UNUSED_PAD src0_sel:WORD_1
	v_cvt_f32_f16_e32 v8, v47
	v_cvt_f32_f16_sdwa v11, v51 dst_sel:DWORD dst_unused:UNUSED_PAD src0_sel:WORD_1
	v_cvt_f32_f16_e32 v10, v51
	v_mul_lo_u32 v0, s2, v0
	v_add_u32_e32 v0, s3, v0
	v_lshl_add_u32 v12, v0, 8, v31
	v_mov_b32_e32 v13, 0
	v_lshl_add_u64 v[14:15], v[12:13], 2, s[20:21]
	v_pk_mul_f32 v[8:9], v[6:7], v[8:9] op_sel_hi:[0,1]
	v_pk_mul_f32 v[10:11], v[6:7], v[10:11] op_sel_hi:[0,1]
	global_store_dwordx4 v[14:15], v[8:11], off
	v_add_u32_e32 v12, 0x80, v12
	v_lshl_add_u64 v[12:13], v[12:13], 2, s[20:21]
	v_cvt_f32_f16_sdwa v9, v49 dst_sel:DWORD dst_unused:UNUSED_PAD src0_sel:WORD_1
	v_cvt_f32_f16_e32 v8, v49
	v_cvt_f32_f16_sdwa v11, v50 dst_sel:DWORD dst_unused:UNUSED_PAD src0_sel:WORD_1
	v_cvt_f32_f16_e32 v10, v50
	v_pk_mul_f32 v[8:9], v[6:7], v[8:9] op_sel_hi:[0,1]
	v_pk_mul_f32 v[10:11], v[6:7], v[10:11] op_sel_hi:[0,1]
	global_store_dwordx4 v[12:13], v[8:11], off
	s_and_saveexec_b64 s[6:7], s[4:5]
	s_cbranch_execz .LBB42_60
; %bb.59:
	v_ashrrev_i32_e32 v1, 31, v0
	v_lshl_add_u64 v[0:1], v[0:1], 3, s[22:23]
	v_mov_b32_e32 v6, v2
	v_mov_b32_e32 v7, v4
	global_store_dwordx2 v[0:1], v[6:7], off
.LBB42_60:
	s_or_b64 exec, exec, s[6:7]
	v_cmp_gt_i32_e32 vcc, s26, v32
	s_and_b64 exec, exec, vcc
	s_cbranch_execz .LBB42_65
; %bb.61:
	s_and_b64 vcc, exec, s[0:1]
	v_mov_b32_e32 v2, 1.0
	s_cbranch_vccnz .LBB42_63
; %bb.62:
	v_div_scale_f32 v0, s[0:1], v5, v5, 1.0
	v_rcp_f32_e32 v1, v0
	v_div_scale_f32 v2, vcc, 1.0, v5, 1.0
	v_fma_f32 v4, -v0, v1, 1.0
	v_fmac_f32_e32 v1, v4, v1
	v_mul_f32_e32 v4, v2, v1
	v_fma_f32 v6, -v0, v4, v2
	v_fmac_f32_e32 v4, v6, v1
	v_fma_f32 v0, -v0, v4, v2
	v_div_fmas_f32 v0, v0, v1, v4
	v_div_fixup_f32 v2, v0, v5, 1.0
.LBB42_63:
	v_add_u32_e32 v0, s8, v30
	v_mul_lo_u32 v0, v0, s27
	v_add_u32_e32 v0, s34, v0
	v_cvt_f32_f16_sdwa v7, v45 dst_sel:DWORD dst_unused:UNUSED_PAD src0_sel:WORD_1
	v_cvt_f32_f16_e32 v6, v45
	v_cvt_f32_f16_sdwa v9, v44 dst_sel:DWORD dst_unused:UNUSED_PAD src0_sel:WORD_1
	v_cvt_f32_f16_e32 v8, v44
	v_mul_lo_u32 v0, s2, v0
	v_add_u32_e32 v0, s3, v0
	v_lshl_add_u32 v10, v0, 8, v31
	v_mov_b32_e32 v11, 0
	v_lshl_add_u64 v[12:13], v[10:11], 2, s[20:21]
	v_pk_mul_f32 v[6:7], v[2:3], v[6:7] op_sel_hi:[0,1]
	v_pk_mul_f32 v[8:9], v[2:3], v[8:9] op_sel_hi:[0,1]
	global_store_dwordx4 v[12:13], v[6:9], off
	v_add_u32_e32 v10, 0x80, v10
	v_lshl_add_u64 v[10:11], v[10:11], 2, s[20:21]
	v_cvt_f32_f16_sdwa v7, v43 dst_sel:DWORD dst_unused:UNUSED_PAD src0_sel:WORD_1
	v_cvt_f32_f16_e32 v6, v43
	v_cvt_f32_f16_sdwa v9, v46 dst_sel:DWORD dst_unused:UNUSED_PAD src0_sel:WORD_1
	v_cvt_f32_f16_e32 v8, v46
	v_pk_mul_f32 v[6:7], v[2:3], v[6:7] op_sel_hi:[0,1]
	v_pk_mul_f32 v[8:9], v[2:3], v[8:9] op_sel_hi:[0,1]
	global_store_dwordx4 v[10:11], v[6:9], off
	s_and_b64 exec, exec, s[4:5]
	s_cbranch_execz .LBB42_65
; %bb.64:
	v_ashrrev_i32_e32 v1, 31, v0
	v_lshl_add_u64 v[0:1], v[0:1], 3, s[22:23]
	v_mov_b32_e32 v4, v3
	global_store_dwordx2 v[0:1], v[4:5], off
.LBB42_65:
	s_endpgm
	.section	.rodata,"a",@progbits
	.p2align	6, 0x0
	.amdhsa_kernel _ZL15flash_attn_tileILi256ELi256ELi32ELi1ELb0EEvPKcS1_S1_S1_S1_PKiPfP15HIP_vector_typeIfLj2EEffffjfiS5_IjLj3EEiiiiiiiiiiiliiliiiiil
		.amdhsa_group_segment_fixed_size 27136
		.amdhsa_private_segment_fixed_size 32
		.amdhsa_kernarg_size 464
		.amdhsa_user_sgpr_count 2
		.amdhsa_user_sgpr_dispatch_ptr 0
		.amdhsa_user_sgpr_queue_ptr 0
		.amdhsa_user_sgpr_kernarg_segment_ptr 1
		.amdhsa_user_sgpr_dispatch_id 0
		.amdhsa_user_sgpr_kernarg_preload_length 0
		.amdhsa_user_sgpr_kernarg_preload_offset 0
		.amdhsa_user_sgpr_private_segment_size 0
		.amdhsa_uses_dynamic_stack 0
		.amdhsa_enable_private_segment 1
		.amdhsa_system_sgpr_workgroup_id_x 1
		.amdhsa_system_sgpr_workgroup_id_y 1
		.amdhsa_system_sgpr_workgroup_id_z 1
		.amdhsa_system_sgpr_workgroup_info 0
		.amdhsa_system_vgpr_workitem_id 1
		.amdhsa_next_free_vgpr 115
		.amdhsa_next_free_sgpr 91
		.amdhsa_accum_offset 116
		.amdhsa_reserve_vcc 1
		.amdhsa_float_round_mode_32 0
		.amdhsa_float_round_mode_16_64 0
		.amdhsa_float_denorm_mode_32 3
		.amdhsa_float_denorm_mode_16_64 3
		.amdhsa_dx10_clamp 1
		.amdhsa_ieee_mode 1
		.amdhsa_fp16_overflow 0
		.amdhsa_tg_split 0
		.amdhsa_exception_fp_ieee_invalid_op 0
		.amdhsa_exception_fp_denorm_src 0
		.amdhsa_exception_fp_ieee_div_zero 0
		.amdhsa_exception_fp_ieee_overflow 0
		.amdhsa_exception_fp_ieee_underflow 0
		.amdhsa_exception_fp_ieee_inexact 0
		.amdhsa_exception_int_div_zero 0
	.end_amdhsa_kernel
	.section	.text._ZL15flash_attn_tileILi256ELi256ELi32ELi1ELb0EEvPKcS1_S1_S1_S1_PKiPfP15HIP_vector_typeIfLj2EEffffjfiS5_IjLj3EEiiiiiiiiiiiliiliiiiil,"axG",@progbits,_ZL15flash_attn_tileILi256ELi256ELi32ELi1ELb0EEvPKcS1_S1_S1_S1_PKiPfP15HIP_vector_typeIfLj2EEffffjfiS5_IjLj3EEiiiiiiiiiiiliiliiiiil,comdat
.Lfunc_end42:
	.size	_ZL15flash_attn_tileILi256ELi256ELi32ELi1ELb0EEvPKcS1_S1_S1_S1_PKiPfP15HIP_vector_typeIfLj2EEffffjfiS5_IjLj3EEiiiiiiiiiiiliiliiiiil, .Lfunc_end42-_ZL15flash_attn_tileILi256ELi256ELi32ELi1ELb0EEvPKcS1_S1_S1_S1_PKiPfP15HIP_vector_typeIfLj2EEffffjfiS5_IjLj3EEiiiiiiiiiiiliiliiiiil
                                        ; -- End function
	.set _ZL15flash_attn_tileILi256ELi256ELi32ELi1ELb0EEvPKcS1_S1_S1_S1_PKiPfP15HIP_vector_typeIfLj2EEffffjfiS5_IjLj3EEiiiiiiiiiiiliiliiiiil.num_vgpr, 115
	.set _ZL15flash_attn_tileILi256ELi256ELi32ELi1ELb0EEvPKcS1_S1_S1_S1_PKiPfP15HIP_vector_typeIfLj2EEffffjfiS5_IjLj3EEiiiiiiiiiiiliiliiiiil.num_agpr, 0
	.set _ZL15flash_attn_tileILi256ELi256ELi32ELi1ELb0EEvPKcS1_S1_S1_S1_PKiPfP15HIP_vector_typeIfLj2EEffffjfiS5_IjLj3EEiiiiiiiiiiiliiliiiiil.numbered_sgpr, 48
	.set _ZL15flash_attn_tileILi256ELi256ELi32ELi1ELb0EEvPKcS1_S1_S1_S1_PKiPfP15HIP_vector_typeIfLj2EEffffjfiS5_IjLj3EEiiiiiiiiiiiliiliiiiil.num_named_barrier, 0
	.set _ZL15flash_attn_tileILi256ELi256ELi32ELi1ELb0EEvPKcS1_S1_S1_S1_PKiPfP15HIP_vector_typeIfLj2EEffffjfiS5_IjLj3EEiiiiiiiiiiiliiliiiiil.private_seg_size, 32
	.set _ZL15flash_attn_tileILi256ELi256ELi32ELi1ELb0EEvPKcS1_S1_S1_S1_PKiPfP15HIP_vector_typeIfLj2EEffffjfiS5_IjLj3EEiiiiiiiiiiiliiliiiiil.uses_vcc, 1
	.set _ZL15flash_attn_tileILi256ELi256ELi32ELi1ELb0EEvPKcS1_S1_S1_S1_PKiPfP15HIP_vector_typeIfLj2EEffffjfiS5_IjLj3EEiiiiiiiiiiiliiliiiiil.uses_flat_scratch, 0
	.set _ZL15flash_attn_tileILi256ELi256ELi32ELi1ELb0EEvPKcS1_S1_S1_S1_PKiPfP15HIP_vector_typeIfLj2EEffffjfiS5_IjLj3EEiiiiiiiiiiiliiliiiiil.has_dyn_sized_stack, 0
	.set _ZL15flash_attn_tileILi256ELi256ELi32ELi1ELb0EEvPKcS1_S1_S1_S1_PKiPfP15HIP_vector_typeIfLj2EEffffjfiS5_IjLj3EEiiiiiiiiiiiliiliiiiil.has_recursion, 0
	.set _ZL15flash_attn_tileILi256ELi256ELi32ELi1ELb0EEvPKcS1_S1_S1_S1_PKiPfP15HIP_vector_typeIfLj2EEffffjfiS5_IjLj3EEiiiiiiiiiiiliiliiiiil.has_indirect_call, 0
	.section	.AMDGPU.csdata,"",@progbits
; Kernel info:
; codeLenInByte = 45284
; TotalNumSgprs: 54
; NumVgprs: 115
; NumAgprs: 0
; TotalNumVgprs: 115
; ScratchSize: 32
; MemoryBound: 0
; FloatMode: 240
; IeeeMode: 1
; LDSByteSize: 27136 bytes/workgroup (compile time only)
; SGPRBlocks: 12
; VGPRBlocks: 14
; NumSGPRsForWavesPerEU: 97
; NumVGPRsForWavesPerEU: 115
; AccumOffset: 116
; Occupancy: 4
; WaveLimiterHint : 1
; COMPUTE_PGM_RSRC2:SCRATCH_EN: 1
; COMPUTE_PGM_RSRC2:USER_SGPR: 2
; COMPUTE_PGM_RSRC2:TRAP_HANDLER: 0
; COMPUTE_PGM_RSRC2:TGID_X_EN: 1
; COMPUTE_PGM_RSRC2:TGID_Y_EN: 1
; COMPUTE_PGM_RSRC2:TGID_Z_EN: 1
; COMPUTE_PGM_RSRC2:TIDIG_COMP_CNT: 1
; COMPUTE_PGM_RSRC3_GFX90A:ACCUM_OFFSET: 28
; COMPUTE_PGM_RSRC3_GFX90A:TG_SPLIT: 0
	.section	.text._ZL25flash_attn_mask_to_KV_maxILi32EEvPK7__half2Piiii,"axG",@progbits,_ZL25flash_attn_mask_to_KV_maxILi32EEvPK7__half2Piiii,comdat
	.globl	_ZL25flash_attn_mask_to_KV_maxILi32EEvPK7__half2Piiii ; -- Begin function _ZL25flash_attn_mask_to_KV_maxILi32EEvPK7__half2Piiii
	.p2align	8
	.type	_ZL25flash_attn_mask_to_KV_maxILi32EEvPK7__half2Piiii,@function
_ZL25flash_attn_mask_to_KV_maxILi32EEvPK7__half2Piiii: ; @_ZL25flash_attn_mask_to_KV_maxILi32EEvPK7__half2Piiii
; %bb.0:
	s_load_dwordx4 s[4:7], s[0:1], 0x0
	v_cmp_gt_u32_e32 vcc, 32, v0
	s_and_saveexec_b64 s[8:9], vcc
; %bb.1:
	v_lshlrev_b32_e32 v1, 2, v0
	v_mov_b32_e32 v2, 1
	ds_write_b32 v1, v2
; %bb.2:
	s_or_b64 exec, exec, s[8:9]
	s_load_dwordx4 s[8:11], s[0:1], 0x10
	s_load_dword s33, s[0:1], 0x20
	v_and_b32_e32 v2, 31, v0
	v_lshlrev_b32_e32 v6, 2, v2
	v_lshrrev_b32_e32 v1, 3, v0
	s_waitcnt lgkmcnt(0)
	s_mul_i32 s1, s2, s9
	s_mul_i32 s0, s10, s3
	s_lshl_b32 s1, s1, 5
	s_add_i32 s0, s0, s1
	s_ashr_i32 s1, s0, 31
	s_lshl_b64 s[0:1], s[0:1], 2
	s_add_u32 s10, s4, s0
	s_addc_u32 s11, s5, s1
	v_cmp_eq_u32_e64 s[0:1], 0, v2
	v_mbcnt_lo_u32_b32 v2, -1, 0
	s_lshl_b32 s8, s8, 8
	s_mov_b64 s[12:13], 0
	v_mov_b32_e32 v3, 0
	s_movk_i32 s98, 0x204
	v_mbcnt_hi_u32_b32 v7, -1, v2
	s_barrier
                                        ; implicit-def: $sgpr4_sgpr5
	s_branch .LBB43_5
.LBB43_3:                               ;   in Loop: Header=BB43_5 Depth=1
	s_or_b64 exec, exec, s[14:15]
	s_waitcnt lgkmcnt(0)
	s_barrier
	ds_read_b32 v10, v6
	s_waitcnt lgkmcnt(0)
	s_barrier
	ds_bpermute_b32 v2, v2, v10
	v_cmp_ne_u32_e32 vcc, 0, v10
	s_waitcnt lgkmcnt(0)
	v_cmp_ne_u32_e64 s[4:5], 0, v2
	s_and_b64 s[4:5], vcc, s[4:5]
	s_nop 0
	v_cndmask_b32_e64 v2, 0, 1, s[4:5]
	ds_bpermute_b32 v2, v4, v2
	s_waitcnt lgkmcnt(0)
	v_cmp_ne_u32_e32 vcc, 0, v2
	s_and_b64 s[4:5], vcc, s[4:5]
	v_cndmask_b32_e64 v2, 0, 1, s[4:5]
	ds_bpermute_b32 v2, v5, v2
	s_waitcnt lgkmcnt(0)
	v_cmp_ne_u32_e32 vcc, 0, v2
	s_and_b64 s[4:5], vcc, s[4:5]
	;; [unrolled: 5-line block ×3, first 2 shown]
	v_cndmask_b32_e64 v2, 0, 1, s[4:5]
	ds_bpermute_b32 v2, v9, v2
	s_xor_b64 s[4:5], s[4:5], -1
	s_waitcnt lgkmcnt(0)
	v_cmp_eq_u32_e32 vcc, 0, v2
	s_or_b64 s[4:5], vcc, s[4:5]
.LBB43_4:                               ;   in Loop: Header=BB43_5 Depth=1
	s_and_b64 s[14:15], exec, s[4:5]
	s_or_b64 s[12:13], s[14:15], s[12:13]
	v_mov_b32_e32 v2, s8
	s_mov_b32 s8, s99
	s_andn2_b64 exec, exec, s[12:13]
	s_cbranch_execz .LBB43_132
.LBB43_5:                               ; =>This Inner Loop Header: Depth=1
	s_add_i32 s99, s8, 0xffffff00
	s_or_b64 s[4:5], s[4:5], exec
	s_cmp_lt_i32 s99, 0
	s_cbranch_scc1 .LBB43_4
; %bb.6:                                ;   in Loop: Header=BB43_5 Depth=1
	s_lshr_b32 s4, s99, 1
	v_add_u32_e32 v2, s4, v0
	v_lshl_add_u64 v[4:5], v[2:3], 2, s[10:11]
	global_load_dword v4, v[4:5], off
	v_mov_b32_e32 v5, 0
	s_waitcnt vmcnt(0)
	v_cmp_class_f16_e64 s[4:5], v4, s98
	v_cmp_class_f16_sdwa s[14:15], v4, s98 src0_sel:WORD_1 src1_sel:DWORD
	s_and_b64 s[14:15], s[4:5], s[14:15]
	s_and_saveexec_b64 s[4:5], s[14:15]
	s_cbranch_execz .LBB43_130
; %bb.7:                                ;   in Loop: Header=BB43_5 Depth=1
	v_add_u32_e32 v4, s9, v2
	v_ashrrev_i32_e32 v5, 31, v4
	v_lshl_add_u64 v[8:9], v[4:5], 2, s[10:11]
	global_load_dword v2, v[8:9], off
	v_mov_b32_e32 v5, 0
	s_waitcnt vmcnt(0)
	v_cmp_class_f16_e64 s[16:17], v2, s98
	s_and_saveexec_b64 s[14:15], s[16:17]
	s_cbranch_execz .LBB43_129
; %bb.8:                                ;   in Loop: Header=BB43_5 Depth=1
	v_cmp_class_f16_sdwa s[18:19], v2, s98 src0_sel:WORD_1 src1_sel:DWORD
	v_mov_b32_e32 v5, 0
	s_and_saveexec_b64 s[16:17], s[18:19]
	s_cbranch_execz .LBB43_128
; %bb.9:                                ;   in Loop: Header=BB43_5 Depth=1
	v_add_u32_e32 v4, s9, v4
	v_ashrrev_i32_e32 v5, 31, v4
	v_lshl_add_u64 v[8:9], v[4:5], 2, s[10:11]
	global_load_dword v2, v[8:9], off
	v_mov_b32_e32 v5, 0
	s_waitcnt vmcnt(0)
	v_cmp_class_f16_e64 s[20:21], v2, s98
	s_and_saveexec_b64 s[18:19], s[20:21]
	s_cbranch_execz .LBB43_127
; %bb.10:                               ;   in Loop: Header=BB43_5 Depth=1
	v_cmp_class_f16_sdwa s[22:23], v2, s98 src0_sel:WORD_1 src1_sel:DWORD
	v_mov_b32_e32 v5, 0
	s_and_saveexec_b64 s[20:21], s[22:23]
	s_cbranch_execz .LBB43_126
; %bb.11:                               ;   in Loop: Header=BB43_5 Depth=1
	v_add_u32_e32 v4, s9, v4
	v_ashrrev_i32_e32 v5, 31, v4
	v_lshl_add_u64 v[8:9], v[4:5], 2, s[10:11]
	global_load_dword v2, v[8:9], off
	v_mov_b32_e32 v5, 0
	s_waitcnt vmcnt(0)
	v_cmp_class_f16_e64 s[24:25], v2, s98
	s_and_saveexec_b64 s[22:23], s[24:25]
	s_cbranch_execz .LBB43_125
; %bb.12:                               ;   in Loop: Header=BB43_5 Depth=1
	v_cmp_class_f16_sdwa s[26:27], v2, s98 src0_sel:WORD_1 src1_sel:DWORD
	v_mov_b32_e32 v5, 0
	s_and_saveexec_b64 s[24:25], s[26:27]
	s_cbranch_execz .LBB43_124
; %bb.13:                               ;   in Loop: Header=BB43_5 Depth=1
	;; [unrolled: 15-line block ×19, first 2 shown]
	v_add_u32_e32 v4, s9, v4
	v_ashrrev_i32_e32 v5, 31, v4
	v_lshl_add_u64 v[8:9], v[4:5], 2, s[10:11]
	global_load_dword v2, v[8:9], off
	v_mov_b32_e32 v5, 0
	s_waitcnt vmcnt(0)
	v_cmp_class_f16_e64 vcc, v2, s98
	s_mov_b64 s[96:97], exec
                                        ; implicit-def: $vgpr12 : SGPR spill to VGPR lane
	v_writelane_b32 v12, s96, 0
	s_and_b64 vcc, s[96:97], vcc
	s_nop 0
	v_writelane_b32 v12, s97, 1
	s_mov_b64 exec, vcc
	s_cbranch_execz .LBB43_89
; %bb.48:                               ;   in Loop: Header=BB43_5 Depth=1
	v_mov_b32_e32 v5, 0
	v_cmp_class_f16_sdwa s[96:97], v2, s98 src0_sel:WORD_1 src1_sel:DWORD
	s_mov_b64 vcc, exec
	s_nop 0
	v_writelane_b32 v12, vcc_lo, 2
	s_and_b64 s[96:97], vcc, s[96:97]
	s_nop 0
	v_writelane_b32 v12, vcc_hi, 3
	s_mov_b64 exec, s[96:97]
	s_cbranch_execz .LBB43_88
; %bb.49:                               ;   in Loop: Header=BB43_5 Depth=1
	v_add_u32_e32 v4, s9, v4
	v_ashrrev_i32_e32 v5, 31, v4
	v_lshl_add_u64 v[8:9], v[4:5], 2, s[10:11]
	global_load_dword v2, v[8:9], off
	v_mov_b32_e32 v5, 0
	s_waitcnt vmcnt(0)
	v_cmp_class_f16_e64 s[96:97], v2, s98
	s_mov_b64 vcc, exec
	v_writelane_b32 v12, vcc_lo, 4
	s_and_b64 s[96:97], vcc, s[96:97]
	s_nop 0
	v_writelane_b32 v12, vcc_hi, 5
	s_mov_b64 exec, s[96:97]
	s_cbranch_execz .LBB43_87
; %bb.50:                               ;   in Loop: Header=BB43_5 Depth=1
	v_mov_b32_e32 v5, 0
	v_cmp_class_f16_sdwa s[96:97], v2, s98 src0_sel:WORD_1 src1_sel:DWORD
	s_mov_b64 vcc, exec
	s_nop 0
	v_writelane_b32 v12, vcc_lo, 6
	s_and_b64 s[96:97], vcc, s[96:97]
	s_nop 0
	v_writelane_b32 v12, vcc_hi, 7
	s_mov_b64 exec, s[96:97]
	s_cbranch_execz .LBB43_86
; %bb.51:                               ;   in Loop: Header=BB43_5 Depth=1
	v_add_u32_e32 v4, s9, v4
	v_ashrrev_i32_e32 v5, 31, v4
	v_lshl_add_u64 v[8:9], v[4:5], 2, s[10:11]
	global_load_dword v2, v[8:9], off
	v_mov_b32_e32 v5, 0
	s_waitcnt vmcnt(0)
	v_cmp_class_f16_e64 s[96:97], v2, s98
	s_mov_b64 vcc, exec
	v_writelane_b32 v12, vcc_lo, 8
	s_and_b64 s[96:97], vcc, s[96:97]
	s_nop 0
	v_writelane_b32 v12, vcc_hi, 9
	s_mov_b64 exec, s[96:97]
	;; [unrolled: 26-line block ×10, first 2 shown]
; %bb.68:                               ;   in Loop: Header=BB43_5 Depth=1
	v_cmp_class_f16_sdwa s[96:97], v2, s98 src0_sel:WORD_1 src1_sel:DWORD
	s_nop 1
	v_cndmask_b32_e64 v5, 0, 1, s[96:97]
; %bb.69:                               ;   in Loop: Header=BB43_5 Depth=1
	v_readlane_b32 s96, v12, 40
	v_readlane_b32 s97, v12, 41
	s_or_b64 exec, exec, s[96:97]
.LBB43_70:                              ;   in Loop: Header=BB43_5 Depth=1
	v_readlane_b32 s96, v12, 38
	v_readlane_b32 s97, v12, 39
	s_or_b64 exec, exec, s[96:97]
.LBB43_71:                              ;   in Loop: Header=BB43_5 Depth=1
	v_readlane_b32 s96, v12, 36
	v_readlane_b32 s97, v12, 37
	s_or_b64 exec, exec, s[96:97]
.LBB43_72:                              ;   in Loop: Header=BB43_5 Depth=1
	v_readlane_b32 s96, v12, 34
	v_readlane_b32 s97, v12, 35
	s_or_b64 exec, exec, s[96:97]
.LBB43_73:                              ;   in Loop: Header=BB43_5 Depth=1
	v_readlane_b32 s96, v12, 32
	v_readlane_b32 s97, v12, 33
	s_or_b64 exec, exec, s[96:97]
.LBB43_74:                              ;   in Loop: Header=BB43_5 Depth=1
	v_readlane_b32 s96, v12, 30
	v_readlane_b32 s97, v12, 31
	s_or_b64 exec, exec, s[96:97]
.LBB43_75:                              ;   in Loop: Header=BB43_5 Depth=1
	v_readlane_b32 s96, v12, 28
	v_readlane_b32 s97, v12, 29
	s_or_b64 exec, exec, s[96:97]
.LBB43_76:                              ;   in Loop: Header=BB43_5 Depth=1
	v_readlane_b32 s96, v12, 26
	v_readlane_b32 s97, v12, 27
	s_or_b64 exec, exec, s[96:97]
.LBB43_77:                              ;   in Loop: Header=BB43_5 Depth=1
	v_readlane_b32 s96, v12, 24
	v_readlane_b32 s97, v12, 25
	s_or_b64 exec, exec, s[96:97]
.LBB43_78:                              ;   in Loop: Header=BB43_5 Depth=1
	v_readlane_b32 s96, v12, 22
	v_readlane_b32 s97, v12, 23
	s_or_b64 exec, exec, s[96:97]
.LBB43_79:                              ;   in Loop: Header=BB43_5 Depth=1
	v_readlane_b32 s96, v12, 20
	v_readlane_b32 s97, v12, 21
	s_or_b64 exec, exec, s[96:97]
.LBB43_80:                              ;   in Loop: Header=BB43_5 Depth=1
	v_readlane_b32 s96, v12, 18
	v_readlane_b32 s97, v12, 19
	s_or_b64 exec, exec, s[96:97]
.LBB43_81:                              ;   in Loop: Header=BB43_5 Depth=1
	v_readlane_b32 s96, v12, 16
	v_readlane_b32 s97, v12, 17
	s_or_b64 exec, exec, s[96:97]
.LBB43_82:                              ;   in Loop: Header=BB43_5 Depth=1
	v_readlane_b32 s96, v12, 14
	v_readlane_b32 s97, v12, 15
	s_or_b64 exec, exec, s[96:97]
.LBB43_83:                              ;   in Loop: Header=BB43_5 Depth=1
	v_readlane_b32 s96, v12, 12
	v_readlane_b32 s97, v12, 13
	s_or_b64 exec, exec, s[96:97]
.LBB43_84:                              ;   in Loop: Header=BB43_5 Depth=1
	v_readlane_b32 s96, v12, 10
	v_readlane_b32 s97, v12, 11
	s_or_b64 exec, exec, s[96:97]
.LBB43_85:                              ;   in Loop: Header=BB43_5 Depth=1
	v_readlane_b32 s96, v12, 8
	v_readlane_b32 s97, v12, 9
	s_or_b64 exec, exec, s[96:97]
.LBB43_86:                              ;   in Loop: Header=BB43_5 Depth=1
	v_readlane_b32 s96, v12, 6
	v_readlane_b32 s97, v12, 7
	s_or_b64 exec, exec, s[96:97]
.LBB43_87:                              ;   in Loop: Header=BB43_5 Depth=1
	v_readlane_b32 s96, v12, 4
	v_readlane_b32 s97, v12, 5
	s_or_b64 exec, exec, s[96:97]
.LBB43_88:                              ;   in Loop: Header=BB43_5 Depth=1
	v_readlane_b32 s96, v12, 2
	v_readlane_b32 s97, v12, 3
	s_or_b64 exec, exec, s[96:97]
.LBB43_89:                              ;   in Loop: Header=BB43_5 Depth=1
	v_readlane_b32 s96, v12, 0
	v_readlane_b32 s97, v12, 1
	s_or_b64 exec, exec, s[96:97]
.LBB43_90:                              ;   in Loop: Header=BB43_5 Depth=1
	s_or_b64 exec, exec, s[94:95]
.LBB43_91:                              ;   in Loop: Header=BB43_5 Depth=1
	s_or_b64 exec, exec, s[92:93]
.LBB43_92:                              ;   in Loop: Header=BB43_5 Depth=1
	s_or_b64 exec, exec, s[90:91]
.LBB43_93:                              ;   in Loop: Header=BB43_5 Depth=1
	s_or_b64 exec, exec, s[88:89]
.LBB43_94:                              ;   in Loop: Header=BB43_5 Depth=1
	s_or_b64 exec, exec, s[86:87]
.LBB43_95:                              ;   in Loop: Header=BB43_5 Depth=1
	s_or_b64 exec, exec, s[84:85]
.LBB43_96:                              ;   in Loop: Header=BB43_5 Depth=1
	s_or_b64 exec, exec, s[82:83]
.LBB43_97:                              ;   in Loop: Header=BB43_5 Depth=1
	s_or_b64 exec, exec, s[80:81]
.LBB43_98:                              ;   in Loop: Header=BB43_5 Depth=1
	s_or_b64 exec, exec, s[78:79]
.LBB43_99:                              ;   in Loop: Header=BB43_5 Depth=1
	s_or_b64 exec, exec, s[76:77]
.LBB43_100:                             ;   in Loop: Header=BB43_5 Depth=1
	s_or_b64 exec, exec, s[74:75]
.LBB43_101:                             ;   in Loop: Header=BB43_5 Depth=1
	s_or_b64 exec, exec, s[72:73]
.LBB43_102:                             ;   in Loop: Header=BB43_5 Depth=1
	s_or_b64 exec, exec, s[70:71]
.LBB43_103:                             ;   in Loop: Header=BB43_5 Depth=1
	s_or_b64 exec, exec, s[68:69]
.LBB43_104:                             ;   in Loop: Header=BB43_5 Depth=1
	s_or_b64 exec, exec, s[66:67]
.LBB43_105:                             ;   in Loop: Header=BB43_5 Depth=1
	s_or_b64 exec, exec, s[64:65]
.LBB43_106:                             ;   in Loop: Header=BB43_5 Depth=1
	s_or_b64 exec, exec, s[62:63]
.LBB43_107:                             ;   in Loop: Header=BB43_5 Depth=1
	s_or_b64 exec, exec, s[60:61]
.LBB43_108:                             ;   in Loop: Header=BB43_5 Depth=1
	s_or_b64 exec, exec, s[58:59]
.LBB43_109:                             ;   in Loop: Header=BB43_5 Depth=1
	s_or_b64 exec, exec, s[56:57]
.LBB43_110:                             ;   in Loop: Header=BB43_5 Depth=1
	s_or_b64 exec, exec, s[54:55]
.LBB43_111:                             ;   in Loop: Header=BB43_5 Depth=1
	s_or_b64 exec, exec, s[52:53]
.LBB43_112:                             ;   in Loop: Header=BB43_5 Depth=1
	s_or_b64 exec, exec, s[50:51]
.LBB43_113:                             ;   in Loop: Header=BB43_5 Depth=1
	s_or_b64 exec, exec, s[48:49]
.LBB43_114:                             ;   in Loop: Header=BB43_5 Depth=1
	s_or_b64 exec, exec, s[46:47]
.LBB43_115:                             ;   in Loop: Header=BB43_5 Depth=1
	s_or_b64 exec, exec, s[44:45]
.LBB43_116:                             ;   in Loop: Header=BB43_5 Depth=1
	s_or_b64 exec, exec, s[42:43]
.LBB43_117:                             ;   in Loop: Header=BB43_5 Depth=1
	s_or_b64 exec, exec, s[40:41]
.LBB43_118:                             ;   in Loop: Header=BB43_5 Depth=1
	s_or_b64 exec, exec, s[38:39]
.LBB43_119:                             ;   in Loop: Header=BB43_5 Depth=1
	s_or_b64 exec, exec, s[36:37]
.LBB43_120:                             ;   in Loop: Header=BB43_5 Depth=1
	s_or_b64 exec, exec, s[34:35]
.LBB43_121:                             ;   in Loop: Header=BB43_5 Depth=1
	s_or_b64 exec, exec, s[30:31]
.LBB43_122:                             ;   in Loop: Header=BB43_5 Depth=1
	s_or_b64 exec, exec, s[28:29]
.LBB43_123:                             ;   in Loop: Header=BB43_5 Depth=1
	s_or_b64 exec, exec, s[26:27]
.LBB43_124:                             ;   in Loop: Header=BB43_5 Depth=1
	s_or_b64 exec, exec, s[24:25]
.LBB43_125:                             ;   in Loop: Header=BB43_5 Depth=1
	s_or_b64 exec, exec, s[22:23]
.LBB43_126:                             ;   in Loop: Header=BB43_5 Depth=1
	s_or_b64 exec, exec, s[20:21]
.LBB43_127:                             ;   in Loop: Header=BB43_5 Depth=1
	s_or_b64 exec, exec, s[18:19]
.LBB43_128:                             ;   in Loop: Header=BB43_5 Depth=1
	s_or_b64 exec, exec, s[16:17]
.LBB43_129:                             ;   in Loop: Header=BB43_5 Depth=1
	s_or_b64 exec, exec, s[14:15]
.LBB43_130:                             ;   in Loop: Header=BB43_5 Depth=1
	s_or_b64 exec, exec, s[4:5]
	v_and_b32_e32 v2, 0x60, v7
	v_add_u32_e32 v9, 32, v2
	v_xor_b32_e32 v2, 16, v7
	v_cmp_lt_i32_e32 vcc, v2, v9
	v_xor_b32_e32 v11, 1, v7
	s_nop 0
	v_cndmask_b32_e32 v2, v7, v2, vcc
	v_lshlrev_b32_e32 v2, 2, v2
	ds_bpermute_b32 v4, v2, v5
	v_cmp_ne_u32_e32 vcc, 0, v5
	s_waitcnt lgkmcnt(0)
	v_cmp_ne_u32_e64 s[4:5], 0, v4
	v_xor_b32_e32 v4, 8, v7
	s_and_b64 s[4:5], vcc, s[4:5]
	v_cmp_lt_i32_e32 vcc, v4, v9
	v_cndmask_b32_e64 v5, 0, 1, s[4:5]
	s_nop 0
	v_cndmask_b32_e32 v4, v7, v4, vcc
	v_lshlrev_b32_e32 v4, 2, v4
	ds_bpermute_b32 v5, v4, v5
	s_waitcnt lgkmcnt(0)
	v_cmp_ne_u32_e32 vcc, 0, v5
	v_xor_b32_e32 v5, 4, v7
	s_and_b64 s[4:5], vcc, s[4:5]
	v_cmp_lt_i32_e32 vcc, v5, v9
	v_cndmask_b32_e64 v8, 0, 1, s[4:5]
	s_nop 0
	v_cndmask_b32_e32 v5, v7, v5, vcc
	v_lshlrev_b32_e32 v5, 2, v5
	ds_bpermute_b32 v8, v5, v8
	s_waitcnt lgkmcnt(0)
	v_cmp_ne_u32_e32 vcc, 0, v8
	;; [unrolled: 10-line block ×3, first 2 shown]
	s_and_b64 s[4:5], vcc, s[4:5]
	v_cmp_lt_i32_e32 vcc, v11, v9
	v_cndmask_b32_e64 v10, 0, 1, s[4:5]
	s_nop 0
	v_cndmask_b32_e32 v9, v7, v11, vcc
	v_lshlrev_b32_e32 v9, 2, v9
	ds_bpermute_b32 v10, v9, v10
	s_and_saveexec_b64 s[14:15], s[0:1]
	s_cbranch_execz .LBB43_3
; %bb.131:                              ;   in Loop: Header=BB43_5 Depth=1
	s_waitcnt lgkmcnt(0)
	v_cmp_ne_u32_e32 vcc, 0, v10
	s_and_b64 s[4:5], vcc, s[4:5]
	v_cndmask_b32_e64 v10, 0, 1, s[4:5]
	ds_write_b32 v1, v10
	s_branch .LBB43_3
.LBB43_132:
	s_or_b64 exec, exec, s[12:13]
	v_cmp_eq_u32_e32 vcc, 0, v0
	s_and_saveexec_b64 s[0:1], vcc
	s_cbranch_execz .LBB43_134
; %bb.133:
	s_mul_i32 s0, s33, s3
	s_add_i32 s0, s0, s2
	s_ashr_i32 s1, s0, 31
	s_lshl_b64 s[0:1], s[0:1], 2
	s_add_u32 s0, s6, s0
	s_addc_u32 s1, s7, s1
	v_mov_b32_e32 v0, 0
	global_store_dword v0, v2, s[0:1]
.LBB43_134:
	s_endpgm
	.section	.rodata,"a",@progbits
	.p2align	6, 0x0
	.amdhsa_kernel _ZL25flash_attn_mask_to_KV_maxILi32EEvPK7__half2Piiii
		.amdhsa_group_segment_fixed_size 128
		.amdhsa_private_segment_fixed_size 0
		.amdhsa_kernarg_size 288
		.amdhsa_user_sgpr_count 2
		.amdhsa_user_sgpr_dispatch_ptr 0
		.amdhsa_user_sgpr_queue_ptr 0
		.amdhsa_user_sgpr_kernarg_segment_ptr 1
		.amdhsa_user_sgpr_dispatch_id 0
		.amdhsa_user_sgpr_kernarg_preload_length 0
		.amdhsa_user_sgpr_kernarg_preload_offset 0
		.amdhsa_user_sgpr_private_segment_size 0
		.amdhsa_uses_dynamic_stack 0
		.amdhsa_enable_private_segment 0
		.amdhsa_system_sgpr_workgroup_id_x 1
		.amdhsa_system_sgpr_workgroup_id_y 1
		.amdhsa_system_sgpr_workgroup_id_z 0
		.amdhsa_system_sgpr_workgroup_info 0
		.amdhsa_system_vgpr_workitem_id 0
		.amdhsa_next_free_vgpr 13
		.amdhsa_next_free_sgpr 100
		.amdhsa_accum_offset 16
		.amdhsa_reserve_vcc 1
		.amdhsa_float_round_mode_32 0
		.amdhsa_float_round_mode_16_64 0
		.amdhsa_float_denorm_mode_32 3
		.amdhsa_float_denorm_mode_16_64 3
		.amdhsa_dx10_clamp 1
		.amdhsa_ieee_mode 1
		.amdhsa_fp16_overflow 0
		.amdhsa_tg_split 0
		.amdhsa_exception_fp_ieee_invalid_op 0
		.amdhsa_exception_fp_denorm_src 0
		.amdhsa_exception_fp_ieee_div_zero 0
		.amdhsa_exception_fp_ieee_overflow 0
		.amdhsa_exception_fp_ieee_underflow 0
		.amdhsa_exception_fp_ieee_inexact 0
		.amdhsa_exception_int_div_zero 0
	.end_amdhsa_kernel
	.section	.text._ZL25flash_attn_mask_to_KV_maxILi32EEvPK7__half2Piiii,"axG",@progbits,_ZL25flash_attn_mask_to_KV_maxILi32EEvPK7__half2Piiii,comdat
.Lfunc_end43:
	.size	_ZL25flash_attn_mask_to_KV_maxILi32EEvPK7__half2Piiii, .Lfunc_end43-_ZL25flash_attn_mask_to_KV_maxILi32EEvPK7__half2Piiii
                                        ; -- End function
	.set _ZL25flash_attn_mask_to_KV_maxILi32EEvPK7__half2Piiii.num_vgpr, 13
	.set _ZL25flash_attn_mask_to_KV_maxILi32EEvPK7__half2Piiii.num_agpr, 0
	.set _ZL25flash_attn_mask_to_KV_maxILi32EEvPK7__half2Piiii.numbered_sgpr, 100
	.set _ZL25flash_attn_mask_to_KV_maxILi32EEvPK7__half2Piiii.num_named_barrier, 0
	.set _ZL25flash_attn_mask_to_KV_maxILi32EEvPK7__half2Piiii.private_seg_size, 0
	.set _ZL25flash_attn_mask_to_KV_maxILi32EEvPK7__half2Piiii.uses_vcc, 1
	.set _ZL25flash_attn_mask_to_KV_maxILi32EEvPK7__half2Piiii.uses_flat_scratch, 0
	.set _ZL25flash_attn_mask_to_KV_maxILi32EEvPK7__half2Piiii.has_dyn_sized_stack, 0
	.set _ZL25flash_attn_mask_to_KV_maxILi32EEvPK7__half2Piiii.has_recursion, 0
	.set _ZL25flash_attn_mask_to_KV_maxILi32EEvPK7__half2Piiii.has_indirect_call, 0
	.section	.AMDGPU.csdata,"",@progbits
; Kernel info:
; codeLenInByte = 4080
; TotalNumSgprs: 106
; NumVgprs: 13
; NumAgprs: 0
; TotalNumVgprs: 13
; ScratchSize: 0
; MemoryBound: 0
; FloatMode: 240
; IeeeMode: 1
; LDSByteSize: 128 bytes/workgroup (compile time only)
; SGPRBlocks: 13
; VGPRBlocks: 1
; NumSGPRsForWavesPerEU: 106
; NumVGPRsForWavesPerEU: 13
; AccumOffset: 16
; Occupancy: 7
; WaveLimiterHint : 0
; COMPUTE_PGM_RSRC2:SCRATCH_EN: 0
; COMPUTE_PGM_RSRC2:USER_SGPR: 2
; COMPUTE_PGM_RSRC2:TRAP_HANDLER: 0
; COMPUTE_PGM_RSRC2:TGID_X_EN: 1
; COMPUTE_PGM_RSRC2:TGID_Y_EN: 1
; COMPUTE_PGM_RSRC2:TGID_Z_EN: 0
; COMPUTE_PGM_RSRC2:TIDIG_COMP_CNT: 0
; COMPUTE_PGM_RSRC3_GFX90A:ACCUM_OFFSET: 3
; COMPUTE_PGM_RSRC3_GFX90A:TG_SPLIT: 0
	.section	.text._ZL33flash_attn_stream_k_fixup_uniformILi256ELi32ELi1EEvPfPK15HIP_vector_typeIfLj2EEiiiiiiS1_IjLj3EES5_S5_,"axG",@progbits,_ZL33flash_attn_stream_k_fixup_uniformILi256ELi32ELi1EEvPfPK15HIP_vector_typeIfLj2EEiiiiiiS1_IjLj3EES5_S5_,comdat
	.globl	_ZL33flash_attn_stream_k_fixup_uniformILi256ELi32ELi1EEvPfPK15HIP_vector_typeIfLj2EEiiiiiiS1_IjLj3EES5_S5_ ; -- Begin function _ZL33flash_attn_stream_k_fixup_uniformILi256ELi32ELi1EEvPfPK15HIP_vector_typeIfLj2EEiiiiiiS1_IjLj3EES5_S5_
	.p2align	8
	.type	_ZL33flash_attn_stream_k_fixup_uniformILi256ELi32ELi1EEvPfPK15HIP_vector_typeIfLj2EEiiiiiiS1_IjLj3EES5_S5_,@function
_ZL33flash_attn_stream_k_fixup_uniformILi256ELi32ELi1EEvPfPK15HIP_vector_typeIfLj2EEiiiiiiS1_IjLj3EES5_S5_: ; @_ZL33flash_attn_stream_k_fixup_uniformILi256ELi32ELi1EEvPfPK15HIP_vector_typeIfLj2EEiiiiiiS1_IjLj3EES5_S5_
; %bb.0:
	s_load_dwordx8 s[8:15], s[0:1], 0x1c
	s_load_dwordx2 s[6:7], s[0:1], 0x10
	s_load_dwordx4 s[20:23], s[0:1], 0x3c
	s_waitcnt lgkmcnt(0)
	s_mul_hi_u32 s5, s11, s2
	s_add_i32 s5, s2, s5
	s_lshr_b32 s5, s5, s12
	s_mul_i32 s11, s5, s13
	s_sub_i32 s11, s2, s11
	s_mul_hi_u32 s12, s11, s14
	s_add_i32 s12, s11, s12
	s_lshr_b32 s16, s12, s15
	s_mul_i32 s12, s16, s20
	s_sub_i32 s12, s11, s12
	;; [unrolled: 5-line block ×3, first 2 shown]
	s_lshl_b32 s12, s17, 5
	s_add_i32 s12, s12, s3
	s_cmp_lt_i32 s12, s6
	s_cselect_b64 s[12:13], -1, 0
	s_add_i32 s14, s11, s4
	s_cmp_lt_i32 s14, s9
	s_cselect_b64 s[14:15], -1, 0
	s_and_b64 s[12:13], s[12:13], s[14:15]
	s_andn2_b64 vcc, exec, s[12:13]
	s_cbranch_vccnz .LBB44_6
; %bb.1:
	s_load_dwordx4 s[12:15], s[0:1], 0x0
	s_mul_i32 s0, s5, s6
	s_add_i32 s0, s0, s3
	s_mul_i32 s0, s0, s7
	s_mul_i32 s16, s16, s9
	s_add_i32 s0, s0, s4
	s_add_i32 s0, s0, s16
	s_mul_i32 s1, s7, s17
	s_add_i32 s0, s0, s11
	s_lshl_b32 s1, s1, 13
	s_lshl_b32 s0, s0, 8
	s_add_i32 s1, s1, s0
	v_or_b32_e32 v4, s1, v0
	s_waitcnt lgkmcnt(0)
	v_mov_b32_e32 v2, s12
	v_mov_b32_e32 v3, s13
	v_ashrrev_i32_e32 v5, 31, v4
	v_lshl_add_u64 v[2:3], v[4:5], 2, v[2:3]
	global_load_dword v5, v[2:3], off
	s_mul_i32 s6, s10, s2
	s_add_i32 s7, s6, s10
	s_add_i32 s3, s3, s4
	s_lshl_b32 s0, s7, 5
	s_add_i32 s0, s3, s0
	s_sub_i32 s0, s0, 32
	s_ashr_i32 s1, s0, 31
	s_lshl_b64 s[0:1], s[0:1], 3
	s_add_u32 s0, s14, s0
	s_addc_u32 s1, s15, s1
	s_load_dword s9, s[0:1], 0x4
	s_add_i32 s4, s7, -2
	s_cmp_lt_i32 s4, s6
	s_cbranch_scc1 .LBB44_4
; %bb.2:
	s_lshl_b32 s4, s8, 7
	s_ashr_i32 s5, s4, 31
	s_lshl_b64 s[4:5], s[4:5], 2
	s_add_u32 s4, s14, s4
	s_addc_u32 s5, s15, s5
	s_add_i32 s2, s2, 1
	s_mul_i32 s2, s10, s2
	s_load_dword s0, s[0:1], 0x0
	s_lshl_b32 s1, s3, 8
	s_lshl_b32 s10, s2, 13
	s_add_i32 s1, s1, s10
	v_or_b32_e32 v0, s1, v0
	s_lshl_b32 s1, s2, 5
	s_add_i32 s1, s3, s1
	s_lshl_b32 s2, s8, 5
	s_add_i32 s1, s1, s2
	s_add_i32 s7, s7, -1
	v_add_u32_e32 v0, 0xffffc000, v0
	s_sub_i32 s2, s1, 64
	s_waitcnt lgkmcnt(0)
	v_mov_b32_e32 v7, s0
	v_mov_b32_e32 v4, s9
	s_mov_b32 s8, 0x3fb8aa3b
	s_mov_b32 s9, 0xc2ce8ed0
	;; [unrolled: 1-line block ×3, first 2 shown]
	v_mov_b32_e32 v6, 0x7f800000
	s_mov_b32 s11, 0xc1a00000
.LBB44_3:                               ; =>This Inner Loop Header: Depth=1
	v_ashrrev_i32_e32 v1, 31, v0
	v_lshl_add_u64 v[8:9], v[0:1], 2, s[4:5]
	global_load_dword v9, v[8:9], off
	s_ashr_i32 s3, s2, 31
	s_lshl_b64 s[0:1], s[2:3], 3
	s_add_u32 s0, s14, s0
	s_addc_u32 s1, s15, s1
	s_load_dwordx2 s[0:1], s[0:1], 0x0
	v_max_f32_e32 v1, v7, v7
	s_add_i32 s7, s7, -1
	s_sub_i32 s2, s2, 32
	v_add_u32_e32 v0, 0xffffe000, v0
	s_waitcnt lgkmcnt(0)
	v_max_f32_e64 v10, s0, s0
	v_max_f32_e32 v1, v1, v10
	v_sub_f32_e32 v11, s0, v1
	v_sub_f32_e32 v10, v7, v1
	v_mul_f32_e32 v12, 0x3fb8aa3b, v11
	v_mov_b32_e32 v7, v1
	v_mul_f32_e32 v1, 0x3fb8aa3b, v10
	v_fma_f32 v15, v11, s8, -v12
	v_rndne_f32_e32 v16, v12
	v_fma_f32 v13, v10, s8, -v1
	v_rndne_f32_e32 v14, v1
	v_fmac_f32_e32 v15, 0x32a5705f, v11
	v_sub_f32_e32 v12, v12, v16
	v_fmac_f32_e32 v13, 0x32a5705f, v10
	v_sub_f32_e32 v1, v1, v14
	v_add_f32_e32 v12, v12, v15
	v_cvt_i32_f32_e32 v16, v16
	v_add_f32_e32 v1, v1, v13
	v_exp_f32_e32 v12, v12
	v_cvt_i32_f32_e32 v14, v14
	v_exp_f32_e32 v1, v1
	v_cmp_ngt_f32_e32 vcc, s9, v11
	v_ldexp_f32 v12, v12, v16
	v_mov_b32_e32 v8, s1
	v_ldexp_f32 v1, v1, v14
	v_cmp_ngt_f32_e64 s[0:1], s9, v10
	v_cndmask_b32_e32 v12, 0, v12, vcc
	v_cmp_nlt_f32_e32 vcc, s10, v11
	v_cndmask_b32_e64 v1, 0, v1, s[0:1]
	v_cmp_nlt_f32_e64 s[0:1], s10, v10
	v_cndmask_b32_e32 v12, v6, v12, vcc
	v_cmp_le_f32_e32 vcc, s11, v11
	v_cndmask_b32_e64 v1, v6, v1, s[0:1]
	v_cmp_le_f32_e64 s[0:1], s11, v10
	v_cndmask_b32_e32 v12, 0, v12, vcc
	s_cmp_le_i32 s7, s6
	v_cndmask_b32_e64 v10, 0, v1, s[0:1]
	s_waitcnt vmcnt(0)
	v_pk_mul_f32 v[8:9], v[8:9], v[12:13] op_sel_hi:[1,0]
	s_nop 0
	v_pk_fma_f32 v[4:5], v[4:5], v[10:11], v[8:9] op_sel_hi:[1,0,1]
	s_cbranch_scc0 .LBB44_3
	s_branch .LBB44_5
.LBB44_4:
	s_waitcnt lgkmcnt(0)
	v_mov_b32_e32 v4, s9
.LBB44_5:
	s_waitcnt vmcnt(0)
	v_div_scale_f32 v0, s[0:1], v4, v4, v5
	v_rcp_f32_e32 v1, v0
	v_div_scale_f32 v6, vcc, v5, v4, v5
	v_fma_f32 v7, -v0, v1, 1.0
	v_fmac_f32_e32 v1, v7, v1
	v_mul_f32_e32 v7, v6, v1
	v_fma_f32 v8, -v0, v7, v6
	v_fmac_f32_e32 v7, v8, v1
	v_fma_f32 v0, -v0, v7, v6
	v_div_fmas_f32 v0, v0, v1, v7
	v_div_fixup_f32 v0, v0, v4, v5
	global_store_dword v[2:3], v0, off
.LBB44_6:
	s_endpgm
	.section	.rodata,"a",@progbits
	.p2align	6, 0x0
	.amdhsa_kernel _ZL33flash_attn_stream_k_fixup_uniformILi256ELi32ELi1EEvPfPK15HIP_vector_typeIfLj2EEiiiiiiS1_IjLj3EES5_S5_
		.amdhsa_group_segment_fixed_size 0
		.amdhsa_private_segment_fixed_size 0
		.amdhsa_kernarg_size 76
		.amdhsa_user_sgpr_count 2
		.amdhsa_user_sgpr_dispatch_ptr 0
		.amdhsa_user_sgpr_queue_ptr 0
		.amdhsa_user_sgpr_kernarg_segment_ptr 1
		.amdhsa_user_sgpr_dispatch_id 0
		.amdhsa_user_sgpr_kernarg_preload_length 0
		.amdhsa_user_sgpr_kernarg_preload_offset 0
		.amdhsa_user_sgpr_private_segment_size 0
		.amdhsa_uses_dynamic_stack 0
		.amdhsa_enable_private_segment 0
		.amdhsa_system_sgpr_workgroup_id_x 1
		.amdhsa_system_sgpr_workgroup_id_y 1
		.amdhsa_system_sgpr_workgroup_id_z 1
		.amdhsa_system_sgpr_workgroup_info 0
		.amdhsa_system_vgpr_workitem_id 0
		.amdhsa_next_free_vgpr 17
		.amdhsa_next_free_sgpr 24
		.amdhsa_accum_offset 20
		.amdhsa_reserve_vcc 1
		.amdhsa_float_round_mode_32 0
		.amdhsa_float_round_mode_16_64 0
		.amdhsa_float_denorm_mode_32 3
		.amdhsa_float_denorm_mode_16_64 3
		.amdhsa_dx10_clamp 1
		.amdhsa_ieee_mode 1
		.amdhsa_fp16_overflow 0
		.amdhsa_tg_split 0
		.amdhsa_exception_fp_ieee_invalid_op 0
		.amdhsa_exception_fp_denorm_src 0
		.amdhsa_exception_fp_ieee_div_zero 0
		.amdhsa_exception_fp_ieee_overflow 0
		.amdhsa_exception_fp_ieee_underflow 0
		.amdhsa_exception_fp_ieee_inexact 0
		.amdhsa_exception_int_div_zero 0
	.end_amdhsa_kernel
	.section	.text._ZL33flash_attn_stream_k_fixup_uniformILi256ELi32ELi1EEvPfPK15HIP_vector_typeIfLj2EEiiiiiiS1_IjLj3EES5_S5_,"axG",@progbits,_ZL33flash_attn_stream_k_fixup_uniformILi256ELi32ELi1EEvPfPK15HIP_vector_typeIfLj2EEiiiiiiS1_IjLj3EES5_S5_,comdat
.Lfunc_end44:
	.size	_ZL33flash_attn_stream_k_fixup_uniformILi256ELi32ELi1EEvPfPK15HIP_vector_typeIfLj2EEiiiiiiS1_IjLj3EES5_S5_, .Lfunc_end44-_ZL33flash_attn_stream_k_fixup_uniformILi256ELi32ELi1EEvPfPK15HIP_vector_typeIfLj2EEiiiiiiS1_IjLj3EES5_S5_
                                        ; -- End function
	.set _ZL33flash_attn_stream_k_fixup_uniformILi256ELi32ELi1EEvPfPK15HIP_vector_typeIfLj2EEiiiiiiS1_IjLj3EES5_S5_.num_vgpr, 17
	.set _ZL33flash_attn_stream_k_fixup_uniformILi256ELi32ELi1EEvPfPK15HIP_vector_typeIfLj2EEiiiiiiS1_IjLj3EES5_S5_.num_agpr, 0
	.set _ZL33flash_attn_stream_k_fixup_uniformILi256ELi32ELi1EEvPfPK15HIP_vector_typeIfLj2EEiiiiiiS1_IjLj3EES5_S5_.numbered_sgpr, 24
	.set _ZL33flash_attn_stream_k_fixup_uniformILi256ELi32ELi1EEvPfPK15HIP_vector_typeIfLj2EEiiiiiiS1_IjLj3EES5_S5_.num_named_barrier, 0
	.set _ZL33flash_attn_stream_k_fixup_uniformILi256ELi32ELi1EEvPfPK15HIP_vector_typeIfLj2EEiiiiiiS1_IjLj3EES5_S5_.private_seg_size, 0
	.set _ZL33flash_attn_stream_k_fixup_uniformILi256ELi32ELi1EEvPfPK15HIP_vector_typeIfLj2EEiiiiiiS1_IjLj3EES5_S5_.uses_vcc, 1
	.set _ZL33flash_attn_stream_k_fixup_uniformILi256ELi32ELi1EEvPfPK15HIP_vector_typeIfLj2EEiiiiiiS1_IjLj3EES5_S5_.uses_flat_scratch, 0
	.set _ZL33flash_attn_stream_k_fixup_uniformILi256ELi32ELi1EEvPfPK15HIP_vector_typeIfLj2EEiiiiiiS1_IjLj3EES5_S5_.has_dyn_sized_stack, 0
	.set _ZL33flash_attn_stream_k_fixup_uniformILi256ELi32ELi1EEvPfPK15HIP_vector_typeIfLj2EEiiiiiiS1_IjLj3EES5_S5_.has_recursion, 0
	.set _ZL33flash_attn_stream_k_fixup_uniformILi256ELi32ELi1EEvPfPK15HIP_vector_typeIfLj2EEiiiiiiS1_IjLj3EES5_S5_.has_indirect_call, 0
	.section	.AMDGPU.csdata,"",@progbits
; Kernel info:
; codeLenInByte = 816
; TotalNumSgprs: 30
; NumVgprs: 17
; NumAgprs: 0
; TotalNumVgprs: 17
; ScratchSize: 0
; MemoryBound: 0
; FloatMode: 240
; IeeeMode: 1
; LDSByteSize: 0 bytes/workgroup (compile time only)
; SGPRBlocks: 3
; VGPRBlocks: 2
; NumSGPRsForWavesPerEU: 30
; NumVGPRsForWavesPerEU: 17
; AccumOffset: 20
; Occupancy: 8
; WaveLimiterHint : 0
; COMPUTE_PGM_RSRC2:SCRATCH_EN: 0
; COMPUTE_PGM_RSRC2:USER_SGPR: 2
; COMPUTE_PGM_RSRC2:TRAP_HANDLER: 0
; COMPUTE_PGM_RSRC2:TGID_X_EN: 1
; COMPUTE_PGM_RSRC2:TGID_Y_EN: 1
; COMPUTE_PGM_RSRC2:TGID_Z_EN: 1
; COMPUTE_PGM_RSRC2:TIDIG_COMP_CNT: 0
; COMPUTE_PGM_RSRC3_GFX90A:ACCUM_OFFSET: 4
; COMPUTE_PGM_RSRC3_GFX90A:TG_SPLIT: 0
	.section	.text._ZL33flash_attn_stream_k_fixup_generalILi256ELi32ELi1EEvPfPK15HIP_vector_typeIfLj2EEiiiiS1_IjLj3EES5_S5_S5_,"axG",@progbits,_ZL33flash_attn_stream_k_fixup_generalILi256ELi32ELi1EEvPfPK15HIP_vector_typeIfLj2EEiiiiS1_IjLj3EES5_S5_S5_,comdat
	.globl	_ZL33flash_attn_stream_k_fixup_generalILi256ELi32ELi1EEvPfPK15HIP_vector_typeIfLj2EEiiiiS1_IjLj3EES5_S5_S5_ ; -- Begin function _ZL33flash_attn_stream_k_fixup_generalILi256ELi32ELi1EEvPfPK15HIP_vector_typeIfLj2EEiiiiS1_IjLj3EES5_S5_S5_
	.p2align	8
	.type	_ZL33flash_attn_stream_k_fixup_generalILi256ELi32ELi1EEvPfPK15HIP_vector_typeIfLj2EEiiiiS1_IjLj3EES5_S5_S5_,@function
_ZL33flash_attn_stream_k_fixup_generalILi256ELi32ELi1EEvPfPK15HIP_vector_typeIfLj2EEiiiiS1_IjLj3EES5_S5_S5_: ; @_ZL33flash_attn_stream_k_fixup_generalILi256ELi32ELi1EEvPfPK15HIP_vector_typeIfLj2EEiiiiS1_IjLj3EES5_S5_S5_
; %bb.0:
	s_load_dwordx4 s[8:11], s[0:1], 0x10
	s_load_dword s22, s[0:1], 0x50
	s_mov_b32 s12, 0
	s_waitcnt lgkmcnt(0)
	s_mul_hi_i32 s13, s11, s2
	s_cmp_lg_u64 s[12:13], 0
	s_mul_i32 s5, s11, s2
	s_cbranch_scc0 .LBB45_20
; %bb.1:
	s_add_u32 s6, s22, 0
	s_addc_u32 s7, 0, 0
	s_xor_b64 s[6:7], s[6:7], 0
	v_cvt_f32_u32_e32 v1, s6
	v_cvt_f32_u32_e32 v2, s7
	s_sub_u32 s12, 0, s6
	s_subb_u32 s18, 0, s7
	v_fmamk_f32 v1, v2, 0x4f800000, v1
	v_rcp_f32_e32 v1, v1
	s_nop 0
	v_mul_f32_e32 v1, 0x5f7ffffc, v1
	v_mul_f32_e32 v2, 0x2f800000, v1
	v_trunc_f32_e32 v2, v2
	v_fmamk_f32 v1, v2, 0xcf800000, v1
	v_cvt_u32_f32_e32 v2, v2
	v_cvt_u32_f32_e32 v1, v1
	v_readfirstlane_b32 s19, v2
	v_readfirstlane_b32 s14, v1
	s_mul_i32 s15, s12, s19
	s_mul_hi_u32 s21, s12, s14
	s_mul_i32 s20, s18, s14
	s_add_i32 s15, s21, s15
	s_add_i32 s15, s15, s20
	s_mul_i32 s23, s12, s14
	s_mul_i32 s21, s14, s15
	s_mul_hi_u32 s24, s14, s23
	s_mul_hi_u32 s20, s14, s15
	s_add_u32 s21, s24, s21
	s_addc_u32 s20, 0, s20
	s_mul_hi_u32 s25, s19, s23
	s_mul_i32 s23, s19, s23
	s_add_u32 s21, s21, s23
	s_mul_hi_u32 s24, s19, s15
	s_addc_u32 s20, s20, s25
	s_addc_u32 s21, s24, 0
	s_mul_i32 s15, s19, s15
	s_add_u32 s15, s20, s15
	s_addc_u32 s20, 0, s21
	s_add_u32 s21, s14, s15
	s_cselect_b64 s[14:15], -1, 0
	s_cmp_lg_u64 s[14:15], 0
	s_addc_u32 s19, s19, s20
	s_mul_i32 s14, s12, s19
	s_mul_hi_u32 s15, s12, s21
	s_add_i32 s14, s15, s14
	s_mul_i32 s18, s18, s21
	s_add_i32 s14, s14, s18
	s_mul_i32 s12, s12, s21
	s_mul_hi_u32 s18, s19, s12
	s_mul_i32 s20, s19, s12
	s_mul_i32 s24, s21, s14
	s_mul_hi_u32 s12, s21, s12
	s_mul_hi_u32 s23, s21, s14
	s_add_u32 s12, s12, s24
	s_addc_u32 s23, 0, s23
	s_add_u32 s12, s12, s20
	s_mul_hi_u32 s15, s19, s14
	s_addc_u32 s12, s23, s18
	s_addc_u32 s15, s15, 0
	s_mul_i32 s14, s19, s14
	s_add_u32 s12, s12, s14
	s_addc_u32 s18, 0, s15
	s_add_u32 s20, s21, s12
	s_cselect_b64 s[14:15], -1, 0
	s_cmp_lg_u64 s[14:15], 0
	s_addc_u32 s18, s19, s18
	s_ashr_i32 s14, s13, 31
	s_add_u32 s12, s5, s14
	s_mov_b32 s15, s14
	s_addc_u32 s13, s13, s14
	s_xor_b64 s[12:13], s[12:13], s[14:15]
	s_mul_i32 s21, s12, s18
	s_mul_hi_u32 s23, s12, s20
	s_mul_hi_u32 s19, s12, s18
	s_add_u32 s21, s23, s21
	s_addc_u32 s19, 0, s19
	s_mul_hi_u32 s24, s13, s20
	s_mul_i32 s20, s13, s20
	s_add_u32 s20, s21, s20
	s_mul_hi_u32 s23, s13, s18
	s_addc_u32 s19, s19, s24
	s_addc_u32 s20, s23, 0
	s_mul_i32 s18, s13, s18
	s_add_u32 s23, s19, s18
	s_addc_u32 s24, 0, s20
	s_mul_i32 s18, s6, s24
	s_mul_hi_u32 s19, s6, s23
	s_add_i32 s18, s19, s18
	s_mul_i32 s19, s7, s23
	s_add_i32 s25, s18, s19
	s_sub_i32 s20, s13, s25
	s_mul_i32 s18, s6, s23
	s_sub_u32 s12, s12, s18
	s_cselect_b64 s[18:19], -1, 0
	s_cmp_lg_u64 s[18:19], 0
	s_subb_u32 s26, s20, s7
	s_sub_u32 s27, s12, s6
	s_cselect_b64 s[20:21], -1, 0
	s_cmp_lg_u64 s[20:21], 0
	s_subb_u32 s20, s26, 0
	s_cmp_ge_u32 s20, s7
	s_cselect_b32 s21, -1, 0
	s_cmp_ge_u32 s27, s6
	s_cselect_b32 s26, -1, 0
	s_cmp_eq_u32 s20, s7
	s_cselect_b32 s20, s26, s21
	s_add_u32 s21, s23, 1
	s_addc_u32 s26, s24, 0
	s_add_u32 s27, s23, 2
	s_addc_u32 s28, s24, 0
	s_cmp_lg_u32 s20, 0
	s_cselect_b32 s20, s27, s21
	s_cselect_b32 s21, s28, s26
	s_cmp_lg_u64 s[18:19], 0
	s_subb_u32 s13, s13, s25
	s_cmp_ge_u32 s13, s7
	s_cselect_b32 s18, -1, 0
	s_cmp_ge_u32 s12, s6
	s_cselect_b32 s6, -1, 0
	s_cmp_eq_u32 s13, s7
	s_cselect_b32 s6, s6, s18
	s_cmp_lg_u32 s6, 0
	s_cselect_b32 s7, s21, s24
	s_cselect_b32 s6, s20, s23
	s_xor_b64 s[12:13], s[14:15], 0
	s_xor_b64 s[6:7], s[6:7], s[12:13]
	s_sub_u32 s6, s6, s12
	s_load_dwordx4 s[12:15], s[0:1], 0x44
	s_cbranch_execnz .LBB45_3
.LBB45_2:
	v_cvt_f32_u32_e32 v1, s22
	s_sub_i32 s6, 0, s22
	v_rcp_iflag_f32_e32 v1, v1
	s_nop 0
	v_mul_f32_e32 v1, 0x4f7ffffe, v1
	v_cvt_u32_f32_e32 v1, v1
	s_nop 0
	v_readfirstlane_b32 s7, v1
	s_mul_i32 s6, s6, s7
	s_mul_hi_u32 s6, s7, s6
	s_add_i32 s7, s7, s6
	s_mul_hi_u32 s6, s5, s7
	s_waitcnt lgkmcnt(0)
	s_mul_i32 s15, s6, s22
	s_sub_i32 s5, s5, s15
	s_add_i32 s7, s6, 1
	s_sub_i32 s15, s5, s22
	s_cmp_ge_u32 s5, s22
	s_cselect_b32 s6, s7, s6
	s_cselect_b32 s5, s15, s5
	s_add_i32 s7, s6, 1
	s_cmp_ge_u32 s5, s22
	s_cselect_b32 s6, s7, s6
.LBB45_3:
	s_add_i32 s5, s2, 1
	s_mul_hi_i32 s21, s11, s5
	s_mov_b32 s20, 0
	s_cmp_lg_u64 s[20:21], 0
	s_mul_i32 s5, s11, s5
	s_cbranch_scc0 .LBB45_21
; %bb.4:
	s_add_u32 s16, s22, 0
	s_addc_u32 s17, 0, 0
	s_xor_b64 s[18:19], s[16:17], 0
	v_cvt_f32_u32_e32 v1, s18
	v_cvt_f32_u32_e32 v2, s19
	s_sub_u32 s7, 0, s18
	s_waitcnt lgkmcnt(0)
	s_subb_u32 s15, 0, s19
	v_fmamk_f32 v1, v2, 0x4f800000, v1
	v_rcp_f32_e32 v1, v1
	s_nop 0
	v_mul_f32_e32 v1, 0x5f7ffffc, v1
	v_mul_f32_e32 v2, 0x2f800000, v1
	v_trunc_f32_e32 v2, v2
	v_fmamk_f32 v1, v2, 0xcf800000, v1
	v_cvt_u32_f32_e32 v2, v2
	v_cvt_u32_f32_e32 v1, v1
	v_readfirstlane_b32 s20, v2
	v_readfirstlane_b32 s23, v1
	s_mul_i32 s24, s7, s20
	s_mul_hi_u32 s26, s7, s23
	s_mul_i32 s25, s15, s23
	s_add_i32 s24, s26, s24
	s_add_i32 s24, s24, s25
	s_mul_i32 s27, s7, s23
	s_mul_i32 s26, s23, s24
	s_mul_hi_u32 s28, s23, s27
	s_mul_hi_u32 s25, s23, s24
	s_add_u32 s26, s28, s26
	s_addc_u32 s25, 0, s25
	s_mul_hi_u32 s29, s20, s27
	s_mul_i32 s27, s20, s27
	s_add_u32 s26, s26, s27
	s_mul_hi_u32 s28, s20, s24
	s_addc_u32 s25, s25, s29
	s_addc_u32 s26, s28, 0
	s_mul_i32 s24, s20, s24
	s_add_u32 s24, s25, s24
	s_addc_u32 s26, 0, s26
	s_add_u32 s23, s23, s24
	s_cselect_b64 s[24:25], -1, 0
	s_cmp_lg_u64 s[24:25], 0
	s_addc_u32 s20, s20, s26
	s_mul_i32 s24, s7, s20
	s_mul_hi_u32 s25, s7, s23
	s_add_i32 s24, s25, s24
	s_mul_i32 s15, s15, s23
	s_add_i32 s24, s24, s15
	s_mul_i32 s7, s7, s23
	s_mul_hi_u32 s25, s20, s7
	s_mul_i32 s26, s20, s7
	s_mul_i32 s28, s23, s24
	s_mul_hi_u32 s7, s23, s7
	s_mul_hi_u32 s27, s23, s24
	s_add_u32 s7, s7, s28
	s_addc_u32 s27, 0, s27
	s_add_u32 s7, s7, s26
	s_mul_hi_u32 s15, s20, s24
	s_addc_u32 s7, s27, s25
	s_addc_u32 s15, s15, 0
	s_mul_i32 s24, s20, s24
	s_add_u32 s7, s7, s24
	s_addc_u32 s15, 0, s15
	s_add_u32 s7, s23, s7
	s_cselect_b64 s[24:25], -1, 0
	s_cmp_lg_u64 s[24:25], 0
	s_addc_u32 s15, s20, s15
	s_ashr_i32 s24, s21, 31
	s_add_u32 s20, s5, s24
	s_mov_b32 s25, s24
	s_addc_u32 s21, s21, s24
	s_xor_b64 s[20:21], s[20:21], s[24:25]
	s_mul_i32 s26, s20, s15
	s_mul_hi_u32 s27, s20, s7
	s_mul_hi_u32 s23, s20, s15
	s_add_u32 s26, s27, s26
	s_addc_u32 s23, 0, s23
	s_mul_hi_u32 s28, s21, s7
	s_mul_i32 s7, s21, s7
	s_add_u32 s7, s26, s7
	s_mul_hi_u32 s27, s21, s15
	s_addc_u32 s7, s23, s28
	s_addc_u32 s23, s27, 0
	s_mul_i32 s15, s21, s15
	s_add_u32 s7, s7, s15
	s_addc_u32 s15, 0, s23
	s_mul_i32 s23, s18, s15
	s_mul_hi_u32 s26, s18, s7
	s_add_i32 s23, s26, s23
	s_mul_i32 s26, s19, s7
	s_add_i32 s23, s23, s26
	s_sub_i32 s28, s21, s23
	s_mul_i32 s26, s18, s7
	s_sub_u32 s20, s20, s26
	s_cselect_b64 s[26:27], -1, 0
	s_cmp_lg_u64 s[26:27], 0
	s_subb_u32 s30, s28, s19
	s_sub_u32 s31, s20, s18
	s_cselect_b64 s[28:29], -1, 0
	s_cmp_lg_u64 s[28:29], 0
	s_subb_u32 s28, s30, 0
	s_cmp_ge_u32 s28, s19
	s_cselect_b32 s29, -1, 0
	s_cmp_ge_u32 s31, s18
	s_cselect_b32 s30, -1, 0
	s_cmp_eq_u32 s28, s19
	s_cselect_b32 s28, s30, s29
	s_add_u32 s29, s7, 1
	s_addc_u32 s30, s15, 0
	s_add_u32 s31, s7, 2
	s_addc_u32 s33, s15, 0
	s_cmp_lg_u32 s28, 0
	s_cselect_b32 s28, s31, s29
	s_cselect_b32 s29, s33, s30
	s_cmp_lg_u64 s[26:27], 0
	s_subb_u32 s21, s21, s23
	s_cmp_ge_u32 s21, s19
	s_cselect_b32 s23, -1, 0
	s_cmp_ge_u32 s20, s18
	s_cselect_b32 s18, -1, 0
	s_cmp_eq_u32 s21, s19
	s_cselect_b32 s18, s18, s23
	s_cmp_lg_u32 s18, 0
	s_cselect_b32 s19, s29, s15
	s_cselect_b32 s18, s28, s7
	s_xor_b64 s[20:21], s[24:25], 0
	s_xor_b64 s[18:19], s[18:19], s[20:21]
	s_sub_u32 s18, s18, s20
	s_cbranch_execnz .LBB45_6
.LBB45_5:
	v_cvt_f32_u32_e32 v1, s22
	s_sub_i32 s7, 0, s22
	v_rcp_iflag_f32_e32 v1, v1
	s_nop 0
	v_mul_f32_e32 v1, 0x4f7ffffe, v1
	v_cvt_u32_f32_e32 v1, v1
	s_waitcnt lgkmcnt(0)
	v_readfirstlane_b32 s15, v1
	s_mul_i32 s7, s7, s15
	s_mul_hi_u32 s7, s15, s7
	s_add_i32 s15, s15, s7
	s_mul_hi_u32 s7, s5, s15
	s_mul_i32 s16, s7, s22
	s_sub_i32 s5, s5, s16
	s_add_i32 s15, s7, 1
	s_sub_i32 s16, s5, s22
	s_cmp_ge_u32 s5, s22
	s_cselect_b32 s7, s15, s7
	s_cselect_b32 s5, s16, s5
	s_add_i32 s15, s7, 1
	s_cmp_ge_u32 s5, s22
	s_cselect_b32 s18, s15, s7
.LBB45_6:
	s_cmp_eq_u32 s6, s18
	s_waitcnt lgkmcnt(0)
	s_mul_hi_u32 s5, s6, s12
	s_cselect_b64 s[16:17], -1, 0
	s_add_i32 s5, s5, s6
	s_lshr_b32 s7, s5, s13
	s_mul_i32 s5, s7, s14
	s_cmp_eq_u32 s5, s6
	s_mul_hi_u32 s5, s18, s12
	s_cselect_b64 s[20:21], -1, 0
	s_add_i32 s5, s5, s18
	s_lshr_b32 s5, s5, s13
	s_cmp_eq_u32 s7, s5
	s_mul_i32 s5, s5, s14
	s_cselect_b64 s[24:25], -1, 0
	s_cmp_lg_u32 s5, s18
	s_cselect_b64 s[18:19], -1, 0
	s_and_b64 s[18:19], s[24:25], s[18:19]
	s_or_b64 s[16:17], s[16:17], s[20:21]
	s_or_b64 s[16:17], s[16:17], s[18:19]
	s_and_b64 vcc, exec, s[16:17]
	s_cbranch_vccnz .LBB45_23
; %bb.7:
	s_load_dwordx8 s[24:31], s[0:1], 0x20
	s_load_dword s15, s[0:1], 0x40
	s_waitcnt lgkmcnt(0)
	s_mul_hi_u32 s5, s6, s24
	s_add_i32 s5, s5, s6
	s_lshr_b32 s5, s5, s25
	s_mul_i32 s16, s5, s26
	s_sub_i32 s16, s6, s16
	s_mul_hi_u32 s17, s16, s27
	s_add_i32 s17, s16, s17
	s_lshr_b32 s21, s17, s28
	s_mul_i32 s17, s21, s29
	s_sub_i32 s16, s16, s17
	s_mul_hi_u32 s17, s16, s30
	s_add_i32 s17, s16, s17
	s_lshr_b32 s20, s17, s31
	s_mul_i32 s15, s20, s15
	s_sub_i32 s15, s16, s15
	s_mul_hi_u32 s16, s15, s12
	s_add_i32 s15, s15, s16
	s_lshr_b32 s23, s15, s13
	s_lshl_b32 s15, s23, 5
	s_add_i32 s15, s15, s3
	s_cmp_lt_i32 s15, s8
	s_cselect_b64 s[16:17], -1, 0
	s_add_i32 s15, s20, s4
	s_cmp_lt_i32 s15, s10
	s_cselect_b64 s[18:19], -1, 0
	s_and_b64 s[16:17], s[16:17], s[18:19]
	s_andn2_b64 vcc, exec, s[16:17]
	s_cbranch_vccnz .LBB45_23
; %bb.8:
	s_load_dwordx4 s[16:19], s[0:1], 0x0
	s_mov_b32 s0, 0
	s_lshl_b32 s24, s22, 7
	s_mov_b32 s25, s0
	s_add_i32 s15, s3, s4
	s_waitcnt lgkmcnt(0)
	v_mov_b32_e32 v2, s16
	v_mov_b32_e32 v3, s17
	s_lshl_b64 s[16:17], s[24:25], 2
	s_add_u32 s16, s18, s16
	s_mul_i32 s1, s5, s8
	s_addc_u32 s17, s19, s17
	s_add_i32 s1, s1, s3
	s_mul_i32 s1, s1, s9
	s_mul_i32 s21, s21, s10
	s_add_i32 s1, s1, s4
	s_add_i32 s1, s1, s21
	s_mul_i32 s5, s9, s23
	s_add_i32 s1, s1, s20
	s_lshl_b32 s5, s5, 13
	s_lshl_b32 s1, s1, 8
	s_add_i32 s5, s5, s1
	v_or_b32_e32 v4, s5, v0
	v_ashrrev_i32_e32 v5, 31, v4
	v_lshl_add_u64 v[2:3], v[4:5], 2, v[2:3]
	global_load_dword v1, v[2:3], off
	v_cvt_f32_u32_e32 v4, s22
	s_lshl_b32 s1, s2, 5
	s_add_i32 s4, s1, s15
	s_ashr_i32 s5, s4, 31
	s_lshl_b64 s[4:5], s[4:5], 3
	v_rcp_iflag_f32_e32 v4, v4
	s_add_u32 s4, s18, s4
	s_addc_u32 s5, s19, s5
	s_load_dwordx2 s[4:5], s[4:5], 0x0
	v_mul_f32_e32 v4, 0x4f7ffffe, v4
	v_cvt_u32_f32_e32 v7, v4
	s_add_i32 s24, s2, -1
	v_lshl_or_b32 v6, s15, 8, v0
	s_waitcnt lgkmcnt(0)
	v_mov_b32_e32 v0, s5
	v_mov_b32_e32 v9, s4
	s_mov_b32 s10, 0x3fb8aa3b
	s_mov_b32 s20, 0xc2ce8ed0
	;; [unrolled: 1-line block ×4, first 2 shown]
	v_mov_b32_e32 v8, 0x7f800000
	s_mul_hi_i32 s1, s24, s11
	s_cmp_lg_u64 s[0:1], 0
	s_mul_i32 s8, s24, s11
	s_cbranch_scc0 .LBB45_19
.LBB45_9:
	s_add_u32 s2, s22, 0
	s_addc_u32 s3, 0, 0
	s_xor_b64 s[2:3], s[2:3], 0
	v_cvt_f32_u32_e32 v4, s2
	v_cvt_f32_u32_e32 v5, s3
	s_sub_u32 s9, 0, s2
	s_subb_u32 s25, 0, s3
	v_fmac_f32_e32 v4, 0x4f800000, v5
	v_rcp_f32_e32 v4, v4
	s_nop 0
	v_mul_f32_e32 v4, 0x5f7ffffc, v4
	v_mul_f32_e32 v5, 0x2f800000, v4
	v_trunc_f32_e32 v5, v5
	v_fmac_f32_e32 v4, 0xcf800000, v5
	v_cvt_u32_f32_e32 v5, v5
	v_cvt_u32_f32_e32 v4, v4
	v_readfirstlane_b32 s26, v5
	v_readfirstlane_b32 s4, v4
	s_mul_i32 s5, s9, s26
	s_mul_hi_u32 s28, s9, s4
	s_mul_i32 s27, s25, s4
	s_add_i32 s5, s28, s5
	s_mul_i32 s29, s9, s4
	s_add_i32 s5, s5, s27
	s_mul_i32 s28, s4, s5
	s_mul_hi_u32 s30, s4, s29
	s_mul_hi_u32 s27, s4, s5
	s_add_u32 s28, s30, s28
	s_addc_u32 s27, 0, s27
	s_mul_hi_u32 s31, s26, s29
	s_mul_i32 s29, s26, s29
	s_add_u32 s28, s28, s29
	s_mul_hi_u32 s30, s26, s5
	s_addc_u32 s27, s27, s31
	s_addc_u32 s28, s30, 0
	s_mul_i32 s5, s26, s5
	s_add_u32 s5, s27, s5
	s_addc_u32 s27, 0, s28
	s_add_u32 s28, s4, s5
	s_cselect_b64 s[4:5], -1, 0
	s_cmp_lg_u64 s[4:5], 0
	s_addc_u32 s26, s26, s27
	s_mul_i32 s4, s9, s26
	s_mul_hi_u32 s5, s9, s28
	s_add_i32 s4, s5, s4
	s_mul_i32 s25, s25, s28
	s_add_i32 s4, s4, s25
	s_mul_i32 s9, s9, s28
	s_mul_hi_u32 s25, s26, s9
	s_mul_i32 s27, s26, s9
	s_mul_i32 s30, s28, s4
	s_mul_hi_u32 s9, s28, s9
	s_mul_hi_u32 s29, s28, s4
	s_add_u32 s9, s9, s30
	s_addc_u32 s29, 0, s29
	s_add_u32 s9, s9, s27
	s_mul_hi_u32 s5, s26, s4
	s_addc_u32 s9, s29, s25
	s_addc_u32 s5, s5, 0
	s_mul_i32 s4, s26, s4
	s_add_u32 s4, s9, s4
	s_addc_u32 s9, 0, s5
	s_add_u32 s25, s28, s4
	s_cselect_b64 s[4:5], -1, 0
	s_cmp_lg_u64 s[4:5], 0
	s_addc_u32 s9, s26, s9
	s_ashr_i32 s4, s1, 31
	s_add_u32 s26, s8, s4
	s_mov_b32 s5, s4
	s_addc_u32 s27, s1, s4
	s_xor_b64 s[26:27], s[26:27], s[4:5]
	s_mul_i32 s28, s26, s9
	s_mul_hi_u32 s29, s26, s25
	s_mul_hi_u32 s1, s26, s9
	s_add_u32 s28, s29, s28
	s_addc_u32 s1, 0, s1
	s_mul_hi_u32 s30, s27, s25
	s_mul_i32 s25, s27, s25
	s_add_u32 s25, s28, s25
	s_mul_hi_u32 s29, s27, s9
	s_addc_u32 s1, s1, s30
	s_addc_u32 s25, s29, 0
	s_mul_i32 s9, s27, s9
	s_add_u32 s1, s1, s9
	s_addc_u32 s9, 0, s25
	s_mul_i32 s25, s2, s9
	s_mul_hi_u32 s28, s2, s1
	s_add_i32 s25, s28, s25
	s_mul_i32 s28, s3, s1
	s_add_i32 s25, s25, s28
	s_sub_i32 s30, s27, s25
	s_mul_i32 s28, s2, s1
	s_sub_u32 s26, s26, s28
	s_cselect_b64 s[28:29], -1, 0
	s_cmp_lg_u64 s[28:29], 0
	s_subb_u32 s33, s30, s3
	s_sub_u32 s34, s26, s2
	s_cselect_b64 s[30:31], -1, 0
	s_cmp_lg_u64 s[30:31], 0
	s_subb_u32 s30, s33, 0
	s_cmp_ge_u32 s30, s3
	s_cselect_b32 s31, -1, 0
	s_cmp_ge_u32 s34, s2
	s_cselect_b32 s33, -1, 0
	s_cmp_eq_u32 s30, s3
	s_cselect_b32 s30, s33, s31
	s_add_u32 s31, s1, 1
	s_addc_u32 s33, s9, 0
	s_add_u32 s34, s1, 2
	s_addc_u32 s35, s9, 0
	s_cmp_lg_u32 s30, 0
	s_cselect_b32 s30, s34, s31
	s_cselect_b32 s31, s35, s33
	s_cmp_lg_u64 s[28:29], 0
	s_subb_u32 s25, s27, s25
	s_cmp_ge_u32 s25, s3
	s_cselect_b32 s27, -1, 0
	s_cmp_ge_u32 s26, s2
	s_cselect_b32 s2, -1, 0
	s_cmp_eq_u32 s25, s3
	s_cselect_b32 s2, s2, s27
	s_cmp_lg_u32 s2, 0
	s_cselect_b32 s3, s31, s9
	s_cselect_b32 s2, s30, s1
	s_xor_b64 s[4:5], s[4:5], 0
	s_xor_b64 s[2:3], s[2:3], s[4:5]
	s_sub_u32 s4, s2, s4
	s_cbranch_execnz .LBB45_11
.LBB45_10:
	s_sub_i32 s1, 0, s22
	v_readfirstlane_b32 s2, v7
	s_mul_i32 s1, s1, s2
	s_mul_hi_u32 s1, s2, s1
	s_add_i32 s2, s2, s1
	s_mul_hi_u32 s1, s8, s2
	s_mul_i32 s3, s1, s22
	s_sub_i32 s3, s8, s3
	s_add_i32 s2, s1, 1
	s_sub_i32 s4, s3, s22
	s_cmp_ge_u32 s3, s22
	s_cselect_b32 s1, s2, s1
	s_cselect_b32 s3, s4, s3
	s_add_i32 s2, s1, 1
	s_cmp_ge_u32 s3, s22
	s_cselect_b32 s4, s2, s1
.LBB45_11:
	s_cmp_lg_u32 s6, s4
	s_cbranch_scc0 .LBB45_15
; %bb.12:
	s_add_i32 s1, s24, s22
	s_lshl_b32 s1, s1, 5
	s_add_i32 s2, s1, s15
	s_mov_b32 s3, s0
	s_lshl_b64 s[2:3], s[2:3], 3
	s_add_u32 s8, s18, s2
	s_mul_hi_u32 s1, s4, s12
	s_addc_u32 s9, s19, s3
	s_add_i32 s1, s1, s4
	s_lshr_b32 s1, s1, s13
	s_mul_i32 s2, s1, s14
	s_cmp_eq_u32 s2, s4
	s_cselect_b64 s[2:3], -1, 0
	s_cmp_lt_u32 s1, s7
	s_cselect_b64 s[26:27], -1, 0
	s_or_b64 s[26:27], s[26:27], s[2:3]
	s_mov_b64 s[2:3], -1
	s_and_b64 vcc, exec, s[26:27]
	s_mov_b32 s1, s24
	s_mov_b32 s25, s6
	s_cbranch_vccnz .LBB45_14
; %bb.13:
	s_add_i32 s1, s24, -1
	s_mov_b64 s[2:3], 0
	s_mov_b32 s25, s4
.LBB45_14:
	v_lshl_add_u32 v4, s24, 13, v6
	v_ashrrev_i32_e32 v5, 31, v4
	v_lshl_add_u64 v[4:5], v[4:5], 2, s[16:17]
	global_load_dword v5, v[4:5], off
	s_load_dwordx2 s[4:5], s[8:9], 0x0
	v_max_f32_e32 v4, v9, v9
	s_waitcnt lgkmcnt(0)
	v_max_f32_e64 v10, s4, s4
	v_max_f32_e32 v10, v4, v10
	v_sub_f32_e32 v11, v9, v10
	v_sub_f32_e32 v13, s4, v10
	v_mul_f32_e32 v4, 0x3fb8aa3b, v11
	v_mul_f32_e32 v12, 0x3fb8aa3b, v13
	v_fma_f32 v14, v11, s10, -v4
	v_rndne_f32_e32 v15, v4
	v_fma_f32 v16, v13, s10, -v12
	v_rndne_f32_e32 v17, v12
	v_fmac_f32_e32 v14, 0x32a5705f, v11
	v_sub_f32_e32 v4, v4, v15
	v_fmac_f32_e32 v16, 0x32a5705f, v13
	v_sub_f32_e32 v12, v12, v17
	v_add_f32_e32 v4, v4, v14
	v_cvt_i32_f32_e32 v15, v15
	v_add_f32_e32 v12, v12, v16
	v_exp_f32_e32 v14, v4
	v_cvt_i32_f32_e32 v17, v17
	v_exp_f32_e32 v12, v12
	v_cmp_ngt_f32_e32 vcc, s20, v11
	v_ldexp_f32 v14, v14, v15
	v_mov_b32_e32 v4, s5
	v_ldexp_f32 v12, v12, v17
	v_cndmask_b32_e32 v14, 0, v14, vcc
	v_cmp_ngt_f32_e32 vcc, s20, v13
	s_nop 1
	v_cndmask_b32_e32 v12, 0, v12, vcc
	v_cmp_nlt_f32_e32 vcc, s21, v11
	s_nop 1
	v_cndmask_b32_e32 v14, v8, v14, vcc
	v_cmp_nlt_f32_e32 vcc, s21, v13
	s_nop 1
	v_cndmask_b32_e32 v15, v8, v12, vcc
	v_cmp_le_f32_e32 vcc, s23, v11
	s_nop 1
	v_cndmask_b32_e32 v12, 0, v14, vcc
	v_cmp_le_f32_e32 vcc, s23, v13
	s_nop 1
	v_cndmask_b32_e32 v14, 0, v15, vcc
	s_waitcnt vmcnt(0)
	v_pk_mul_f32 v[4:5], v[4:5], v[14:15] op_sel_hi:[1,0]
	s_nop 0
	v_pk_fma_f32 v[4:5], v[0:1], v[12:13], v[4:5] op_sel_hi:[1,0,1]
	s_cbranch_execz .LBB45_16
	s_branch .LBB45_17
.LBB45_15:
                                        ; implicit-def: $vgpr4_vgpr5
                                        ; implicit-def: $sgpr2_sgpr3
                                        ; implicit-def: $vgpr10
                                        ; implicit-def: $sgpr1
                                        ; implicit-def: $sgpr25
.LBB45_16:
	s_add_i32 s1, s24, -1
	s_mov_b64 s[2:3], 0
	s_mov_b32 s25, s6
	v_mov_b32_e32 v10, v9
	s_waitcnt vmcnt(0)
	v_mov_b64_e32 v[4:5], v[0:1]
.LBB45_17:
	s_andn2_b64 vcc, exec, s[2:3]
	s_cbranch_vccz .LBB45_22
; %bb.18:
	s_mov_b32 s6, s25
	s_mov_b32 s24, s1
	v_mov_b32_e32 v9, v10
	s_waitcnt vmcnt(0)
	v_mov_b64_e32 v[0:1], v[4:5]
	s_mul_hi_i32 s1, s24, s11
	s_cmp_lg_u64 s[0:1], 0
	s_mul_i32 s8, s24, s11
	s_cbranch_scc1 .LBB45_9
.LBB45_19:
                                        ; implicit-def: $sgpr4_sgpr5
	s_branch .LBB45_10
.LBB45_20:
                                        ; implicit-def: $sgpr6_sgpr7
	s_load_dwordx4 s[12:15], s[0:1], 0x44
	s_branch .LBB45_2
.LBB45_21:
                                        ; implicit-def: $sgpr18_sgpr19
	s_branch .LBB45_5
.LBB45_22:
	v_div_scale_f32 v0, s[0:1], v4, v4, v5
	s_waitcnt vmcnt(0)
	v_rcp_f32_e32 v1, v0
	v_div_scale_f32 v6, vcc, v5, v4, v5
	v_fma_f32 v7, -v0, v1, 1.0
	v_fmac_f32_e32 v1, v7, v1
	v_mul_f32_e32 v7, v6, v1
	v_fma_f32 v8, -v0, v7, v6
	v_fmac_f32_e32 v7, v8, v1
	v_fma_f32 v0, -v0, v7, v6
	v_div_fmas_f32 v0, v0, v1, v7
	v_div_fixup_f32 v0, v0, v4, v5
	global_store_dword v[2:3], v0, off
.LBB45_23:
	s_endpgm
	.section	.rodata,"a",@progbits
	.p2align	6, 0x0
	.amdhsa_kernel _ZL33flash_attn_stream_k_fixup_generalILi256ELi32ELi1EEvPfPK15HIP_vector_typeIfLj2EEiiiiS1_IjLj3EES5_S5_S5_
		.amdhsa_group_segment_fixed_size 0
		.amdhsa_private_segment_fixed_size 0
		.amdhsa_kernarg_size 336
		.amdhsa_user_sgpr_count 2
		.amdhsa_user_sgpr_dispatch_ptr 0
		.amdhsa_user_sgpr_queue_ptr 0
		.amdhsa_user_sgpr_kernarg_segment_ptr 1
		.amdhsa_user_sgpr_dispatch_id 0
		.amdhsa_user_sgpr_kernarg_preload_length 0
		.amdhsa_user_sgpr_kernarg_preload_offset 0
		.amdhsa_user_sgpr_private_segment_size 0
		.amdhsa_uses_dynamic_stack 0
		.amdhsa_enable_private_segment 0
		.amdhsa_system_sgpr_workgroup_id_x 1
		.amdhsa_system_sgpr_workgroup_id_y 1
		.amdhsa_system_sgpr_workgroup_id_z 1
		.amdhsa_system_sgpr_workgroup_info 0
		.amdhsa_system_vgpr_workitem_id 0
		.amdhsa_next_free_vgpr 18
		.amdhsa_next_free_sgpr 36
		.amdhsa_accum_offset 20
		.amdhsa_reserve_vcc 1
		.amdhsa_float_round_mode_32 0
		.amdhsa_float_round_mode_16_64 0
		.amdhsa_float_denorm_mode_32 3
		.amdhsa_float_denorm_mode_16_64 3
		.amdhsa_dx10_clamp 1
		.amdhsa_ieee_mode 1
		.amdhsa_fp16_overflow 0
		.amdhsa_tg_split 0
		.amdhsa_exception_fp_ieee_invalid_op 0
		.amdhsa_exception_fp_denorm_src 0
		.amdhsa_exception_fp_ieee_div_zero 0
		.amdhsa_exception_fp_ieee_overflow 0
		.amdhsa_exception_fp_ieee_underflow 0
		.amdhsa_exception_fp_ieee_inexact 0
		.amdhsa_exception_int_div_zero 0
	.end_amdhsa_kernel
	.section	.text._ZL33flash_attn_stream_k_fixup_generalILi256ELi32ELi1EEvPfPK15HIP_vector_typeIfLj2EEiiiiS1_IjLj3EES5_S5_S5_,"axG",@progbits,_ZL33flash_attn_stream_k_fixup_generalILi256ELi32ELi1EEvPfPK15HIP_vector_typeIfLj2EEiiiiS1_IjLj3EES5_S5_S5_,comdat
.Lfunc_end45:
	.size	_ZL33flash_attn_stream_k_fixup_generalILi256ELi32ELi1EEvPfPK15HIP_vector_typeIfLj2EEiiiiS1_IjLj3EES5_S5_S5_, .Lfunc_end45-_ZL33flash_attn_stream_k_fixup_generalILi256ELi32ELi1EEvPfPK15HIP_vector_typeIfLj2EEiiiiS1_IjLj3EES5_S5_S5_
                                        ; -- End function
	.set _ZL33flash_attn_stream_k_fixup_generalILi256ELi32ELi1EEvPfPK15HIP_vector_typeIfLj2EEiiiiS1_IjLj3EES5_S5_S5_.num_vgpr, 18
	.set _ZL33flash_attn_stream_k_fixup_generalILi256ELi32ELi1EEvPfPK15HIP_vector_typeIfLj2EEiiiiS1_IjLj3EES5_S5_S5_.num_agpr, 0
	.set _ZL33flash_attn_stream_k_fixup_generalILi256ELi32ELi1EEvPfPK15HIP_vector_typeIfLj2EEiiiiS1_IjLj3EES5_S5_S5_.numbered_sgpr, 36
	.set _ZL33flash_attn_stream_k_fixup_generalILi256ELi32ELi1EEvPfPK15HIP_vector_typeIfLj2EEiiiiS1_IjLj3EES5_S5_S5_.num_named_barrier, 0
	.set _ZL33flash_attn_stream_k_fixup_generalILi256ELi32ELi1EEvPfPK15HIP_vector_typeIfLj2EEiiiiS1_IjLj3EES5_S5_S5_.private_seg_size, 0
	.set _ZL33flash_attn_stream_k_fixup_generalILi256ELi32ELi1EEvPfPK15HIP_vector_typeIfLj2EEiiiiS1_IjLj3EES5_S5_S5_.uses_vcc, 1
	.set _ZL33flash_attn_stream_k_fixup_generalILi256ELi32ELi1EEvPfPK15HIP_vector_typeIfLj2EEiiiiS1_IjLj3EES5_S5_S5_.uses_flat_scratch, 0
	.set _ZL33flash_attn_stream_k_fixup_generalILi256ELi32ELi1EEvPfPK15HIP_vector_typeIfLj2EEiiiiS1_IjLj3EES5_S5_S5_.has_dyn_sized_stack, 0
	.set _ZL33flash_attn_stream_k_fixup_generalILi256ELi32ELi1EEvPfPK15HIP_vector_typeIfLj2EEiiiiS1_IjLj3EES5_S5_S5_.has_recursion, 0
	.set _ZL33flash_attn_stream_k_fixup_generalILi256ELi32ELi1EEvPfPK15HIP_vector_typeIfLj2EEiiiiS1_IjLj3EES5_S5_S5_.has_indirect_call, 0
	.section	.AMDGPU.csdata,"",@progbits
; Kernel info:
; codeLenInByte = 2932
; TotalNumSgprs: 42
; NumVgprs: 18
; NumAgprs: 0
; TotalNumVgprs: 18
; ScratchSize: 0
; MemoryBound: 0
; FloatMode: 240
; IeeeMode: 1
; LDSByteSize: 0 bytes/workgroup (compile time only)
; SGPRBlocks: 5
; VGPRBlocks: 2
; NumSGPRsForWavesPerEU: 42
; NumVGPRsForWavesPerEU: 18
; AccumOffset: 20
; Occupancy: 8
; WaveLimiterHint : 0
; COMPUTE_PGM_RSRC2:SCRATCH_EN: 0
; COMPUTE_PGM_RSRC2:USER_SGPR: 2
; COMPUTE_PGM_RSRC2:TRAP_HANDLER: 0
; COMPUTE_PGM_RSRC2:TGID_X_EN: 1
; COMPUTE_PGM_RSRC2:TGID_Y_EN: 1
; COMPUTE_PGM_RSRC2:TGID_Z_EN: 1
; COMPUTE_PGM_RSRC2:TIDIG_COMP_CNT: 0
; COMPUTE_PGM_RSRC3_GFX90A:ACCUM_OFFSET: 4
; COMPUTE_PGM_RSRC3_GFX90A:TG_SPLIT: 0
	.section	.text._ZL15flash_attn_tileILi256ELi256ELi16ELi1ELb0EEvPKcS1_S1_S1_S1_PKiPfP15HIP_vector_typeIfLj2EEffffjfiS5_IjLj3EEiiiiiiiiiiiliiliiiiil,"axG",@progbits,_ZL15flash_attn_tileILi256ELi256ELi16ELi1ELb0EEvPKcS1_S1_S1_S1_PKiPfP15HIP_vector_typeIfLj2EEffffjfiS5_IjLj3EEiiiiiiiiiiiliiliiiiil,comdat
	.globl	_ZL15flash_attn_tileILi256ELi256ELi16ELi1ELb0EEvPKcS1_S1_S1_S1_PKiPfP15HIP_vector_typeIfLj2EEffffjfiS5_IjLj3EEiiiiiiiiiiiliiliiiiil ; -- Begin function _ZL15flash_attn_tileILi256ELi256ELi16ELi1ELb0EEvPKcS1_S1_S1_S1_PKiPfP15HIP_vector_typeIfLj2EEffffjfiS5_IjLj3EEiiiiiiiiiiiliiliiiiil
	.p2align	8
	.type	_ZL15flash_attn_tileILi256ELi256ELi16ELi1ELb0EEvPKcS1_S1_S1_S1_PKiPfP15HIP_vector_typeIfLj2EEffffjfiS5_IjLj3EEiiiiiiiiiiiliiliiiiil,@function
_ZL15flash_attn_tileILi256ELi256ELi16ELi1ELb0EEvPKcS1_S1_S1_S1_PKiPfP15HIP_vector_typeIfLj2EEffffjfiS5_IjLj3EEiiiiiiiiiiiliiliiiiil: ; @_ZL15flash_attn_tileILi256ELi256ELi16ELi1ELb0EEvPKcS1_S1_S1_S1_PKiPfP15HIP_vector_typeIfLj2EEffffjfiS5_IjLj3EEiiiiiiiiiiiliiliiiiil
; %bb.0:
	s_load_dwordx4 s[24:27], s[0:1], 0x5c
	s_load_dwordx2 s[38:39], s[0:1], 0x80
	s_load_dwordx2 s[40:41], s[0:1], 0xb8
	s_mov_b64 s[36:37], 0
	s_waitcnt lgkmcnt(0)
	v_cvt_f32_u32_e32 v1, s27
	s_sub_i32 s5, 0, s27
	v_rcp_iflag_f32_e32 v1, v1
	s_nop 0
	v_mul_f32_e32 v1, 0x4f7ffffe, v1
	v_cvt_u32_f32_e32 v1, v1
	s_nop 0
	v_readfirstlane_b32 s6, v1
	s_mul_i32 s5, s5, s6
	s_mul_hi_u32 s5, s6, s5
	s_add_i32 s6, s6, s5
	s_mul_hi_u32 s5, s4, s6
	s_mul_i32 s6, s5, s27
	s_sub_i32 s6, s4, s6
	s_add_i32 s7, s5, 1
	s_sub_i32 s8, s6, s27
	s_cmp_ge_u32 s6, s27
	s_cselect_b32 s5, s7, s5
	s_cselect_b32 s6, s8, s6
	s_add_i32 s7, s5, 1
	s_cmp_ge_u32 s6, s27
	s_cselect_b32 s33, s7, s5
	s_abs_i32 s5, s39
	v_cvt_f32_u32_e32 v1, s5
	s_mul_i32 s8, s33, s27
	s_sub_i32 s9, 0, s5
	s_sub_i32 s34, s4, s8
	v_rcp_iflag_f32_e32 v1, v1
	s_abs_i32 s7, s27
	s_xor_b32 s6, s27, s39
	s_ashr_i32 s6, s6, 31
	v_mul_f32_e32 v1, 0x4f7ffffe, v1
	v_cvt_u32_f32_e32 v1, v1
	s_nop 0
	v_readfirstlane_b32 s4, v1
	s_mul_i32 s9, s9, s4
	s_mul_hi_u32 s8, s4, s9
	s_add_i32 s4, s4, s8
	s_mul_hi_u32 s4, s7, s4
	s_mul_i32 s8, s4, s5
	s_sub_i32 s7, s7, s8
	s_add_i32 s9, s4, 1
	s_sub_i32 s8, s7, s5
	s_cmp_ge_u32 s7, s5
	s_cselect_b32 s4, s9, s4
	s_cselect_b32 s7, s8, s7
	s_add_i32 s8, s4, 1
	s_cmp_ge_u32 s7, s5
	s_cselect_b32 s4, s8, s4
	s_xor_b32 s4, s4, s6
	s_sub_i32 s43, s4, s6
	s_abs_i32 s39, s43
	v_cvt_f32_u32_e32 v1, s39
	s_load_dwordx16 s[8:23], s[0:1], 0x0
	s_sub_i32 s4, 0, s39
	s_abs_i32 s42, s34
	v_rcp_iflag_f32_e32 v1, v1
	s_nop 0
	v_mul_f32_e32 v1, 0x4f7ffffe, v1
	v_cvt_u32_f32_e32 v1, v1
	s_nop 0
	v_readfirstlane_b32 s5, v1
	s_mul_i32 s4, s4, s5
	s_mul_hi_u32 s4, s5, s4
	s_add_i32 s4, s5, s4
	s_waitcnt lgkmcnt(0)
	s_cmp_eq_u64 s[14:15], 0
	s_cbranch_scc1 .LBB46_2
; %bb.1:
	s_abs_i32 s5, s40
	v_cvt_f32_u32_e32 v1, s5
	s_sub_i32 s30, 0, s5
	s_abs_i32 s29, s33
	s_ashr_i32 s28, s33, 31
	v_rcp_iflag_f32_e32 v1, v1
	s_load_dwordx2 s[6:7], s[0:1], 0xc8
	v_mul_f32_e32 v1, 0x4f7ffffe, v1
	v_cvt_u32_f32_e32 v1, v1
	s_nop 0
	v_readfirstlane_b32 s31, v1
	s_mul_i32 s30, s30, s31
	s_mul_hi_u32 s30, s31, s30
	s_add_i32 s31, s31, s30
	s_mul_hi_u32 s30, s29, s31
	s_mul_i32 s30, s30, s5
	s_sub_i32 s29, s29, s30
	s_sub_i32 s30, s29, s5
	s_cmp_ge_u32 s29, s5
	s_cselect_b32 s29, s30, s29
	s_sub_i32 s30, s29, s5
	s_cmp_ge_u32 s29, s5
	s_cselect_b32 s5, s30, s29
	s_xor_b32 s5, s5, s28
	s_sub_i32 s5, s5, s28
	s_ashr_i32 s28, s5, 31
	s_waitcnt lgkmcnt(0)
	s_mul_hi_u32 s29, s6, s5
	s_mul_i32 s28, s6, s28
	s_mul_i32 s7, s7, s5
	s_add_i32 s28, s29, s28
	s_add_i32 s28, s28, s7
	s_mul_i32 s5, s6, s5
	s_add_u32 s36, s14, s5
	s_addc_u32 s37, s15, s28
.LBB46_2:
	s_load_dwordx4 s[28:31], s[0:1], 0x40
	s_mul_hi_u32 s40, s42, s4
	s_load_dword s4, s[0:1], 0x50
	v_mov_b32_e32 v13, 1.0
	s_waitcnt lgkmcnt(0)
	v_cmp_le_f32_e64 s[6:7], s29, 0
	s_and_b64 vcc, exec, s[6:7]
	s_cbranch_vccnz .LBB46_4
; %bb.3:
	v_mov_b32_e32 v1, s4
	v_sub_co_u32_e32 v1, vcc, s34, v1
	v_mov_b32_e32 v2, s31
	v_mov_b32_e32 v3, s30
	s_add_i32 s4, s34, 1
	v_lshlrev_b32_e32 v1, 1, v1
	v_cndmask_b32_e32 v2, v2, v3, vcc
	v_or_b32_e32 v1, 1, v1
	v_mov_b32_e32 v3, s4
	v_cndmask_b32_e32 v1, v1, v3, vcc
	v_cvt_f32_i32_e32 v1, v1
	v_cmp_neq_f32_e32 vcc, 1.0, v2
	s_mov_b32 s4, 0x3f2aaaab
	s_movk_i32 s6, 0x204
	v_cndmask_b32_e32 v1, 1.0, v1, vcc
	v_cmp_neq_f32_e32 vcc, 0, v1
	s_mov_b32 s5, 0x42b17218
	s_mov_b32 s7, 0x3fb8aa3b
	v_cndmask_b32_e32 v18, 1.0, v2, vcc
	v_frexp_mant_f32_e64 v2, |v18|
	v_cmp_gt_f32_e32 vcc, s4, v2
	s_mov_b32 s4, 0x3f317218
	s_brev_b32 s29, -2
	v_cndmask_b32_e64 v3, 1.0, 2.0, vcc
	v_mul_f32_e32 v2, v2, v3
	v_add_f32_e32 v5, 1.0, v2
	v_rcp_f32_e32 v10, v5
	v_add_f32_e32 v3, -1.0, v5
	v_sub_f32_e32 v7, v2, v3
	v_add_f32_e32 v3, -1.0, v2
	v_mul_f32_e32 v11, v3, v10
	v_mul_f32_e32 v4, v5, v11
	v_fma_f32 v6, v11, v5, -v4
	v_fmac_f32_e32 v6, v11, v7
	v_add_f32_e32 v2, v4, v6
	v_sub_f32_e32 v5, v3, v2
	v_pk_add_f32 v[8:9], v[2:3], v[4:5] neg_lo:[0,1] neg_hi:[0,1]
	v_mov_b32_e32 v7, v2
	v_pk_add_f32 v[2:3], v[8:9], v[6:7] neg_lo:[0,1] neg_hi:[0,1]
	v_mov_b32_e32 v6, 0x3e91f4c4
	v_add_f32_e32 v2, v2, v3
	v_add_f32_e32 v2, v5, v2
	v_mul_f32_e32 v3, v10, v2
	v_add_f32_e32 v2, v11, v3
	v_sub_f32_e32 v4, v2, v11
	v_sub_f32_e32 v12, v3, v4
	v_mul_f32_e32 v3, v2, v2
	v_fma_f32 v5, v2, v2, -v3
	v_add_f32_e32 v4, v12, v12
	v_fmac_f32_e32 v5, v2, v4
	v_add_f32_e32 v4, v3, v5
	v_fmac_f32_e32 v6, 0x3e76c4e1, v4
	v_fmaak_f32 v6, v4, v6, 0x3ecccdef
	v_sub_f32_e32 v3, v4, v3
	v_sub_f32_e32 v13, v5, v3
	v_mul_f32_e32 v3, v4, v6
	v_fma_f32 v5, v4, v6, -v3
	v_fmac_f32_e32 v5, v13, v6
	v_add_f32_e32 v6, v3, v5
	v_add_f32_e32 v7, 0x3f2aaaaa, v6
	v_sub_f32_e32 v3, v6, v3
	v_sub_f32_e32 v3, v5, v3
	v_add_f32_e32 v5, 0xbf2aaaaa, v7
	v_add_f32_e32 v3, 0x31739010, v3
	v_sub_f32_e32 v5, v6, v5
	v_pk_mul_f32 v[8:9], v[2:3], v[4:5]
	v_pk_add_f32 v[10:11], v[2:3], v[4:5]
	v_fma_f32 v6, v4, v2, -v8
	v_fmac_f32_e32 v6, v4, v12
	v_mov_b32_e32 v9, v11
	v_fmac_f32_e32 v6, v13, v2
	v_pk_add_f32 v[4:5], v[8:9], v[6:7]
	v_ldexp_f32 v14, v12, 1
	v_sub_f32_e32 v3, v4, v8
	v_sub_f32_e32 v3, v6, v3
	;; [unrolled: 1-line block ×3, first 2 shown]
	v_add_f32_e32 v9, v11, v6
	v_pk_mul_f32 v[6:7], v[4:5], v[4:5] op_sel:[0,1] op_sel_hi:[1,0]
	v_cvt_f64_f32_e64 v[10:11], |v18|
	v_frexp_exp_i32_f64_e32 v7, v[10:11]
	v_subbrev_co_u32_e32 v7, vcc, 0, v7, vcc
	v_cvt_f32_i32_e32 v7, v7
	v_fma_f32 v8, v4, v5, -v6
	v_fmac_f32_e32 v8, v4, v9
	v_fmac_f32_e32 v8, v3, v5
	v_mul_f32_e32 v4, 0x3f317218, v7
	v_fma_f32 v3, v7, s4, -v4
	v_fmamk_f32 v10, v7, 0xb102e308, v3
	v_ldexp_f32 v11, v2, 1
	v_add_f32_e32 v5, v6, v8
	v_pk_add_f32 v[2:3], v[4:5], v[10:11]
	v_mov_b32_e32 v12, v5
	v_mov_b32_e32 v13, v3
	;; [unrolled: 1-line block ×3, first 2 shown]
	v_pk_add_f32 v[6:7], v[12:13], v[6:7] neg_lo:[0,1] neg_hi:[0,1]
	v_mov_b32_e32 v9, v5
	v_pk_add_f32 v[6:7], v[8:9], v[6:7] neg_lo:[0,1] neg_hi:[0,1]
	v_mov_b32_e32 v11, v2
	v_add_f32_e32 v5, v14, v6
	v_add_f32_e32 v5, v5, v7
	v_pk_add_f32 v[6:7], v[2:3], v[4:5] neg_lo:[0,1] neg_hi:[0,1]
	v_pk_add_f32 v[8:9], v[2:3], v[4:5]
	v_mov_b32_e32 v16, v3
	v_mov_b32_e32 v7, v9
	v_pk_add_f32 v[12:13], v[10:11], v[6:7] neg_lo:[0,1] neg_hi:[0,1]
	v_pk_add_f32 v[6:7], v[10:11], v[6:7]
	v_mov_b32_e32 v4, v5
	v_pk_add_f32 v[10:11], v[6:7], v[2:3] op_sel:[1,0] op_sel_hi:[0,1] neg_lo:[0,1] neg_hi:[0,1]
	v_pk_add_f32 v[14:15], v[8:9], v[10:11] op_sel_hi:[1,0] neg_lo:[0,1] neg_hi:[0,1]
	v_mov_b32_e32 v8, v9
	v_mov_b32_e32 v9, v7
	;; [unrolled: 1-line block ×3, first 2 shown]
	v_pk_add_f32 v[8:9], v[8:9], v[16:17] neg_lo:[0,1] neg_hi:[0,1]
	v_mov_b32_e32 v5, v2
	v_pk_add_f32 v[2:3], v[4:5], v[8:9] neg_lo:[0,1] neg_hi:[0,1]
	v_mov_b32_e32 v14, v12
	v_pk_add_f32 v[4:5], v[14:15], v[2:3]
	v_mov_b32_e32 v13, v7
	v_pk_add_f32 v[8:9], v[4:5], v[4:5] op_sel:[0,1] op_sel_hi:[1,0]
	s_mov_b32 s4, 0x7f800000
	v_pk_add_f32 v[6:7], v[6:7], v[8:9] op_sel:[1,0] op_sel_hi:[0,1]
	v_mov_b32_e32 v5, v6
	v_pk_add_f32 v[10:11], v[4:5], v[12:13] neg_lo:[0,1] neg_hi:[0,1]
	v_mov_b32_e32 v3, v8
	v_sub_f32_e32 v4, v4, v10
	v_pk_add_f32 v[2:3], v[2:3], v[10:11] neg_lo:[0,1] neg_hi:[0,1]
	v_sub_f32_e32 v4, v12, v4
	v_add_f32_e32 v2, v2, v4
	v_add_f32_e32 v2, v2, v3
	;; [unrolled: 1-line block ×3, first 2 shown]
	v_sub_f32_e32 v4, v3, v6
	v_sub_f32_e32 v2, v2, v4
	v_mul_f32_e32 v4, v1, v3
	v_fma_f32 v3, v1, v3, -v4
	v_fmac_f32_e32 v3, v1, v2
	v_add_f32_e32 v2, v4, v3
	v_cmp_class_f32_e64 vcc, v4, s6
	v_sub_f32_e32 v5, v2, v4
	v_sub_f32_e32 v3, v3, v5
	v_cndmask_b32_e32 v2, v2, v4, vcc
	v_mov_b32_e32 v4, 0x37000000
	v_cmp_eq_f32_e32 vcc, s5, v2
	v_cmp_class_f32_e64 s[14:15], v18, s6
	s_nop 0
	v_cndmask_b32_e32 v4, 0, v4, vcc
	v_sub_f32_e32 v5, v2, v4
	v_mul_f32_e32 v6, 0x3fb8aa3b, v5
	v_fma_f32 v7, v5, s7, -v6
	v_rndne_f32_e32 v8, v6
	v_fmamk_f32 v7, v5, 0x32a5705f, v7
	v_sub_f32_e32 v6, v6, v8
	v_add_f32_e32 v6, v6, v7
	v_exp_f32_e32 v6, v6
	v_cvt_i32_f32_e32 v7, v8
	v_cmp_neq_f32_e64 vcc, |v2|, s4
	s_mov_b32 s4, 0xc2ce8ed0
	s_nop 0
	v_cndmask_b32_e32 v2, 0, v3, vcc
	v_ldexp_f32 v3, v6, v7
	v_cmp_ngt_f32_e32 vcc, s4, v5
	v_add_f32_e32 v2, v4, v2
	v_mov_b32_e32 v4, 0x7f800000
	v_cndmask_b32_e32 v3, 0, v3, vcc
	v_cmp_nlt_f32_e32 vcc, s5, v5
	v_mov_b32_e32 v5, 0x7fc00000
	s_nop 0
	v_cndmask_b32_e32 v3, v4, v3, vcc
	v_fma_f32 v2, v3, v2, v3
	v_cmp_class_f32_e64 vcc, v3, s6
	v_cmp_gt_f32_e64 s[6:7], 0, v1
	s_nop 0
	v_cndmask_b32_e32 v2, v2, v3, vcc
	v_trunc_f32_e32 v3, v1
	v_cmp_eq_f32_e32 vcc, v3, v1
	v_mul_f32_e32 v3, 0.5, v1
	v_trunc_f32_e32 v6, v3
	v_cmp_neq_f32_e64 s[4:5], v6, v3
	s_and_b64 s[4:5], vcc, s[4:5]
	s_nop 0
	v_cndmask_b32_e64 v3, 1.0, v18, s[4:5]
	v_bfi_b32 v2, s29, v2, v3
	v_cndmask_b32_e32 v3, v5, v2, vcc
	v_cmp_gt_f32_e32 vcc, 0, v18
	s_nop 1
	v_cndmask_b32_e32 v2, v2, v3, vcc
	v_cmp_eq_f32_e32 vcc, 0, v18
	s_xor_b64 s[6:7], s[6:7], vcc
	v_cndmask_b32_e64 v1, v4, 0, s[6:7]
	v_cndmask_b32_e64 v3, 0, v18, s[4:5]
	v_bfi_b32 v1, s29, v1, v3
	s_or_b64 vcc, vcc, s[14:15]
	v_cndmask_b32_e32 v1, v2, v1, vcc
	v_cmp_o_f32_e32 vcc, v18, v18
	s_nop 1
	v_cndmask_b32_e32 v13, v5, v1, vcc
.LBB46_4:
	s_load_dwordx4 s[44:47], s[0:1], 0x70
	v_bfe_u32 v38, v0, 10, 10
	s_lshl_b32 s14, s2, 4
	v_lshlrev_b32_e32 v51, 1, v38
	s_ashr_i32 s35, s34, 31
	s_waitcnt lgkmcnt(0)
	s_mul_i32 s5, s33, s46
	s_ashr_i32 s4, s43, 31
	s_ashr_i32 s7, s5, 31
	v_add_u32_e32 v53, s14, v51
	s_mul_i32 s6, s34, s45
	s_add_u32 s5, s8, s5
	v_and_b32_e32 v52, 0x3ff, v0
	v_mul_hi_u32 v0, v53, s24
	s_addc_u32 s7, s9, s7
	s_ashr_i32 s8, s6, 31
	v_add_u32_e32 v0, v53, v0
	s_add_u32 s6, s5, s6
	v_lshrrev_b32_e32 v0, s25, v0
	s_addc_u32 s7, s7, s8
	s_ashr_i32 s45, s44, 31
	v_mul_lo_u32 v0, v0, s26
	s_lshr_b64 s[8:9], s[44:45], 2
	v_mov_b32_e32 v41, 0
	v_lshlrev_b32_e32 v40, 4, v52
	v_sub_u32_e32 v27, v53, v0
	v_lshl_add_u64 v[8:9], s[6:7], 0, v[40:41]
	v_mad_u64_u32 v[0:1], s[6:7], s8, v27, 0
	v_mov_b32_e32 v2, v1
	s_lshr_b32 s5, s45, 2
	v_mad_u64_u32 v[2:3], s[6:7], s5, v27, v[2:3]
	v_mov_b32_e32 v1, v2
	v_or_b32_e32 v48, 1, v51
	v_lshl_add_u64 v[10:11], v[0:1], 2, v[8:9]
	v_add_u32_e32 v50, s14, v48
	global_load_dwordx4 v[0:3], v[10:11], off
	global_load_dwordx4 v[4:7], v[10:11], off offset:512
	v_mul_hi_u32 v10, v50, s24
	v_add_u32_e32 v10, v50, v10
	v_lshrrev_b32_e32 v10, s25, v10
	v_mul_lo_u32 v10, v10, s26
	v_sub_u32_e32 v14, v50, v10
	v_mad_u64_u32 v[10:11], s[6:7], s8, v14, 0
	v_mov_b32_e32 v12, v11
	v_mad_u64_u32 v[14:15], s[6:7], s5, v14, v[12:13]
	v_mov_b32_e32 v11, v14
	v_lshl_add_u64 v[18:19], v[10:11], 2, v[8:9]
	global_load_dwordx4 v[8:11], v[18:19], off
	global_load_dwordx4 v[14:17], v[18:19], off offset:512
	v_lshlrev_b32_e32 v54, 3, v52
	v_lshlrev_b32_e32 v31, 10, v38
	v_add_u32_e32 v12, 0x2200, v54
	v_lshlrev_b32_e32 v49, 2, v52
	v_add_u32_e32 v18, v12, v31
	v_lshl_add_u32 v12, v48, 9, v12
	s_cmp_eq_u64 s[18:19], 0
	s_waitcnt vmcnt(3)
	v_fma_mixlo_f16 v0, s28, v0, 0
	v_fma_mixlo_f16 v1, s28, v1, 0
	;; [unrolled: 1-line block ×4, first 2 shown]
	s_waitcnt vmcnt(2)
	v_fma_mixlo_f16 v4, s28, v4, 0
	v_fma_mixlo_f16 v5, s28, v5, 0
	;; [unrolled: 1-line block ×4, first 2 shown]
	v_lshlrev_b32_e32 v1, 16, v1
	v_and_b32_e32 v0, 0xffff, v0
	v_lshlrev_b32_e32 v3, 16, v3
	v_and_b32_e32 v2, 0xffff, v2
	v_lshlrev_b32_e32 v5, 16, v5
	s_waitcnt vmcnt(1)
	v_fma_mixlo_f16 v8, s28, v8, 0
	v_fma_mixlo_f16 v9, s28, v9, 0
	s_waitcnt vmcnt(0)
	v_fma_mixlo_f16 v14, s28, v14, 0
	v_fma_mixlo_f16 v15, s28, v15, 0
	;; [unrolled: 1-line block ×6, first 2 shown]
	v_and_b32_e32 v4, 0xffff, v4
	v_lshlrev_b32_e32 v7, 16, v7
	v_and_b32_e32 v6, 0xffff, v6
	v_lshlrev_b32_e32 v9, 16, v9
	v_and_b32_e32 v8, 0xffff, v8
	v_lshlrev_b32_e32 v15, 16, v15
	v_and_b32_e32 v14, 0xffff, v14
	v_lshlrev_b32_e32 v11, 16, v11
	v_and_b32_e32 v10, 0xffff, v10
	v_lshlrev_b32_e32 v17, 16, v17
	v_and_b32_e32 v16, 0xffff, v16
	v_or_b32_e32 v0, v1, v0
	v_or3_b32 v1, v3, v2, 0
	v_or_b32_e32 v2, v5, v4
	v_or3_b32 v3, v7, v6, 0
	v_or_b32_e32 v4, v9, v8
	v_or_b32_e32 v6, v15, v14
	v_or3_b32 v5, v11, v10, 0
	v_or3_b32 v7, v17, v16, 0
	;; [unrolled: 1-line block ×6, first 2 shown]
	ds_write2_b64 v18, v[0:1], v[2:3] offset1:32
	ds_write2_b64 v12, v[4:5], v[6:7] offset1:32
	s_waitcnt lgkmcnt(0)
	s_barrier
	s_cbranch_scc1 .LBB46_6
; %bb.5:
	s_load_dword s5, s[0:1], 0xd0
	s_mov_b32 s7, 0
	s_waitcnt lgkmcnt(0)
	s_mul_i32 s5, s5, s33
	s_add_i32 s6, s5, s2
	s_lshl_b64 s[6:7], s[6:7], 2
	s_add_u32 s6, s18, s6
	s_addc_u32 s7, s19, s7
	s_load_dword s38, s[6:7], 0x0
.LBB46_6:
	s_nop 0
	s_load_dwordx2 s[6:7], s[0:1], 0x8c
	s_load_dwordx4 s[28:31], s[0:1], 0x98
	s_load_dwordx2 s[44:45], s[0:1], 0xa8
	s_ashr_i32 s5, s33, 31
	s_ashr_i32 s15, s41, 1
	s_waitcnt lgkmcnt(0)
	s_ashr_i32 s8, s6, 2
	s_mul_hi_u32 s6, s28, s33
	s_mul_i32 s9, s28, s5
	s_add_i32 s6, s6, s9
	s_mul_i32 s9, s29, s33
	s_ashr_i32 s2, s30, 2
	s_add_i32 s6, s6, s9
	s_mul_i32 s9, s28, s33
	s_add_u32 s9, s10, s9
	s_mul_i32 s10, s40, s39
	s_addc_u32 s6, s11, s6
	s_sub_i32 s10, s42, s10
	s_xor_b32 s4, s35, s4
	s_add_i32 s11, s40, 1
	s_sub_i32 s18, s10, s39
	s_cmp_ge_u32 s10, s39
	s_cselect_b32 s11, s11, s40
	s_cselect_b32 s10, s18, s10
	s_add_i32 s18, s11, 1
	s_cmp_ge_u32 s10, s39
	s_cselect_b32 s10, s18, s11
	s_xor_b32 s10, s10, s4
	s_sub_i32 s4, s10, s4
	s_mul_i32 s7, s4, s7
	s_ashr_i32 s10, s7, 31
	s_add_u32 s9, s9, s7
	s_addc_u32 s18, s6, s10
	s_mul_hi_u32 s6, s44, s33
	s_mul_i32 s5, s44, s5
	s_add_i32 s5, s6, s5
	s_mul_i32 s6, s45, s33
	s_add_i32 s5, s5, s6
	s_mul_i32 s6, s44, s33
	s_add_u32 s6, s12, s6
	s_mul_i32 s4, s4, s31
	s_addc_u32 s5, s13, s5
	s_ashr_i32 s7, s4, 31
	s_add_u32 s10, s6, s4
	s_addc_u32 s11, s5, s7
	s_lshl_b32 s12, s3, 5
	s_sub_i32 s13, s38, 32
	s_cmp_ge_i32 s12, s13
	v_lshrrev_b32_e32 v35, 4, v52
	v_and_b32_e32 v12, 60, v49
	v_lshlrev_b32_e32 v42, 2, v49
	v_mul_lo_u32 v8, s2, v38
	v_mbcnt_lo_u32_b32 v34, -1, 0
	s_cbranch_scc1 .LBB46_15
; %bb.7:
	v_add_u32_e32 v0, v35, v51
	v_lshlrev_b32_e32 v1, 2, v12
	s_movk_i32 s4, 0x110
	v_mad_u32_u24 v36, v0, s4, v1
	v_mul_lo_u32 v14, s8, v0
	v_or_b32_e32 v0, 1, v53
	v_mul_hi_u32 v1, s24, v0
	v_add_u32_e32 v1, v0, v1
	v_lshrrev_b32_e32 v1, s25, v1
	v_mul_lo_u32 v1, v1, s26
	v_sub_u32_e32 v0, v0, v1
	s_cmp_lg_u64 s[36:37], 0
	v_mul_lo_u32 v46, v0, s15
	v_mov_b32_e32 v0, 0x4200
	s_cselect_b64 s[4:5], -1, 0
	v_lshl_add_u32 v47, v38, 7, v0
	v_lshl_add_u32 v0, s2, 3, v8
	v_mov_b32_e32 v43, 0
	v_lshl_add_u32 v16, s8, 4, v14
	v_lshl_add_u32 v55, v38, 9, v42
	v_ashrrev_i32_e32 v9, 31, v8
	v_ashrrev_i32_e32 v1, 31, v0
	s_add_u32 s6, s0, 0xd0
	v_cndmask_b32_e64 v2, 0, 1, s[4:5]
	v_ashrrev_i32_e32 v15, 31, v14
	v_add_u32_e32 v37, 0x1100, v36
	v_ashrrev_i32_e32 v17, 31, v16
	v_mul_u32_u24_e32 v39, 0x110, v52
	v_add_u32_e32 v44, 0x2200, v31
	v_mul_lo_u32 v45, v27, s15
	v_add_u32_e32 v56, 0x1000, v55
	s_addc_u32 s7, s1, 0
	v_mov_b32_e32 v5, 0xfeffffff
	v_lshlrev_b32_e32 v18, 2, v12
	v_mov_b32_e32 v19, v43
	s_mov_b32 s19, 0x3fb8aa3b
	s_mov_b32 s28, 0xc2ce8ed0
	;; [unrolled: 1-line block ×4, first 2 shown]
	v_lshlrev_b64 v[20:21], 2, v[8:9]
	v_lshlrev_b64 v[22:23], 2, v[0:1]
	v_cmp_ne_u32_e64 s[4:5], 1, v2
	v_mbcnt_hi_u32_b32 v9, -1, v34
	v_mov_b32_e32 v57, 0x7f800000
	v_mov_b32_e32 v25, v43
	v_mov_b32_e32 v24, v43
	v_mov_b32_e32 v26, v43
	v_mov_b32_e32 v32, v43
	v_mov_b32_e32 v28, v43
	v_mov_b32_e32 v29, v43
	v_mov_b32_e32 v30, v43
	v_mov_b32_e32 v33, v43
	v_mov_b32_e32 v4, 0xfeffffff
	v_mov_b32_e32 v40, v43
	v_mov_b32_e32 v41, v43
.LBB46_8:                               ; =>This Inner Loop Header: Depth=1
	s_mul_hi_i32 s41, s12, s8
	s_mul_i32 s40, s12, s8
	s_lshl_b64 s[40:41], s[40:41], 2
	s_add_u32 s40, s9, s40
	s_addc_u32 s41, s18, s41
	v_lshl_add_u64 v[0:1], v[14:15], 2, s[40:41]
	v_lshl_add_u64 v[0:1], v[0:1], 0, v[18:19]
	;; [unrolled: 1-line block ×4, first 2 shown]
	global_load_dwordx4 v[58:61], v[0:1], off
	global_load_dwordx4 v[62:65], v[2:3], off
	v_mov_b32_e32 v7, 0
	v_mov_b32_e32 v6, 0
	v_add_u32_e32 v10, s12, v52
	s_and_b64 vcc, exec, s[4:5]
	s_waitcnt vmcnt(1)
	ds_write_b128 v36, v[58:61]
	s_waitcnt vmcnt(0)
	ds_write_b128 v37, v[62:65]
	s_waitcnt lgkmcnt(0)
	s_barrier
	ds_read_b128 v[58:61], v39
	ds_read_b128 v[62:65], v44
	ds_read_b128 v[66:69], v44 offset:512
	s_waitcnt lgkmcnt(1)
	;;#ASMSTART
	v_dot2_f32_f16 v7, v58, v62, v7
	;;#ASMEND
	s_nop 0
	;;#ASMSTART
	v_dot2_f32_f16 v7, v59, v63, v7
	;;#ASMEND
	s_nop 0
	;;#ASMSTART
	v_dot2_f32_f16 v7, v60, v64, v7
	;;#ASMEND
	s_nop 0
	;;#ASMSTART
	v_dot2_f32_f16 v7, v61, v65, v7
	;;#ASMEND
	s_waitcnt lgkmcnt(0)
	;;#ASMSTART
	v_dot2_f32_f16 v6, v58, v66, v6
	;;#ASMEND
	s_nop 0
	;;#ASMSTART
	v_dot2_f32_f16 v6, v59, v67, v6
	;;#ASMEND
	s_nop 0
	;;#ASMSTART
	v_dot2_f32_f16 v6, v60, v68, v6
	;;#ASMEND
	s_nop 0
	;;#ASMSTART
	v_dot2_f32_f16 v6, v61, v69, v6
	;;#ASMEND
	ds_read_b128 v[58:61], v39 offset:16
	ds_read_b128 v[62:65], v44 offset:16
	ds_read_b128 v[66:69], v44 offset:528
	s_waitcnt lgkmcnt(1)
	;;#ASMSTART
	v_dot2_f32_f16 v7, v58, v62, v7
	;;#ASMEND
	s_nop 0
	;;#ASMSTART
	v_dot2_f32_f16 v7, v59, v63, v7
	;;#ASMEND
	s_nop 0
	;;#ASMSTART
	v_dot2_f32_f16 v7, v60, v64, v7
	;;#ASMEND
	s_nop 0
	;;#ASMSTART
	v_dot2_f32_f16 v7, v61, v65, v7
	;;#ASMEND
	s_waitcnt lgkmcnt(0)
	;;#ASMSTART
	v_dot2_f32_f16 v6, v58, v66, v6
	;;#ASMEND
	s_nop 0
	;;#ASMSTART
	v_dot2_f32_f16 v6, v59, v67, v6
	;;#ASMEND
	s_nop 0
	;;#ASMSTART
	v_dot2_f32_f16 v6, v60, v68, v6
	;;#ASMEND
	s_nop 0
	;;#ASMSTART
	v_dot2_f32_f16 v6, v61, v69, v6
	;;#ASMEND
	ds_read_b128 v[58:61], v39 offset:32
	ds_read_b128 v[62:65], v44 offset:32
	;; [unrolled: 35-line block ×15, first 2 shown]
	ds_read_b128 v[66:69], v44 offset:752
	s_waitcnt lgkmcnt(1)
	;;#ASMSTART
	v_dot2_f32_f16 v7, v58, v62, v7
	;;#ASMEND
	s_nop 0
	;;#ASMSTART
	v_dot2_f32_f16 v7, v59, v63, v7
	;;#ASMEND
	s_nop 0
	;; [unrolled: 4-line block ×3, first 2 shown]
	;;#ASMSTART
	v_dot2_f32_f16 v7, v61, v65, v7
	;;#ASMEND
	s_waitcnt lgkmcnt(0)
	;;#ASMSTART
	v_dot2_f32_f16 v6, v58, v66, v6
	;;#ASMEND
	s_nop 0
	;;#ASMSTART
	v_dot2_f32_f16 v6, v59, v67, v6
	;;#ASMEND
	s_nop 0
	;; [unrolled: 4-line block ×3, first 2 shown]
	;;#ASMSTART
	v_dot2_f32_f16 v6, v61, v69, v6
	;;#ASMEND
	s_barrier
	global_load_dwordx4 v[58:61], v[0:1], off offset:256
	global_load_dwordx4 v[62:65], v[2:3], off offset:256
	s_waitcnt vmcnt(1)
	ds_write_b128 v36, v[58:61]
	s_waitcnt vmcnt(0)
	ds_write_b128 v37, v[62:65]
	s_waitcnt lgkmcnt(0)
	s_barrier
	ds_read_b128 v[0:3], v39
	ds_read_b128 v[58:61], v44 offset:256
	ds_read_b128 v[62:65], v44 offset:768
	s_waitcnt lgkmcnt(1)
	;;#ASMSTART
	v_dot2_f32_f16 v7, v0, v58, v7
	;;#ASMEND
	s_nop 0
	;;#ASMSTART
	v_dot2_f32_f16 v7, v1, v59, v7
	;;#ASMEND
	s_nop 0
	;;#ASMSTART
	v_dot2_f32_f16 v7, v2, v60, v7
	;;#ASMEND
	s_nop 0
	;;#ASMSTART
	v_dot2_f32_f16 v7, v3, v61, v7
	;;#ASMEND
	s_waitcnt lgkmcnt(0)
	;;#ASMSTART
	v_dot2_f32_f16 v6, v0, v62, v6
	;;#ASMEND
	s_nop 0
	;;#ASMSTART
	v_dot2_f32_f16 v6, v1, v63, v6
	;;#ASMEND
	s_nop 0
	;;#ASMSTART
	v_dot2_f32_f16 v6, v2, v64, v6
	;;#ASMEND
	s_nop 0
	;;#ASMSTART
	v_dot2_f32_f16 v6, v3, v65, v6
	;;#ASMEND
	ds_read_b128 v[0:3], v39 offset:16
	ds_read_b128 v[58:61], v44 offset:272
	ds_read_b128 v[62:65], v44 offset:784
	s_waitcnt lgkmcnt(1)
	;;#ASMSTART
	v_dot2_f32_f16 v7, v0, v58, v7
	;;#ASMEND
	s_nop 0
	;;#ASMSTART
	v_dot2_f32_f16 v7, v1, v59, v7
	;;#ASMEND
	s_nop 0
	;;#ASMSTART
	v_dot2_f32_f16 v7, v2, v60, v7
	;;#ASMEND
	s_nop 0
	;;#ASMSTART
	v_dot2_f32_f16 v7, v3, v61, v7
	;;#ASMEND
	s_waitcnt lgkmcnt(0)
	;;#ASMSTART
	v_dot2_f32_f16 v6, v0, v62, v6
	;;#ASMEND
	s_nop 0
	;;#ASMSTART
	v_dot2_f32_f16 v6, v1, v63, v6
	;;#ASMEND
	s_nop 0
	;;#ASMSTART
	v_dot2_f32_f16 v6, v2, v64, v6
	;;#ASMEND
	s_nop 0
	;;#ASMSTART
	v_dot2_f32_f16 v6, v3, v65, v6
	;;#ASMEND
	ds_read_b128 v[0:3], v39 offset:32
	;; [unrolled: 35-line block ×15, first 2 shown]
	ds_read_b128 v[58:61], v44 offset:496
	ds_read_b128 v[62:65], v44 offset:1008
	s_waitcnt lgkmcnt(1)
	;;#ASMSTART
	v_dot2_f32_f16 v7, v0, v58, v7
	;;#ASMEND
	s_nop 0
	;;#ASMSTART
	v_dot2_f32_f16 v7, v1, v59, v7
	;;#ASMEND
	s_nop 0
	;;#ASMSTART
	v_dot2_f32_f16 v7, v2, v60, v7
	;;#ASMEND
	s_nop 0
	;;#ASMSTART
	v_dot2_f32_f16 v7, v3, v61, v7
	;;#ASMEND
	s_waitcnt lgkmcnt(0)
	;;#ASMSTART
	v_dot2_f32_f16 v6, v0, v62, v6
	;;#ASMEND
	v_mov_b32_e32 v0, 0
	;;#ASMSTART
	v_dot2_f32_f16 v6, v1, v63, v6
	;;#ASMEND
	s_nop 0
	;;#ASMSTART
	v_dot2_f32_f16 v6, v2, v64, v6
	;;#ASMEND
	s_nop 0
	;;#ASMSTART
	v_dot2_f32_f16 v6, v3, v65, v6
	;;#ASMEND
	s_cbranch_vccnz .LBB46_10
; %bb.9:                                ;   in Loop: Header=BB46_8 Depth=1
	v_add_u32_e32 v0, v10, v45
	v_ashrrev_i32_e32 v1, 31, v0
	v_lshl_add_u64 v[0:1], v[0:1], 1, s[36:37]
	global_load_ushort v0, v[0:1], off
	s_waitcnt vmcnt(0)
	v_cvt_f32_f16_e32 v0, v0
	v_mul_f32_e32 v0, v13, v0
.LBB46_10:                              ;   in Loop: Header=BB46_8 Depth=1
	v_and_b32_e32 v1, 0x60, v9
	v_add_u32_e32 v1, 32, v1
	v_xor_b32_e32 v2, 16, v9
	v_cmp_lt_i32_e32 vcc, v2, v1
	v_add_f32_e32 v0, v7, v0
	v_max_f32_e32 v3, v5, v5
	v_cndmask_b32_e32 v2, v9, v2, vcc
	v_lshlrev_b32_e32 v11, 2, v2
	v_add_f32_e32 v2, 0x40051340, v0
	v_max_f32_e32 v2, v3, v2
	ds_bpermute_b32 v3, v11, v2
	v_xor_b32_e32 v7, 8, v9
	v_cmp_lt_i32_e32 vcc, v7, v1
	v_xor_b32_e32 v60, 1, v9
	s_waitcnt lgkmcnt(0)
	v_max_f32_e32 v3, v3, v3
	v_cndmask_b32_e32 v7, v9, v7, vcc
	v_lshlrev_b32_e32 v58, 2, v7
	v_max_f32_e32 v2, v2, v3
	ds_bpermute_b32 v3, v58, v2
	v_xor_b32_e32 v7, 4, v9
	v_cmp_lt_i32_e32 vcc, v7, v1
	s_waitcnt lgkmcnt(0)
	v_max_f32_e32 v3, v3, v3
	v_cndmask_b32_e32 v7, v9, v7, vcc
	v_lshlrev_b32_e32 v7, 2, v7
	v_max_f32_e32 v3, v2, v3
	ds_bpermute_b32 v59, v7, v3
	v_xor_b32_e32 v2, 2, v9
	v_cmp_lt_i32_e32 vcc, v2, v1
	s_waitcnt lgkmcnt(0)
	v_max_f32_e32 v59, v59, v59
	v_cndmask_b32_e32 v2, v9, v2, vcc
	v_lshlrev_b32_e32 v2, 2, v2
	v_max_f32_e32 v3, v3, v59
	ds_bpermute_b32 v59, v2, v3
	v_cmp_lt_i32_e32 vcc, v60, v1
	s_waitcnt lgkmcnt(0)
	v_max_f32_e32 v59, v59, v59
	v_cndmask_b32_e32 v1, v9, v60, vcc
	v_lshlrev_b32_e32 v1, 2, v1
	v_max_f32_e32 v3, v3, v59
	ds_bpermute_b32 v59, v1, v3
	s_and_b64 vcc, exec, s[4:5]
	s_cbranch_vccnz .LBB46_12
; %bb.11:                               ;   in Loop: Header=BB46_8 Depth=1
	v_add_u32_e32 v60, v10, v46
	v_ashrrev_i32_e32 v61, 31, v60
	v_lshl_add_u64 v[60:61], v[60:61], 1, s[36:37]
	global_load_ushort v10, v[60:61], off
	s_waitcnt vmcnt(0)
	v_cvt_f32_f16_e32 v10, v10
	v_mul_f32_e32 v10, v13, v10
	s_branch .LBB46_13
.LBB46_12:                              ;   in Loop: Header=BB46_8 Depth=1
	v_mov_b32_e32 v10, 0
.LBB46_13:                              ;   in Loop: Header=BB46_8 Depth=1
	v_add_f32_e32 v66, v6, v10
	v_add_f32_e32 v6, 0x40051340, v66
	v_max_f32_e32 v10, v4, v4
	v_max_f32_e32 v6, v10, v6
	ds_bpermute_b32 v10, v11, v6
	s_mul_hi_i32 s41, s12, s2
	s_mul_i32 s40, s12, s2
	s_lshl_b64 s[40:41], s[40:41], 2
	s_add_u32 s40, s10, s40
	s_waitcnt lgkmcnt(0)
	v_max_f32_e32 v10, v10, v10
	v_max_f32_e32 v6, v6, v10
	ds_bpermute_b32 v10, v58, v6
	s_addc_u32 s41, s11, s41
	v_max_f32_e32 v67, v59, v59
	s_waitcnt lgkmcnt(0)
	s_barrier
	v_max_f32_e32 v10, v10, v10
	v_max_f32_e32 v10, v6, v10
	ds_bpermute_b32 v11, v7, v10
	v_lshl_add_u64 v[6:7], s[40:41], 0, v[20:21]
	v_lshl_add_u64 v[6:7], v[6:7], 0, v[42:43]
	s_waitcnt lgkmcnt(0)
	v_max_f32_e32 v3, v3, v3
	v_max_f32_e32 v11, v11, v11
	;; [unrolled: 1-line block ×3, first 2 shown]
	v_lshl_add_u64 v[10:11], s[40:41], 0, v[22:23]
	v_lshl_add_u64 v[10:11], v[10:11], 0, v[42:43]
	global_load_dwordx4 v[58:61], v[6:7], off
	global_load_dwordx4 v[62:65], v[10:11], off
	ds_bpermute_b32 v2, v2, v68
	v_max_f32_e32 v10, v3, v67
	v_sub_f32_e32 v3, v5, v10
	v_mul_f32_e32 v5, 0x3fb8aa3b, v3
	v_fma_f32 v6, v3, s19, -v5
	s_waitcnt lgkmcnt(0)
	v_max_f32_e32 v2, v2, v2
	v_max_f32_e32 v2, v68, v2
	ds_bpermute_b32 v1, v1, v2
	v_rndne_f32_e32 v7, v5
	v_fmac_f32_e32 v6, 0x32a5705f, v3
	v_sub_f32_e32 v5, v5, v7
	v_add_f32_e32 v5, v5, v6
	v_exp_f32_e32 v5, v5
	v_cvt_i32_f32_e32 v6, v7
	s_waitcnt lgkmcnt(0)
	v_max_f32_e32 v1, v1, v1
	v_max_f32_e32 v11, v2, v1
	v_sub_f32_e32 v2, v0, v10
	v_mul_f32_e32 v0, 0x3fb8aa3b, v2
	v_ldexp_f32 v1, v5, v6
	v_fma_f32 v5, v2, s19, -v0
	v_rndne_f32_e32 v6, v0
	v_fmac_f32_e32 v5, 0x32a5705f, v2
	v_sub_f32_e32 v0, v0, v6
	v_add_f32_e32 v0, v0, v5
	v_exp_f32_e32 v5, v0
	v_cvt_i32_f32_e32 v6, v6
	v_cmp_ngt_f32_e32 vcc, s28, v3
	v_add_u32_e32 v98, 0x800, v54
	s_or_b32 s31, s12, 16
	v_cndmask_b32_e32 v0, 0, v1, vcc
	v_cmp_nlt_f32_e32 vcc, s29, v3
	v_ldexp_f32 v1, v5, v6
	s_mul_hi_i32 s41, s31, s2
	v_cndmask_b32_e32 v0, v57, v0, vcc
	v_cvt_f16_f32_e32 v3, v0
	v_cmp_ngt_f32_e32 vcc, s28, v2
	s_mul_i32 s40, s31, s2
	s_lshl_b64 s[40:41], s[40:41], 2
	v_cndmask_b32_e32 v1, 0, v1, vcc
	v_cmp_nlt_f32_e32 vcc, s29, v2
	v_mul_u32_u24_e32 v70, 0x10001, v3
	v_pk_mul_f16 v30, v30, v70
	v_cndmask_b32_e32 v2, v57, v1, vcc
	v_sub_f32_e32 v1, v4, v11
	v_mul_f32_e32 v3, 0x3fb8aa3b, v1
	v_fma_f32 v4, v1, s19, -v3
	v_rndne_f32_e32 v5, v3
	v_fmac_f32_e32 v4, 0x32a5705f, v1
	v_sub_f32_e32 v3, v3, v5
	v_add_f32_e32 v3, v3, v4
	v_exp_f32_e32 v3, v3
	v_cvt_i32_f32_e32 v4, v5
	v_cmp_ngt_f32_e32 vcc, s28, v1
	v_pk_mul_f16 v29, v29, v70
	v_pk_mul_f16 v28, v28, v70
	v_ldexp_f32 v3, v3, v4
	v_sub_f32_e32 v4, v66, v11
	v_mul_f32_e32 v5, 0x3fb8aa3b, v4
	v_fma_f32 v6, v4, s19, -v5
	v_rndne_f32_e32 v7, v5
	v_fmac_f32_e32 v6, 0x32a5705f, v4
	v_sub_f32_e32 v5, v5, v7
	v_add_f32_e32 v5, v5, v6
	v_exp_f32_e32 v5, v5
	v_cvt_i32_f32_e32 v6, v7
	v_cndmask_b32_e32 v3, 0, v3, vcc
	v_cmp_nlt_f32_e32 vcc, s29, v1
	s_add_u32 s40, s10, s40
	s_addc_u32 s41, s11, s41
	v_cndmask_b32_e32 v1, v57, v3, vcc
	v_ldexp_f32 v3, v5, v6
	v_cmp_ngt_f32_e32 vcc, s28, v4
	v_cvt_f16_f32_e32 v5, v1
	v_add_u32_e32 v101, 0x1000, v54
	v_cndmask_b32_e32 v3, 0, v3, vcc
	v_cmp_nlt_f32_e32 vcc, s29, v4
	v_mul_u32_u24_e32 v71, 0x10001, v5
	v_pk_mul_f16 v26, v26, v71
	v_cndmask_b32_e32 v3, v57, v3, vcc
	v_pk_fma_f32 v[40:41], v[40:41], v[0:1], v[2:3]
	v_add_u32_e32 v0, v47, v49
	v_cvt_pk_f16_f32 v1, v2, v3
	ds_write_b32 v0, v1
	s_waitcnt vmcnt(1)
	ds_write_b128 v55, v[58:61]
	s_waitcnt vmcnt(0)
	ds_write_b128 v56, v[62:65]
	s_waitcnt lgkmcnt(0)
	s_barrier
	ds_read_b128 v[58:61], v47
	ds_read2_b64 v[62:65], v54 offset1:32
	ds_read_b128 v[66:69], v47 offset:16
	ds_read_b128 v[4:7], v47 offset:32
	;; [unrolled: 1-line block ×3, first 2 shown]
	s_waitcnt lgkmcnt(4)
	v_mul_u32_u24_sdwa v74, v58, s30 dst_sel:DWORD dst_unused:UNUSED_PAD src0_sel:WORD_0 src1_sel:DWORD
	v_mul_u32_u24_sdwa v58, v58, s30 dst_sel:DWORD dst_unused:UNUSED_PAD src0_sel:WORD_1 src1_sel:DWORD
	s_waitcnt lgkmcnt(3)
	v_pk_mul_f16 v72, v62, v74
	v_pk_mul_f16 v62, v62, v58
	;; [unrolled: 1-line block ×4, first 2 shown]
	v_pk_fma_f16 v33, v33, v70, v72
	v_pk_fma_f16 v32, v32, v71, v62
	ds_read2_b64 v[70:73], v54 offset0:64 offset1:96
	v_pk_fma_f16 v30, v63, v74, v30
	v_pk_fma_f16 v26, v63, v58, v26
	;; [unrolled: 1-line block ×6, first 2 shown]
	v_mul_u32_u24_sdwa v58, v59, s30 dst_sel:DWORD dst_unused:UNUSED_PAD src0_sel:WORD_0 src1_sel:DWORD
	v_mul_u32_u24_sdwa v59, v59, s30 dst_sel:DWORD dst_unused:UNUSED_PAD src0_sel:WORD_1 src1_sel:DWORD
	ds_read2_b64 v[62:65], v54 offset0:128 offset1:160
	s_waitcnt lgkmcnt(1)
	v_pk_fma_f16 v33, v70, v58, v33
	v_pk_fma_f16 v32, v70, v59, v32
	;; [unrolled: 1-line block ×8, first 2 shown]
	ds_read2_b64 v[70:73], v54 offset0:192 offset1:224
	v_mul_u32_u24_sdwa v58, v60, s30 dst_sel:DWORD dst_unused:UNUSED_PAD src0_sel:WORD_0 src1_sel:DWORD
	v_mul_u32_u24_sdwa v59, v60, s30 dst_sel:DWORD dst_unused:UNUSED_PAD src0_sel:WORD_1 src1_sel:DWORD
	s_waitcnt lgkmcnt(1)
	v_pk_fma_f16 v33, v62, v58, v33
	v_pk_fma_f16 v32, v62, v59, v32
	;; [unrolled: 1-line block ×8, first 2 shown]
	v_mul_u32_u24_sdwa v62, v61, s30 dst_sel:DWORD dst_unused:UNUSED_PAD src0_sel:WORD_0 src1_sel:DWORD
	v_mul_u32_u24_sdwa v63, v61, s30 dst_sel:DWORD dst_unused:UNUSED_PAD src0_sel:WORD_1 src1_sel:DWORD
	ds_read2_b64 v[58:61], v98 offset1:32
	s_waitcnt lgkmcnt(1)
	v_pk_fma_f16 v33, v70, v62, v33
	v_pk_fma_f16 v32, v70, v63, v32
	;; [unrolled: 1-line block ×8, first 2 shown]
	ds_read2_b64 v[62:65], v98 offset0:64 offset1:96
	v_mul_u32_u24_sdwa v70, v66, s30 dst_sel:DWORD dst_unused:UNUSED_PAD src0_sel:WORD_0 src1_sel:DWORD
	v_mul_u32_u24_sdwa v66, v66, s30 dst_sel:DWORD dst_unused:UNUSED_PAD src0_sel:WORD_1 src1_sel:DWORD
	s_waitcnt lgkmcnt(1)
	v_pk_fma_f16 v33, v58, v70, v33
	v_pk_fma_f16 v32, v58, v66, v32
	v_pk_fma_f16 v30, v59, v70, v30
	v_pk_fma_f16 v26, v59, v66, v26
	v_pk_fma_f16 v29, v60, v70, v29
	v_pk_fma_f16 v24, v60, v66, v24
	v_pk_fma_f16 v28, v61, v70, v28
	v_pk_fma_f16 v25, v61, v66, v25
	v_mul_u32_u24_sdwa v66, v67, s30 dst_sel:DWORD dst_unused:UNUSED_PAD src0_sel:WORD_0 src1_sel:DWORD
	v_mul_u32_u24_sdwa v67, v67, s30 dst_sel:DWORD dst_unused:UNUSED_PAD src0_sel:WORD_1 src1_sel:DWORD
	ds_read2_b64 v[58:61], v98 offset0:128 offset1:160
	s_waitcnt lgkmcnt(1)
	v_pk_fma_f16 v33, v62, v66, v33
	v_pk_fma_f16 v32, v62, v67, v32
	;; [unrolled: 1-line block ×8, first 2 shown]
	ds_read2_b64 v[62:65], v98 offset0:192 offset1:224
	v_mul_u32_u24_sdwa v67, v68, s30 dst_sel:DWORD dst_unused:UNUSED_PAD src0_sel:WORD_1 src1_sel:DWORD
	v_mul_u32_u24_sdwa v66, v68, s30 dst_sel:DWORD dst_unused:UNUSED_PAD src0_sel:WORD_0 src1_sel:DWORD
	s_waitcnt lgkmcnt(1)
	v_pk_fma_f16 v32, v58, v67, v32
	v_pk_fma_f16 v26, v59, v67, v26
	;; [unrolled: 1-line block ×4, first 2 shown]
	v_mul_u32_u24_sdwa v67, v69, s30 dst_sel:DWORD dst_unused:UNUSED_PAD src0_sel:WORD_1 src1_sel:DWORD
	v_pk_fma_f16 v33, v58, v66, v33
	v_pk_fma_f16 v30, v59, v66, v30
	;; [unrolled: 1-line block ×4, first 2 shown]
	v_mul_u32_u24_sdwa v66, v69, s30 dst_sel:DWORD dst_unused:UNUSED_PAD src0_sel:WORD_0 src1_sel:DWORD
	s_waitcnt lgkmcnt(0)
	v_pk_fma_f16 v100, v64, v67, v24
	v_pk_fma_f16 v103, v65, v67, v25
	v_lshl_add_u64 v[24:25], s[40:41], 0, v[20:21]
	v_pk_fma_f16 v99, v64, v66, v29
	v_pk_fma_f16 v102, v65, v66, v28
	v_add_u32_e32 v105, 0x1800, v54
	v_lshl_add_u64 v[24:25], v[24:25], 0, v[42:43]
	v_lshl_add_u64 v[28:29], s[40:41], 0, v[22:23]
	v_pk_fma_f16 v33, v62, v66, v33
	v_pk_fma_f16 v32, v62, v67, v32
	;; [unrolled: 1-line block ×4, first 2 shown]
	ds_read2_b64 v[58:61], v101 offset1:32
	ds_read2_b64 v[62:65], v101 offset0:64 offset1:96
	ds_read2_b64 v[66:69], v101 offset0:128 offset1:160
	ds_read2_b64 v[70:73], v101 offset0:192 offset1:224
	ds_read2_b64 v[74:77], v105 offset1:32
	ds_read2_b64 v[78:81], v105 offset0:64 offset1:96
	ds_read2_b64 v[82:85], v105 offset0:128 offset1:160
	;; [unrolled: 1-line block ×3, first 2 shown]
	s_waitcnt lgkmcnt(0)
	s_barrier
	v_lshl_add_u64 v[28:29], v[28:29], 0, v[42:43]
	global_load_dwordx4 v[90:93], v[24:25], off
	global_load_dwordx4 v[94:97], v[28:29], off
	v_mul_u32_u24_sdwa v104, v4, s30 dst_sel:DWORD dst_unused:UNUSED_PAD src0_sel:WORD_0 src1_sel:DWORD
	v_mul_u32_u24_sdwa v4, v4, s30 dst_sel:DWORD dst_unused:UNUSED_PAD src0_sel:WORD_1 src1_sel:DWORD
	v_pk_fma_f16 v24, v58, v104, v33
	v_pk_fma_f16 v25, v58, v4, v32
	v_pk_fma_f16 v28, v59, v104, v30
	v_pk_fma_f16 v26, v59, v4, v26
	v_pk_fma_f16 v29, v60, v104, v99
	v_pk_fma_f16 v30, v60, v4, v100
	v_pk_fma_f16 v32, v61, v104, v102
	v_pk_fma_f16 v4, v61, v4, v103
	v_mul_u32_u24_sdwa v33, v5, s30 dst_sel:DWORD dst_unused:UNUSED_PAD src0_sel:WORD_0 src1_sel:DWORD
	v_mul_u32_u24_sdwa v5, v5, s30 dst_sel:DWORD dst_unused:UNUSED_PAD src0_sel:WORD_1 src1_sel:DWORD
	v_pk_fma_f16 v24, v62, v33, v24
	v_pk_fma_f16 v25, v62, v5, v25
	v_pk_fma_f16 v28, v63, v33, v28
	v_pk_fma_f16 v26, v63, v5, v26
	v_pk_fma_f16 v29, v64, v33, v29
	v_pk_fma_f16 v30, v64, v5, v30
	v_pk_fma_f16 v32, v65, v33, v32
	v_pk_fma_f16 v4, v65, v5, v4
	;; [unrolled: 10-line block ×8, first 2 shown]
	s_waitcnt vmcnt(1)
	ds_write_b128 v55, v[90:93]
	s_waitcnt vmcnt(0)
	ds_write_b128 v56, v[94:97]
	s_waitcnt lgkmcnt(0)
	s_barrier
	ds_read_b128 v[0:3], v47 offset:64
	ds_read2_b64 v[4:7], v54 offset1:32
	ds_read_b128 v[58:61], v47 offset:80
	ds_read_b128 v[62:65], v47 offset:96
	;; [unrolled: 1-line block ×3, first 2 shown]
	ds_read2_b64 v[70:73], v54 offset0:64 offset1:96
	s_waitcnt lgkmcnt(5)
	v_mul_u32_u24_sdwa v74, v0, s30 dst_sel:DWORD dst_unused:UNUSED_PAD src0_sel:WORD_0 src1_sel:DWORD
	v_mul_u32_u24_sdwa v0, v0, s30 dst_sel:DWORD dst_unused:UNUSED_PAD src0_sel:WORD_1 src1_sel:DWORD
	s_waitcnt lgkmcnt(4)
	v_pk_fma_f16 v28, v4, v74, v28
	v_pk_fma_f16 v4, v4, v0, v29
	;; [unrolled: 1-line block ×6, first 2 shown]
	v_mul_u32_u24_sdwa v26, v1, s30 dst_sel:DWORD dst_unused:UNUSED_PAD src0_sel:WORD_0 src1_sel:DWORD
	v_mul_u32_u24_sdwa v1, v1, s30 dst_sel:DWORD dst_unused:UNUSED_PAD src0_sel:WORD_1 src1_sel:DWORD
	v_pk_fma_f16 v25, v7, v74, v32
	v_pk_fma_f16 v0, v7, v0, v33
	s_waitcnt lgkmcnt(0)
	v_pk_fma_f16 v30, v70, v1, v4
	v_pk_fma_f16 v32, v71, v1, v5
	;; [unrolled: 1-line block ×3, first 2 shown]
	ds_read2_b64 v[4:7], v54 offset0:128 offset1:160
	v_pk_fma_f16 v28, v70, v26, v28
	v_pk_fma_f16 v29, v71, v26, v29
	;; [unrolled: 1-line block ×5, first 2 shown]
	v_mul_u32_u24_sdwa v1, v2, s30 dst_sel:DWORD dst_unused:UNUSED_PAD src0_sel:WORD_0 src1_sel:DWORD
	v_mul_u32_u24_sdwa v2, v2, s30 dst_sel:DWORD dst_unused:UNUSED_PAD src0_sel:WORD_1 src1_sel:DWORD
	ds_read2_b64 v[70:73], v54 offset0:192 offset1:224
	s_waitcnt lgkmcnt(1)
	v_pk_fma_f16 v26, v4, v1, v28
	v_pk_fma_f16 v4, v4, v2, v30
	;; [unrolled: 1-line block ×8, first 2 shown]
	v_mul_u32_u24_sdwa v29, v3, s30 dst_sel:DWORD dst_unused:UNUSED_PAD src0_sel:WORD_0 src1_sel:DWORD
	v_mul_u32_u24_sdwa v30, v3, s30 dst_sel:DWORD dst_unused:UNUSED_PAD src0_sel:WORD_1 src1_sel:DWORD
	ds_read2_b64 v[0:3], v98 offset1:32
	s_waitcnt lgkmcnt(1)
	v_pk_fma_f16 v26, v70, v29, v26
	v_pk_fma_f16 v4, v70, v30, v4
	;; [unrolled: 1-line block ×8, first 2 shown]
	v_mul_u32_u24_sdwa v30, v58, s30 dst_sel:DWORD dst_unused:UNUSED_PAD src0_sel:WORD_0 src1_sel:DWORD
	v_mul_u32_u24_sdwa v32, v58, s30 dst_sel:DWORD dst_unused:UNUSED_PAD src0_sel:WORD_1 src1_sel:DWORD
	s_waitcnt lgkmcnt(0)
	v_pk_fma_f16 v26, v0, v30, v26
	v_pk_fma_f16 v0, v0, v32, v4
	v_pk_fma_f16 v28, v1, v30, v28
	v_pk_fma_f16 v1, v1, v32, v5
	v_pk_fma_f16 v24, v2, v30, v24
	v_pk_fma_f16 v2, v2, v32, v6
	ds_read2_b64 v[4:7], v98 offset0:64 offset1:96
	v_pk_fma_f16 v25, v3, v30, v25
	v_pk_fma_f16 v29, v3, v32, v29
	v_mul_u32_u24_sdwa v30, v59, s30 dst_sel:DWORD dst_unused:UNUSED_PAD src0_sel:WORD_0 src1_sel:DWORD
	v_mul_u32_u24_sdwa v32, v59, s30 dst_sel:DWORD dst_unused:UNUSED_PAD src0_sel:WORD_1 src1_sel:DWORD
	s_waitcnt lgkmcnt(0)
	v_pk_fma_f16 v26, v4, v30, v26
	v_pk_fma_f16 v4, v4, v32, v0
	v_pk_fma_f16 v28, v5, v30, v28
	v_pk_fma_f16 v5, v5, v32, v1
	v_pk_fma_f16 v24, v6, v30, v24
	v_pk_fma_f16 v6, v6, v32, v2
	ds_read2_b64 v[0:3], v98 offset0:128 offset1:160
	v_pk_fma_f16 v25, v7, v30, v25
	v_pk_fma_f16 v29, v7, v32, v29
	;; [unrolled: 12-line block ×3, first 2 shown]
	v_mul_u32_u24_sdwa v30, v61, s30 dst_sel:DWORD dst_unused:UNUSED_PAD src0_sel:WORD_0 src1_sel:DWORD
	v_mul_u32_u24_sdwa v32, v61, s30 dst_sel:DWORD dst_unused:UNUSED_PAD src0_sel:WORD_1 src1_sel:DWORD
	s_waitcnt lgkmcnt(0)
	v_pk_fma_f16 v26, v4, v30, v26
	v_pk_fma_f16 v4, v4, v32, v0
	;; [unrolled: 1-line block ×6, first 2 shown]
	ds_read2_b64 v[0:3], v101 offset1:32
	v_pk_fma_f16 v25, v7, v30, v25
	v_pk_fma_f16 v29, v7, v32, v29
	v_mul_u32_u24_sdwa v30, v62, s30 dst_sel:DWORD dst_unused:UNUSED_PAD src0_sel:WORD_0 src1_sel:DWORD
	v_mul_u32_u24_sdwa v32, v62, s30 dst_sel:DWORD dst_unused:UNUSED_PAD src0_sel:WORD_1 src1_sel:DWORD
	s_waitcnt lgkmcnt(0)
	v_pk_fma_f16 v26, v0, v30, v26
	v_pk_fma_f16 v0, v0, v32, v4
	v_pk_fma_f16 v28, v1, v30, v28
	v_pk_fma_f16 v1, v1, v32, v5
	v_pk_fma_f16 v24, v2, v30, v24
	v_pk_fma_f16 v2, v2, v32, v6
	ds_read2_b64 v[4:7], v101 offset0:64 offset1:96
	v_pk_fma_f16 v25, v3, v30, v25
	v_pk_fma_f16 v29, v3, v32, v29
	v_mul_u32_u24_sdwa v30, v63, s30 dst_sel:DWORD dst_unused:UNUSED_PAD src0_sel:WORD_0 src1_sel:DWORD
	v_mul_u32_u24_sdwa v32, v63, s30 dst_sel:DWORD dst_unused:UNUSED_PAD src0_sel:WORD_1 src1_sel:DWORD
	s_waitcnt lgkmcnt(0)
	v_pk_fma_f16 v26, v4, v30, v26
	v_pk_fma_f16 v4, v4, v32, v0
	v_pk_fma_f16 v28, v5, v30, v28
	v_pk_fma_f16 v5, v5, v32, v1
	v_pk_fma_f16 v24, v6, v30, v24
	v_pk_fma_f16 v6, v6, v32, v2
	ds_read2_b64 v[0:3], v101 offset0:128 offset1:160
	;; [unrolled: 12-line block ×3, first 2 shown]
	v_pk_fma_f16 v25, v3, v30, v25
	v_pk_fma_f16 v29, v3, v32, v29
	v_mul_u32_u24_sdwa v30, v65, s30 dst_sel:DWORD dst_unused:UNUSED_PAD src0_sel:WORD_0 src1_sel:DWORD
	v_mul_u32_u24_sdwa v32, v65, s30 dst_sel:DWORD dst_unused:UNUSED_PAD src0_sel:WORD_1 src1_sel:DWORD
	s_waitcnt lgkmcnt(0)
	v_pk_fma_f16 v26, v4, v30, v26
	v_pk_fma_f16 v4, v4, v32, v0
	;; [unrolled: 1-line block ×6, first 2 shown]
	ds_read2_b64 v[0:3], v105 offset1:32
	v_pk_fma_f16 v25, v7, v30, v25
	v_pk_fma_f16 v29, v7, v32, v29
	v_mul_u32_u24_sdwa v30, v66, s30 dst_sel:DWORD dst_unused:UNUSED_PAD src0_sel:WORD_0 src1_sel:DWORD
	v_mul_u32_u24_sdwa v32, v66, s30 dst_sel:DWORD dst_unused:UNUSED_PAD src0_sel:WORD_1 src1_sel:DWORD
	s_waitcnt lgkmcnt(0)
	v_pk_fma_f16 v26, v0, v30, v26
	v_pk_fma_f16 v0, v0, v32, v4
	v_pk_fma_f16 v28, v1, v30, v28
	v_pk_fma_f16 v1, v1, v32, v5
	v_pk_fma_f16 v24, v2, v30, v24
	v_pk_fma_f16 v2, v2, v32, v6
	ds_read2_b64 v[4:7], v105 offset0:64 offset1:96
	v_pk_fma_f16 v25, v3, v30, v25
	v_pk_fma_f16 v29, v3, v32, v29
	v_mul_u32_u24_sdwa v30, v67, s30 dst_sel:DWORD dst_unused:UNUSED_PAD src0_sel:WORD_0 src1_sel:DWORD
	v_mul_u32_u24_sdwa v32, v67, s30 dst_sel:DWORD dst_unused:UNUSED_PAD src0_sel:WORD_1 src1_sel:DWORD
	s_waitcnt lgkmcnt(0)
	v_pk_fma_f16 v26, v4, v30, v26
	v_pk_fma_f16 v4, v4, v32, v0
	v_pk_fma_f16 v28, v5, v30, v28
	v_pk_fma_f16 v5, v5, v32, v1
	v_pk_fma_f16 v24, v6, v30, v24
	v_pk_fma_f16 v6, v6, v32, v2
	ds_read2_b64 v[0:3], v105 offset0:128 offset1:160
	;; [unrolled: 12-line block ×3, first 2 shown]
	s_waitcnt lgkmcnt(0)
	s_barrier
	s_load_dword s31, s[6:7], 0x4
	v_pk_fma_f16 v25, v3, v30, v25
	v_pk_fma_f16 v3, v3, v32, v29
	v_mul_u32_u24_sdwa v58, v69, s30 dst_sel:DWORD dst_unused:UNUSED_PAD src0_sel:WORD_0 src1_sel:DWORD
	v_mul_u32_u24_sdwa v59, v69, s30 dst_sel:DWORD dst_unused:UNUSED_PAD src0_sel:WORD_1 src1_sel:DWORD
	s_waitcnt lgkmcnt(0)
	s_lshl_b32 s31, s31, 5
	s_add_i32 s12, s31, s12
	v_pk_fma_f16 v33, v4, v58, v26
	v_pk_fma_f16 v32, v4, v59, v0
	;; [unrolled: 1-line block ×7, first 2 shown]
	s_cmp_lt_i32 s12, s13
	v_pk_fma_f16 v25, v7, v59, v3
	s_cbranch_scc0 .LBB46_16
; %bb.14:                               ;   in Loop: Header=BB46_8 Depth=1
	v_mov_b32_e32 v5, v10
	v_mov_b32_e32 v4, v11
	s_branch .LBB46_8
.LBB46_15:
	v_mov_b32_e32 v10, 0xfeffffff
	v_mov_b32_e32 v11, v10
	;; [unrolled: 1-line block ×11, first 2 shown]
.LBB46_16:
	s_cmp_gt_i32 s38, s12
	s_cbranch_scc1 .LBB46_18
; %bb.17:
	v_mbcnt_hi_u32_b32 v55, -1, v34
	v_and_b32_e32 v0, 0x60, v55
	v_add_u32_e32 v56, 32, v0
	v_xor_b32_e32 v57, 16, v55
	v_xor_b32_e32 v58, 8, v55
	v_xor_b32_e32 v59, 4, v55
	v_xor_b32_e32 v60, 2, v55
	v_xor_b32_e32 v61, 1, v55
	s_cbranch_execz .LBB46_19
	s_branch .LBB46_29
.LBB46_18:
                                        ; implicit-def: $vgpr55
                                        ; implicit-def: $vgpr56
                                        ; implicit-def: $vgpr57
                                        ; implicit-def: $vgpr58
                                        ; implicit-def: $vgpr59
                                        ; implicit-def: $vgpr60
                                        ; implicit-def: $vgpr61
.LBB46_19:
	s_mul_hi_i32 s5, s12, s8
	s_mul_i32 s4, s12, s8
	s_sub_i32 s13, s38, s12
	s_lshl_b64 s[4:5], s[4:5], 2
	v_add_u32_e32 v9, v35, v51
	s_mov_b64 s[6:7], src_private_base
	s_add_u32 s28, s9, s4
	v_mul_lo_u32 v0, s8, v9
	s_mov_b32 s4, 0
	s_addc_u32 s29, s18, s5
	v_ashrrev_i32_e32 v1, 31, v0
	s_mov_b32 s6, s4
	v_lshlrev_b32_e32 v2, 2, v12
	v_mov_b32_e32 v3, 0
	s_mov_b32 s5, s4
	v_mov_b32_e32 v18, s6
	v_lshl_add_u64 v[4:5], v[0:1], 2, s[28:29]
	v_mov_b32_e32 v17, s5
	v_mov_b32_e32 v16, s4
	v_lshl_add_u64 v[6:7], v[4:5], 0, v[2:3]
	v_mov_b32_e32 v12, s7
	v_cmp_gt_i32_e64 s[4:5], s13, v9
	v_mov_b32_e32 v15, 0
	scratch_store_dword off, v3, off
	scratch_store_dwordx3 off, v[16:18], off offset:4
	v_cndmask_b32_e64 v5, v12, v7, s[4:5]
	v_cndmask_b32_e64 v4, v15, v6, s[4:5]
	flat_load_dwordx4 v[20:23], v[4:5]
	v_lshl_add_u32 v0, s8, 4, v0
	s_movk_i32 s6, 0x110
	v_ashrrev_i32_e32 v1, 31, v0
	v_mad_u32_u24 v14, v9, s6, v2
	v_add_u32_e32 v9, 16, v9
	v_lshl_add_u64 v[0:1], v[0:1], 2, s[28:29]
	v_lshl_add_u64 v[4:5], v[0:1], 0, v[2:3]
	v_cmp_gt_i32_e32 vcc, s13, v9
	scratch_store_dword off, v3, off
	scratch_store_dwordx3 off, v[16:18], off offset:4
	v_cndmask_b32_e32 v1, v12, v5, vcc
	v_cndmask_b32_e32 v0, v15, v4, vcc
	v_mul_u32_u24_e32 v9, 0x110, v52
	s_mov_b64 s[6:7], 0x100
	v_lshl_add_u64 v[6:7], v[6:7], 0, s[6:7]
	v_cndmask_b32_e64 v7, v12, v7, s[4:5]
	v_cndmask_b32_e64 v6, v15, v6, s[4:5]
	v_lshl_add_u64 v[4:5], v[4:5], 0, s[6:7]
	v_cndmask_b32_e32 v5, v12, v5, vcc
	v_cndmask_b32_e32 v4, v15, v4, vcc
	s_cmp_lg_u64 s[36:37], 0
	s_cselect_b64 s[4:5], -1, 0
	v_add_u32_e32 v2, s12, v52
	v_cmp_gt_i32_e64 s[6:7], s13, v52
	s_waitcnt vmcnt(0) lgkmcnt(0)
	ds_write_b128 v14, v[20:23]
	flat_load_dwordx4 v[20:23], v[0:1]
	v_mov_b32_e32 v0, v3
	v_mov_b32_e32 v1, v3
	s_waitcnt vmcnt(0) lgkmcnt(0)
	ds_write_b128 v14, v[20:23] offset:4352
	s_waitcnt lgkmcnt(0)
	s_barrier
	ds_read_b128 v[20:23], v9
	ds_read_b128 v[44:47], v31 offset:8704
	ds_read_b128 v[56:59], v31 offset:9216
	s_waitcnt lgkmcnt(1)
	;;#ASMSTART
	v_dot2_f32_f16 v0, v20, v44, v0
	;;#ASMEND
	s_nop 0
	;;#ASMSTART
	v_dot2_f32_f16 v0, v21, v45, v0
	;;#ASMEND
	s_nop 0
	;;#ASMSTART
	v_dot2_f32_f16 v0, v22, v46, v0
	;;#ASMEND
	s_nop 0
	;;#ASMSTART
	v_dot2_f32_f16 v0, v23, v47, v0
	;;#ASMEND
	s_waitcnt lgkmcnt(0)
	;;#ASMSTART
	v_dot2_f32_f16 v1, v20, v56, v1
	;;#ASMEND
	s_nop 0
	;;#ASMSTART
	v_dot2_f32_f16 v1, v21, v57, v1
	;;#ASMEND
	s_nop 0
	;;#ASMSTART
	v_dot2_f32_f16 v1, v22, v58, v1
	;;#ASMEND
	s_nop 0
	;;#ASMSTART
	v_dot2_f32_f16 v1, v23, v59, v1
	;;#ASMEND
	ds_read_b128 v[20:23], v9 offset:16
	ds_read_b128 v[44:47], v31 offset:8720
	ds_read_b128 v[56:59], v31 offset:9232
	s_waitcnt lgkmcnt(1)
	;;#ASMSTART
	v_dot2_f32_f16 v0, v20, v44, v0
	;;#ASMEND
	s_nop 0
	;;#ASMSTART
	v_dot2_f32_f16 v0, v21, v45, v0
	;;#ASMEND
	s_nop 0
	;;#ASMSTART
	v_dot2_f32_f16 v0, v22, v46, v0
	;;#ASMEND
	s_nop 0
	;;#ASMSTART
	v_dot2_f32_f16 v0, v23, v47, v0
	;;#ASMEND
	s_waitcnt lgkmcnt(0)
	;;#ASMSTART
	v_dot2_f32_f16 v1, v20, v56, v1
	;;#ASMEND
	s_nop 0
	;;#ASMSTART
	v_dot2_f32_f16 v1, v21, v57, v1
	;;#ASMEND
	s_nop 0
	;;#ASMSTART
	v_dot2_f32_f16 v1, v22, v58, v1
	;;#ASMEND
	s_nop 0
	;;#ASMSTART
	v_dot2_f32_f16 v1, v23, v59, v1
	;;#ASMEND
	ds_read_b128 v[20:23], v9 offset:32
	;; [unrolled: 35-line block ×15, first 2 shown]
	ds_read_b128 v[44:47], v31 offset:8944
	ds_read_b128 v[56:59], v31 offset:9456
	s_waitcnt lgkmcnt(1)
	;;#ASMSTART
	v_dot2_f32_f16 v0, v20, v44, v0
	;;#ASMEND
	s_nop 0
	;;#ASMSTART
	v_dot2_f32_f16 v0, v21, v45, v0
	;;#ASMEND
	s_nop 0
	;; [unrolled: 4-line block ×3, first 2 shown]
	;;#ASMSTART
	v_dot2_f32_f16 v0, v23, v47, v0
	;;#ASMEND
	s_waitcnt lgkmcnt(0)
	;;#ASMSTART
	v_dot2_f32_f16 v1, v20, v56, v1
	;;#ASMEND
	s_nop 0
	;;#ASMSTART
	v_dot2_f32_f16 v1, v21, v57, v1
	;;#ASMEND
	s_nop 0
	;; [unrolled: 4-line block ×3, first 2 shown]
	;;#ASMSTART
	v_dot2_f32_f16 v1, v23, v59, v1
	;;#ASMEND
	s_barrier
	scratch_store_dword off, v3, off
	scratch_store_dwordx3 off, v[16:18], off offset:4
	flat_load_dwordx4 v[20:23], v[6:7]
	s_nop 0
	scratch_store_dword off, v3, off
	scratch_store_dwordx3 off, v[16:18], off offset:4
	s_waitcnt vmcnt(0) lgkmcnt(0)
	ds_write_b128 v14, v[20:23]
	flat_load_dwordx4 v[4:7], v[4:5]
	s_waitcnt vmcnt(0) lgkmcnt(0)
	ds_write_b128 v14, v[4:7] offset:4352
	s_waitcnt lgkmcnt(0)
	s_barrier
	ds_read_b128 v[4:7], v9
	ds_read_b128 v[14:17], v31 offset:8960
	ds_read_b128 v[18:21], v31 offset:9472
	s_waitcnt lgkmcnt(1)
	;;#ASMSTART
	v_dot2_f32_f16 v0, v4, v14, v0
	;;#ASMEND
	s_nop 0
	;;#ASMSTART
	v_dot2_f32_f16 v0, v5, v15, v0
	;;#ASMEND
	s_nop 0
	;;#ASMSTART
	v_dot2_f32_f16 v0, v6, v16, v0
	;;#ASMEND
	s_nop 0
	;;#ASMSTART
	v_dot2_f32_f16 v0, v7, v17, v0
	;;#ASMEND
	s_waitcnt lgkmcnt(0)
	;;#ASMSTART
	v_dot2_f32_f16 v1, v4, v18, v1
	;;#ASMEND
	s_nop 0
	;;#ASMSTART
	v_dot2_f32_f16 v1, v5, v19, v1
	;;#ASMEND
	s_nop 0
	;;#ASMSTART
	v_dot2_f32_f16 v1, v6, v20, v1
	;;#ASMEND
	s_nop 0
	;;#ASMSTART
	v_dot2_f32_f16 v1, v7, v21, v1
	;;#ASMEND
	ds_read_b128 v[4:7], v9 offset:16
	ds_read_b128 v[14:17], v31 offset:8976
	ds_read_b128 v[18:21], v31 offset:9488
	s_waitcnt lgkmcnt(1)
	;;#ASMSTART
	v_dot2_f32_f16 v0, v4, v14, v0
	;;#ASMEND
	s_nop 0
	;;#ASMSTART
	v_dot2_f32_f16 v0, v5, v15, v0
	;;#ASMEND
	s_nop 0
	;;#ASMSTART
	v_dot2_f32_f16 v0, v6, v16, v0
	;;#ASMEND
	s_nop 0
	;;#ASMSTART
	v_dot2_f32_f16 v0, v7, v17, v0
	;;#ASMEND
	s_waitcnt lgkmcnt(0)
	;;#ASMSTART
	v_dot2_f32_f16 v1, v4, v18, v1
	;;#ASMEND
	s_nop 0
	;;#ASMSTART
	v_dot2_f32_f16 v1, v5, v19, v1
	;;#ASMEND
	s_nop 0
	;;#ASMSTART
	v_dot2_f32_f16 v1, v6, v20, v1
	;;#ASMEND
	s_nop 0
	;;#ASMSTART
	v_dot2_f32_f16 v1, v7, v21, v1
	;;#ASMEND
	ds_read_b128 v[4:7], v9 offset:32
	;; [unrolled: 35-line block ×15, first 2 shown]
	ds_read_b128 v[14:17], v31 offset:9200
	ds_read_b128 v[18:21], v31 offset:9712
	s_waitcnt lgkmcnt(1)
	;;#ASMSTART
	v_dot2_f32_f16 v0, v4, v14, v0
	;;#ASMEND
	s_nop 0
	;;#ASMSTART
	v_dot2_f32_f16 v0, v5, v15, v0
	;;#ASMEND
	v_cndmask_b32_e64 v9, 0, 1, s[4:5]
	;;#ASMSTART
	v_dot2_f32_f16 v0, v6, v16, v0
	;;#ASMEND
	v_cmp_ne_u32_e64 s[4:5], 1, v9
	;;#ASMSTART
	v_dot2_f32_f16 v0, v7, v17, v0
	;;#ASMEND
	s_waitcnt lgkmcnt(0)
	;;#ASMSTART
	v_dot2_f32_f16 v1, v4, v18, v1
	;;#ASMEND
	v_mov_b32_e32 v4, v10
	;;#ASMSTART
	v_dot2_f32_f16 v1, v5, v19, v1
	;;#ASMEND
	s_nop 0
	;;#ASMSTART
	v_dot2_f32_f16 v1, v6, v20, v1
	;;#ASMEND
	s_nop 0
	;;#ASMSTART
	v_dot2_f32_f16 v1, v7, v21, v1
	;;#ASMEND
	s_and_saveexec_b64 s[8:9], s[6:7]
	s_cbranch_execz .LBB46_23
; %bb.20:
	s_and_b64 vcc, exec, s[4:5]
	s_cbranch_vccnz .LBB46_22
; %bb.21:
	v_mad_u64_u32 v[4:5], s[18:19], v27, s15, v[2:3]
	v_ashrrev_i32_e32 v5, 31, v4
	v_lshl_add_u64 v[4:5], v[4:5], 1, s[36:37]
	global_load_ushort v3, v[4:5], off
	s_waitcnt vmcnt(0)
	v_cvt_f32_f16_e32 v3, v3
	v_mul_f32_e32 v3, v13, v3
.LBB46_22:
	v_add_f32_e32 v0, v0, v3
	v_add_f32_e32 v3, 0x40051340, v0
	v_max_f32_e32 v4, v10, v10
	v_max_f32_e32 v4, v4, v3
.LBB46_23:
	s_or_b64 exec, exec, s[8:9]
	v_mbcnt_hi_u32_b32 v55, -1, v34
	v_and_b32_e32 v3, 0x60, v55
	v_add_u32_e32 v56, 32, v3
	v_xor_b32_e32 v57, 16, v55
	v_cmp_lt_i32_e32 vcc, v57, v56
	v_xor_b32_e32 v58, 8, v55
	v_xor_b32_e32 v59, 4, v55
	v_cndmask_b32_e32 v3, v55, v57, vcc
	v_lshlrev_b32_e32 v7, 2, v3
	ds_bpermute_b32 v3, v7, v4
	v_cmp_lt_i32_e32 vcc, v58, v56
	v_max_f32_e32 v4, v4, v4
	v_xor_b32_e32 v60, 2, v55
	v_cndmask_b32_e32 v5, v55, v58, vcc
	s_waitcnt lgkmcnt(0)
	v_max_f32_e32 v3, v3, v3
	v_lshlrev_b32_e32 v9, 2, v5
	v_max_f32_e32 v3, v4, v3
	ds_bpermute_b32 v4, v9, v3
	v_cmp_lt_i32_e32 vcc, v59, v56
	v_xor_b32_e32 v61, 1, v55
	s_waitcnt lgkmcnt(0)
	v_max_f32_e32 v4, v4, v4
	v_cndmask_b32_e32 v5, v55, v59, vcc
	v_lshlrev_b32_e32 v6, 2, v5
	v_max_f32_e32 v3, v3, v4
	ds_bpermute_b32 v4, v6, v3
	v_cmp_lt_i32_e32 vcc, v60, v56
	s_waitcnt lgkmcnt(0)
	v_max_f32_e32 v4, v4, v4
	v_cndmask_b32_e32 v5, v55, v60, vcc
	v_lshlrev_b32_e32 v5, 2, v5
	v_max_f32_e32 v3, v3, v4
	ds_bpermute_b32 v12, v5, v3
	v_cmp_lt_i32_e32 vcc, v61, v56
	s_waitcnt lgkmcnt(0)
	v_max_f32_e32 v12, v12, v12
	v_cndmask_b32_e32 v4, v55, v61, vcc
	v_lshlrev_b32_e32 v4, 2, v4
	v_max_f32_e32 v3, v3, v12
	ds_bpermute_b32 v12, v4, v3
	s_waitcnt lgkmcnt(0)
	v_max_f32_e32 v12, v12, v12
	v_max_f32_e32 v44, v3, v12
	v_mov_b32_e32 v3, v11
	s_and_saveexec_b64 s[8:9], s[6:7]
	s_cbranch_execz .LBB46_28
; %bb.24:
	s_and_b64 vcc, exec, s[4:5]
	s_cbranch_vccnz .LBB46_26
; %bb.25:
	v_or_b32_e32 v3, 1, v53
	v_mul_hi_u32 v12, s24, v3
	v_add_u32_e32 v12, v3, v12
	v_lshrrev_b32_e32 v12, s25, v12
	v_mul_lo_u32 v12, v12, s26
	v_sub_u32_e32 v3, v3, v12
	v_mad_u64_u32 v[2:3], s[4:5], v3, s15, v[2:3]
	v_ashrrev_i32_e32 v3, 31, v2
	v_lshl_add_u64 v[2:3], v[2:3], 1, s[36:37]
	global_load_ushort v2, v[2:3], off
	s_waitcnt vmcnt(0)
	v_cvt_f32_f16_e32 v2, v2
	v_mul_f32_e32 v2, v13, v2
	s_branch .LBB46_27
.LBB46_26:
	v_mov_b32_e32 v2, 0
.LBB46_27:
	v_add_f32_e32 v1, v1, v2
	v_add_f32_e32 v2, 0x40051340, v1
	v_max_f32_e32 v3, v11, v11
	v_max_f32_e32 v3, v3, v2
.LBB46_28:
	s_or_b64 exec, exec, s[8:9]
	ds_bpermute_b32 v2, v7, v3
	v_max_f32_e32 v3, v3, v3
	v_sub_f32_e32 v0, v0, v44
	s_mov_b32 s8, 0x3fb8aa3b
	s_mov_b32 s9, 0xc2ce8ed0
	s_waitcnt lgkmcnt(0)
	v_max_f32_e32 v2, v2, v2
	v_max_f32_e32 v2, v3, v2
	ds_bpermute_b32 v3, v9, v2
	v_cmp_ngt_f32_e32 vcc, s9, v0
	s_mov_b32 s15, 0x42b17218
	v_lshlrev_b32_e32 v62, 7, v38
	s_mov_b64 s[6:7], src_private_base
	s_waitcnt lgkmcnt(0)
	v_max_f32_e32 v3, v3, v3
	v_max_f32_e32 v2, v2, v3
	ds_bpermute_b32 v3, v6, v2
	v_mul_f32_e32 v6, 0x3fb8aa3b, v0
	v_fma_f32 v7, v0, s8, -v6
	v_rndne_f32_e32 v9, v6
	v_fmac_f32_e32 v7, 0x32a5705f, v0
	s_waitcnt lgkmcnt(0)
	v_max_f32_e32 v3, v3, v3
	v_max_f32_e32 v2, v2, v3
	ds_bpermute_b32 v3, v5, v2
	v_sub_f32_e32 v5, v6, v9
	v_add_f32_e32 v5, v5, v7
	v_cvt_i32_f32_e32 v6, v9
	v_exp_f32_e32 v5, v5
	s_waitcnt lgkmcnt(0)
	v_max_f32_e32 v3, v3, v3
	v_max_f32_e32 v2, v2, v3
	ds_bpermute_b32 v3, v4, v2
	v_ldexp_f32 v4, v5, v6
	v_mov_b32_e32 v7, 0x7f800000
	v_ashrrev_i32_e32 v9, 31, v8
	v_lshlrev_b64 v[36:37], 2, v[8:9]
	s_waitcnt lgkmcnt(0)
	v_max_f32_e32 v3, v3, v3
	v_max_f32_e32 v45, v2, v3
	v_sub_f32_e32 v1, v1, v45
	v_mul_f32_e32 v3, 0x3fb8aa3b, v1
	v_cndmask_b32_e32 v2, 0, v4, vcc
	v_fma_f32 v4, v1, s8, -v3
	v_rndne_f32_e32 v5, v3
	v_fmac_f32_e32 v4, 0x32a5705f, v1
	v_sub_f32_e32 v3, v3, v5
	v_add_f32_e32 v3, v3, v4
	v_exp_f32_e32 v3, v3
	v_cvt_i32_f32_e32 v4, v5
	v_cmp_nlt_f32_e32 vcc, s15, v0
	v_cmp_ngt_f32_e64 s[4:5], s9, v1
	s_nop 0
	v_cndmask_b32_e32 v0, v7, v2, vcc
	v_cmp_gt_u32_e32 vcc, s13, v52
	s_barrier
	s_nop 0
	v_cndmask_b32_e32 v6, 0, v0, vcc
	v_ldexp_f32 v0, v3, v4
	v_cndmask_b32_e64 v0, 0, v0, s[4:5]
	v_cmp_nlt_f32_e64 s[4:5], s15, v1
	v_mov_b32_e32 v43, 0
	v_mov_b32_e32 v68, s7
	v_cndmask_b32_e64 v0, v7, v0, s[4:5]
	s_movk_i32 s4, 0x4200
	v_cndmask_b32_e32 v12, 0, v0, vcc
	v_add3_u32 v0, v62, s4, v49
	s_mul_hi_i32 s5, s12, s2
	s_mul_i32 s4, s12, s2
	s_lshl_b64 s[4:5], s[4:5], 2
	s_add_u32 s18, s10, s4
	s_mov_b32 s4, 0
	v_cvt_pk_f16_f32 v1, v6, v12
	s_addc_u32 s19, s11, s5
	s_mov_b32 s6, s4
	ds_write_b32 v0, v1
	s_mov_b32 s5, s4
	v_mov_b32_e32 v86, s6
	v_lshl_add_u64 v[0:1], s[18:19], 0, v[36:37]
	v_mov_b32_e32 v85, s5
	v_mov_b32_e32 v84, s4
	v_lshl_add_u64 v[0:1], v[0:1], 0, v[42:43]
	v_cmp_gt_i32_e32 vcc, s13, v38
	v_mov_b32_e32 v69, 0
	scratch_store_dword off, v43, off
	scratch_store_dwordx3 off, v[84:86], off offset:4
	v_cndmask_b32_e32 v1, v68, v1, vcc
	v_cndmask_b32_e32 v0, v69, v0, vcc
	flat_load_dwordx4 v[0:3], v[0:1]
	v_lshl_add_u32 v4, s2, 3, v8
	v_ashrrev_i32_e32 v5, 31, v4
	v_lshlrev_b64 v[46:47], 2, v[4:5]
	v_add_u32_e32 v70, 8, v38
	v_lshl_add_u64 v[4:5], s[18:19], 0, v[46:47]
	v_lshl_add_u32 v65, v38, 9, v42
	v_cmp_gt_i32_e32 vcc, s13, v70
	v_lshl_add_u64 v[4:5], v[4:5], 0, v[42:43]
	scratch_store_dword off, v43, off
	scratch_store_dwordx3 off, v[84:86], off offset:4
	v_cndmask_b32_e32 v5, v68, v5, vcc
	v_cndmask_b32_e32 v4, v69, v4, vcc
	s_mov_b32 s6, 0x10001
	v_lshl_add_u32 v66, v70, 9, v42
	v_add_u32_e32 v63, 0x800, v54
	v_add_u32_e32 v64, 0x1000, v54
	s_waitcnt vmcnt(0) lgkmcnt(0)
	ds_write_b128 v65, v[0:3]
	flat_load_dwordx4 v[0:3], v[4:5]
	v_sub_f32_e32 v4, v10, v44
	v_mul_f32_e32 v5, 0x3fb8aa3b, v4
	v_fma_f32 v8, v4, s8, -v5
	v_rndne_f32_e32 v9, v5
	v_fmac_f32_e32 v8, 0x32a5705f, v4
	v_sub_f32_e32 v5, v5, v9
	v_add_f32_e32 v5, v5, v8
	v_cvt_i32_f32_e32 v9, v9
	v_exp_f32_e32 v5, v5
	v_cmp_ngt_f32_e32 vcc, s9, v4
	v_cmp_nlt_f32_e64 s[4:5], s15, v4
	v_ldexp_f32 v4, v5, v9
	v_cndmask_b32_e32 v4, 0, v4, vcc
	v_cndmask_b32_e64 v4, v7, v4, s[4:5]
	v_cvt_f16_f32_e32 v5, v4
	v_fma_f32 v40, v40, v4, v6
	v_sub_f32_e32 v4, v11, v45
	v_cmp_ngt_f32_e32 vcc, s9, v4
	v_mul_u32_u24_e32 v34, 0x10001, v5
	v_mul_f32_e32 v5, 0x3fb8aa3b, v4
	v_fma_f32 v6, v4, s8, -v5
	v_rndne_f32_e32 v8, v5
	v_fmac_f32_e32 v6, 0x32a5705f, v4
	v_sub_f32_e32 v5, v5, v8
	v_add_f32_e32 v5, v5, v6
	v_cvt_i32_f32_e32 v8, v8
	v_exp_f32_e32 v5, v5
	v_cmp_nlt_f32_e64 s[4:5], s15, v4
	v_pk_mul_f16 v13, v30, v34
	v_pk_mul_f16 v14, v29, v34
	v_ldexp_f32 v4, v5, v8
	v_cndmask_b32_e32 v4, 0, v4, vcc
	v_cndmask_b32_e64 v4, v7, v4, s[4:5]
	v_cvt_f16_f32_e32 v5, v4
	s_or_b32 s4, s12, 16
	v_pk_mul_f16 v15, v28, v34
	v_fma_f32 v41, v41, v4, v12
	v_mul_u32_u24_e32 v35, 0x10001, v5
	v_pk_mul_f16 v12, v26, v35
	v_pk_mul_f16 v39, v24, v35
	;; [unrolled: 1-line block ×3, first 2 shown]
	s_mul_hi_i32 s5, s4, s2
	s_mul_i32 s4, s4, s2
	s_lshl_b64 s[4:5], s[4:5], 2
	s_add_u32 s4, s10, s4
	s_addc_u32 s5, s11, s5
	s_add_i32 s13, s13, -16
	v_lshl_add_u64 v[36:37], s[4:5], 0, v[36:37]
	v_lshl_add_u64 v[36:37], v[36:37], 0, v[42:43]
	v_cmp_gt_i32_e32 vcc, s13, v38
	v_lshl_add_u64 v[46:47], s[4:5], 0, v[46:47]
	v_lshl_add_u64 v[46:47], v[46:47], 0, v[42:43]
	s_waitcnt vmcnt(0) lgkmcnt(0)
	ds_write_b128 v66, v[0:3]
	s_waitcnt lgkmcnt(0)
	s_barrier
	ds_read2_b64 v[0:3], v54 offset1:32
	ds_read_b128 v[8:11], v62 offset:16896
	ds_read_b128 v[16:19], v62 offset:16912
	;; [unrolled: 1-line block ×4, first 2 shown]
	ds_read2_b64 v[20:23], v54 offset0:64 offset1:96
	ds_read2_b64 v[92:95], v54 offset0:128 offset1:160
	;; [unrolled: 1-line block ×3, first 2 shown]
	ds_read2_b64 v[100:103], v63 offset1:32
	ds_read2_b64 v[28:31], v63 offset0:64 offset1:96
	ds_read2_b64 v[4:7], v63 offset0:128 offset1:160
	s_waitcnt lgkmcnt(9)
	v_mul_u32_u24_sdwa v71, v8, s6 dst_sel:DWORD dst_unused:UNUSED_PAD src0_sel:WORD_0 src1_sel:DWORD
	v_mul_u32_u24_sdwa v72, v8, s6 dst_sel:DWORD dst_unused:UNUSED_PAD src0_sel:WORD_1 src1_sel:DWORD
	v_pk_fma_f16 v75, v1, v71, v13
	v_pk_fma_f16 v76, v2, v71, v14
	;; [unrolled: 1-line block ×3, first 2 shown]
	v_pk_mul_f16 v71, v0, v71
	v_pk_mul_f16 v0, v0, v72
	v_mul_u32_u24_sdwa v73, v9, s6 dst_sel:DWORD dst_unused:UNUSED_PAD src0_sel:WORD_0 src1_sel:DWORD
	v_mul_u32_u24_sdwa v74, v9, s6 dst_sel:DWORD dst_unused:UNUSED_PAD src0_sel:WORD_1 src1_sel:DWORD
	v_pk_fma_f16 v80, v1, v72, v12
	v_pk_fma_f16 v39, v2, v72, v39
	v_pk_fma_f16 v67, v3, v72, v67
	v_pk_fma_f16 v33, v33, v34, v71
	v_pk_fma_f16 v32, v32, v35, v0
	v_mul_u32_u24_sdwa v77, v10, s6 dst_sel:DWORD dst_unused:UNUSED_PAD src0_sel:WORD_0 src1_sel:DWORD
	v_mul_u32_u24_sdwa v78, v10, s6 dst_sel:DWORD dst_unused:UNUSED_PAD src0_sel:WORD_1 src1_sel:DWORD
	s_waitcnt lgkmcnt(5)
	v_pk_fma_f16 v35, v21, v73, v75
	v_pk_fma_f16 v71, v22, v73, v76
	v_pk_fma_f16 v72, v23, v73, v79
	v_pk_fma_f16 v33, v20, v73, v33
	v_pk_fma_f16 v21, v21, v74, v80
	v_pk_fma_f16 v22, v22, v74, v39
	v_pk_fma_f16 v23, v23, v74, v67
	v_pk_fma_f16 v20, v20, v74, v32
	v_mul_u32_u24_sdwa v83, v11, s6 dst_sel:DWORD dst_unused:UNUSED_PAD src0_sel:WORD_0 src1_sel:DWORD
	v_mul_u32_u24_sdwa v87, v11, s6 dst_sel:DWORD dst_unused:UNUSED_PAD src0_sel:WORD_1 src1_sel:DWORD
	s_waitcnt lgkmcnt(4)
	v_pk_fma_f16 v32, v93, v77, v35
	v_pk_fma_f16 v35, v94, v77, v71
	v_pk_fma_f16 v39, v95, v77, v72
	;; [unrolled: 11-line block ×4, first 2 shown]
	v_pk_fma_f16 v95, v102, v104, v22
	v_pk_fma_f16 v96, v103, v34, v39
	;; [unrolled: 1-line block ×5, first 2 shown]
	v_add_u32_e32 v67, 0x1800, v54
	v_cndmask_b32_e32 v93, v68, v37, vcc
	v_cndmask_b32_e32 v92, v69, v36, vcc
	v_cmp_gt_i32_e32 vcc, s13, v70
	ds_read2_b64 v[8:11], v63 offset0:192 offset1:224
	ds_read2_b64 v[12:15], v64 offset1:32
	ds_read2_b64 v[0:3], v64 offset0:64 offset1:96
	v_mul_u32_u24_sdwa v81, v18, s6 dst_sel:DWORD dst_unused:UNUSED_PAD src0_sel:WORD_0 src1_sel:DWORD
	v_mul_u32_u24_sdwa v82, v18, s6 dst_sel:DWORD dst_unused:UNUSED_PAD src0_sel:WORD_1 src1_sel:DWORD
	v_mul_u32_u24_sdwa v75, v19, s6 dst_sel:DWORD dst_unused:UNUSED_PAD src0_sel:WORD_0 src1_sel:DWORD
	v_mul_u32_u24_sdwa v76, v19, s6 dst_sel:DWORD dst_unused:UNUSED_PAD src0_sel:WORD_1 src1_sel:DWORD
	ds_read2_b64 v[16:19], v64 offset0:128 offset1:160
	v_mul_u32_u24_sdwa v79, v88, s6 dst_sel:DWORD dst_unused:UNUSED_PAD src0_sel:WORD_0 src1_sel:DWORD
	v_mul_u32_u24_sdwa v80, v88, s6 dst_sel:DWORD dst_unused:UNUSED_PAD src0_sel:WORD_1 src1_sel:DWORD
	v_mul_u32_u24_sdwa v73, v89, s6 dst_sel:DWORD dst_unused:UNUSED_PAD src0_sel:WORD_0 src1_sel:DWORD
	v_mul_u32_u24_sdwa v74, v89, s6 dst_sel:DWORD dst_unused:UNUSED_PAD src0_sel:WORD_1 src1_sel:DWORD
	;; [unrolled: 2-line block ×3, first 2 shown]
	ds_read2_b64 v[20:23], v64 offset0:192 offset1:224
	v_mul_u32_u24_sdwa v77, v91, s6 dst_sel:DWORD dst_unused:UNUSED_PAD src0_sel:WORD_0 src1_sel:DWORD
	v_mul_u32_u24_sdwa v78, v91, s6 dst_sel:DWORD dst_unused:UNUSED_PAD src0_sel:WORD_1 src1_sel:DWORD
	ds_read2_b64 v[32:35], v67 offset1:32
	ds_read2_b64 v[36:39], v67 offset0:64 offset1:96
	v_cndmask_b32_e32 v47, v68, v47, vcc
	v_cndmask_b32_e32 v46, v69, v46, vcc
	ds_read2_b64 v[88:91], v67 offset0:128 offset1:160
	s_waitcnt lgkmcnt(9)
	v_pk_fma_f16 v42, v29, v105, v83
	v_pk_fma_f16 v68, v30, v105, v94
	v_pk_fma_f16 v69, v31, v105, v96
	v_pk_fma_f16 v70, v28, v105, v98
	v_pk_fma_f16 v83, v29, v106, v87
	v_pk_fma_f16 v87, v30, v106, v95
	v_pk_fma_f16 v96, v31, v106, v97
	v_pk_fma_f16 v97, v28, v106, v99
	ds_read2_b64 v[28:31], v67 offset0:192 offset1:224
	s_waitcnt lgkmcnt(0)
	s_barrier
	scratch_store_dword off, v43, off
	scratch_store_dwordx3 off, v[84:86], off offset:4
	flat_load_dwordx4 v[92:95], v[92:93]
	s_nop 0
	scratch_store_dword off, v43, off
	scratch_store_dwordx3 off, v[84:86], off offset:4
	v_mul_u32_u24_sdwa v43, v24, s6 dst_sel:DWORD dst_unused:UNUSED_PAD src0_sel:WORD_0 src1_sel:DWORD
	v_pk_fma_f16 v42, v5, v81, v42
	v_mul_u32_u24_sdwa v84, v24, s6 dst_sel:DWORD dst_unused:UNUSED_PAD src0_sel:WORD_1 src1_sel:DWORD
	v_mul_u32_u24_sdwa v85, v25, s6 dst_sel:DWORD dst_unused:UNUSED_PAD src0_sel:WORD_1 src1_sel:DWORD
	v_mul_u32_u24_sdwa v86, v26, s6 dst_sel:DWORD dst_unused:UNUSED_PAD src0_sel:WORD_0 src1_sel:DWORD
	v_pk_fma_f16 v5, v5, v82, v83
	v_pk_fma_f16 v42, v9, v75, v42
	;; [unrolled: 1-line block ×3, first 2 shown]
	s_waitcnt vmcnt(0) lgkmcnt(0)
	ds_write_b128 v65, v[92:95]
	v_mul_u32_u24_sdwa v65, v25, s6 dst_sel:DWORD dst_unused:UNUSED_PAD src0_sel:WORD_0 src1_sel:DWORD
	v_mul_u32_u24_sdwa v92, v26, s6 dst_sel:DWORD dst_unused:UNUSED_PAD src0_sel:WORD_1 src1_sel:DWORD
	v_mul_u32_u24_sdwa v93, v27, s6 dst_sel:DWORD dst_unused:UNUSED_PAD src0_sel:WORD_0 src1_sel:DWORD
	v_mul_u32_u24_sdwa v94, v27, s6 dst_sel:DWORD dst_unused:UNUSED_PAD src0_sel:WORD_1 src1_sel:DWORD
	flat_load_dwordx4 v[24:27], v[46:47]
	v_pk_fma_f16 v46, v6, v81, v68
	v_pk_fma_f16 v6, v6, v82, v87
	;; [unrolled: 1-line block ×76, first 2 shown]
	s_waitcnt vmcnt(0) lgkmcnt(0)
	ds_write_b128 v66, v[24:27]
	s_waitcnt lgkmcnt(0)
	s_barrier
	ds_read2_b64 v[0:3], v54 offset1:32
	ds_read_b128 v[4:7], v62 offset:16960
	ds_read_b128 v[8:11], v62 offset:16976
	;; [unrolled: 1-line block ×4, first 2 shown]
	ds_read2_b64 v[20:23], v54 offset0:64 offset1:96
	s_waitcnt lgkmcnt(4)
	v_mul_u32_u24_sdwa v24, v4, s6 dst_sel:DWORD dst_unused:UNUSED_PAD src0_sel:WORD_0 src1_sel:DWORD
	v_mul_u32_u24_sdwa v4, v4, s6 dst_sel:DWORD dst_unused:UNUSED_PAD src0_sel:WORD_1 src1_sel:DWORD
	v_mul_u32_u24_sdwa v25, v5, s6 dst_sel:DWORD dst_unused:UNUSED_PAD src0_sel:WORD_0 src1_sel:DWORD
	v_mul_u32_u24_sdwa v5, v5, s6 dst_sel:DWORD dst_unused:UNUSED_PAD src0_sel:WORD_1 src1_sel:DWORD
	v_pk_fma_f16 v26, v0, v24, v35
	v_pk_fma_f16 v0, v0, v4, v28
	;; [unrolled: 1-line block ×8, first 2 shown]
	s_waitcnt lgkmcnt(0)
	v_pk_fma_f16 v26, v20, v25, v26
	v_pk_fma_f16 v20, v20, v5, v0
	;; [unrolled: 1-line block ×6, first 2 shown]
	ds_read2_b64 v[0:3], v54 offset0:128 offset1:160
	v_pk_fma_f16 v4, v23, v5, v4
	v_mul_u32_u24_sdwa v5, v6, s6 dst_sel:DWORD dst_unused:UNUSED_PAD src0_sel:WORD_0 src1_sel:DWORD
	v_mul_u32_u24_sdwa v6, v6, s6 dst_sel:DWORD dst_unused:UNUSED_PAD src0_sel:WORD_1 src1_sel:DWORD
	v_pk_fma_f16 v24, v23, v25, v24
	s_waitcnt lgkmcnt(0)
	v_pk_fma_f16 v25, v0, v5, v26
	v_pk_fma_f16 v0, v0, v6, v20
	;; [unrolled: 1-line block ×6, first 2 shown]
	ds_read2_b64 v[20:23], v54 offset0:192 offset1:224
	v_pk_fma_f16 v4, v3, v6, v4
	v_mul_u32_u24_sdwa v6, v7, s6 dst_sel:DWORD dst_unused:UNUSED_PAD src0_sel:WORD_0 src1_sel:DWORD
	v_mul_u32_u24_sdwa v7, v7, s6 dst_sel:DWORD dst_unused:UNUSED_PAD src0_sel:WORD_1 src1_sel:DWORD
	v_pk_fma_f16 v5, v3, v5, v24
	s_waitcnt lgkmcnt(0)
	v_pk_fma_f16 v24, v20, v6, v25
	v_pk_fma_f16 v20, v20, v7, v0
	;; [unrolled: 1-line block ×6, first 2 shown]
	ds_read2_b64 v[0:3], v63 offset1:32
	v_pk_fma_f16 v27, v23, v6, v5
	v_pk_fma_f16 v23, v23, v7, v4
	ds_read2_b64 v[4:7], v63 offset0:64 offset1:96
	v_mul_u32_u24_sdwa v28, v8, s6 dst_sel:DWORD dst_unused:UNUSED_PAD src0_sel:WORD_0 src1_sel:DWORD
	v_mul_u32_u24_sdwa v8, v8, s6 dst_sel:DWORD dst_unused:UNUSED_PAD src0_sel:WORD_1 src1_sel:DWORD
	s_waitcnt lgkmcnt(1)
	v_pk_fma_f16 v24, v0, v28, v24
	v_pk_fma_f16 v0, v0, v8, v20
	v_pk_fma_f16 v20, v1, v28, v25
	v_pk_fma_f16 v1, v1, v8, v21
	v_pk_fma_f16 v21, v2, v28, v26
	v_pk_fma_f16 v2, v2, v8, v22
	v_pk_fma_f16 v8, v3, v8, v23
	v_mul_u32_u24_sdwa v23, v9, s6 dst_sel:DWORD dst_unused:UNUSED_PAD src0_sel:WORD_0 src1_sel:DWORD
	v_mul_u32_u24_sdwa v9, v9, s6 dst_sel:DWORD dst_unused:UNUSED_PAD src0_sel:WORD_1 src1_sel:DWORD
	v_pk_fma_f16 v22, v3, v28, v27
	s_waitcnt lgkmcnt(0)
	v_pk_fma_f16 v24, v4, v23, v24
	v_pk_fma_f16 v4, v4, v9, v0
	;; [unrolled: 1-line block ×6, first 2 shown]
	ds_read2_b64 v[0:3], v63 offset0:128 offset1:160
	v_pk_fma_f16 v8, v7, v9, v8
	v_mul_u32_u24_sdwa v9, v10, s6 dst_sel:DWORD dst_unused:UNUSED_PAD src0_sel:WORD_0 src1_sel:DWORD
	v_mul_u32_u24_sdwa v10, v10, s6 dst_sel:DWORD dst_unused:UNUSED_PAD src0_sel:WORD_1 src1_sel:DWORD
	v_pk_fma_f16 v22, v7, v23, v22
	s_waitcnt lgkmcnt(0)
	v_pk_fma_f16 v23, v0, v9, v24
	v_pk_fma_f16 v0, v0, v10, v4
	v_pk_fma_f16 v20, v1, v9, v20
	v_pk_fma_f16 v1, v1, v10, v5
	v_pk_fma_f16 v21, v2, v9, v21
	v_pk_fma_f16 v2, v2, v10, v6
	ds_read2_b64 v[4:7], v63 offset0:192 offset1:224
	v_pk_fma_f16 v8, v3, v10, v8
	v_mul_u32_u24_sdwa v10, v11, s6 dst_sel:DWORD dst_unused:UNUSED_PAD src0_sel:WORD_0 src1_sel:DWORD
	v_mul_u32_u24_sdwa v11, v11, s6 dst_sel:DWORD dst_unused:UNUSED_PAD src0_sel:WORD_1 src1_sel:DWORD
	v_pk_fma_f16 v9, v3, v9, v22
	s_waitcnt lgkmcnt(0)
	v_pk_fma_f16 v22, v4, v10, v23
	v_pk_fma_f16 v4, v4, v11, v0
	;; [unrolled: 1-line block ×6, first 2 shown]
	ds_read2_b64 v[0:3], v64 offset1:32
	v_pk_fma_f16 v9, v7, v10, v9
	v_pk_fma_f16 v8, v7, v11, v8
	v_mul_u32_u24_sdwa v10, v12, s6 dst_sel:DWORD dst_unused:UNUSED_PAD src0_sel:WORD_0 src1_sel:DWORD
	v_mul_u32_u24_sdwa v11, v12, s6 dst_sel:DWORD dst_unused:UNUSED_PAD src0_sel:WORD_1 src1_sel:DWORD
	s_waitcnt lgkmcnt(0)
	v_pk_fma_f16 v12, v0, v10, v22
	v_pk_fma_f16 v0, v0, v11, v4
	v_pk_fma_f16 v20, v1, v10, v20
	v_pk_fma_f16 v1, v1, v11, v5
	v_pk_fma_f16 v21, v2, v10, v21
	v_pk_fma_f16 v2, v2, v11, v6
	ds_read2_b64 v[4:7], v64 offset0:64 offset1:96
	v_pk_fma_f16 v9, v3, v10, v9
	v_pk_fma_f16 v8, v3, v11, v8
	v_mul_u32_u24_sdwa v10, v13, s6 dst_sel:DWORD dst_unused:UNUSED_PAD src0_sel:WORD_0 src1_sel:DWORD
	v_mul_u32_u24_sdwa v11, v13, s6 dst_sel:DWORD dst_unused:UNUSED_PAD src0_sel:WORD_1 src1_sel:DWORD
	s_waitcnt lgkmcnt(0)
	v_pk_fma_f16 v12, v4, v10, v12
	v_pk_fma_f16 v4, v4, v11, v0
	v_pk_fma_f16 v13, v5, v10, v20
	v_pk_fma_f16 v5, v5, v11, v1
	v_pk_fma_f16 v20, v6, v10, v21
	v_pk_fma_f16 v6, v6, v11, v2
	ds_read2_b64 v[0:3], v64 offset0:128 offset1:160
	;; [unrolled: 12-line block ×3, first 2 shown]
	v_pk_fma_f16 v9, v3, v10, v9
	v_pk_fma_f16 v8, v3, v11, v8
	v_mul_u32_u24_sdwa v10, v15, s6 dst_sel:DWORD dst_unused:UNUSED_PAD src0_sel:WORD_0 src1_sel:DWORD
	v_mul_u32_u24_sdwa v11, v15, s6 dst_sel:DWORD dst_unused:UNUSED_PAD src0_sel:WORD_1 src1_sel:DWORD
	s_waitcnt lgkmcnt(0)
	v_pk_fma_f16 v12, v4, v10, v12
	v_pk_fma_f16 v4, v4, v11, v0
	;; [unrolled: 1-line block ×6, first 2 shown]
	ds_read2_b64 v[0:3], v67 offset1:32
	v_pk_fma_f16 v9, v7, v10, v9
	v_pk_fma_f16 v8, v7, v11, v8
	v_mul_u32_u24_sdwa v10, v16, s6 dst_sel:DWORD dst_unused:UNUSED_PAD src0_sel:WORD_0 src1_sel:DWORD
	v_mul_u32_u24_sdwa v11, v16, s6 dst_sel:DWORD dst_unused:UNUSED_PAD src0_sel:WORD_1 src1_sel:DWORD
	s_waitcnt lgkmcnt(0)
	v_pk_fma_f16 v12, v0, v10, v12
	v_pk_fma_f16 v0, v0, v11, v4
	v_pk_fma_f16 v13, v1, v10, v13
	v_pk_fma_f16 v1, v1, v11, v5
	v_pk_fma_f16 v14, v2, v10, v14
	v_pk_fma_f16 v2, v2, v11, v6
	ds_read2_b64 v[4:7], v67 offset0:64 offset1:96
	v_pk_fma_f16 v9, v3, v10, v9
	v_pk_fma_f16 v8, v3, v11, v8
	v_mul_u32_u24_sdwa v10, v17, s6 dst_sel:DWORD dst_unused:UNUSED_PAD src0_sel:WORD_0 src1_sel:DWORD
	v_mul_u32_u24_sdwa v11, v17, s6 dst_sel:DWORD dst_unused:UNUSED_PAD src0_sel:WORD_1 src1_sel:DWORD
	s_waitcnt lgkmcnt(0)
	v_pk_fma_f16 v12, v4, v10, v12
	v_pk_fma_f16 v4, v4, v11, v0
	v_pk_fma_f16 v13, v5, v10, v13
	v_pk_fma_f16 v5, v5, v11, v1
	v_pk_fma_f16 v14, v6, v10, v14
	v_pk_fma_f16 v6, v6, v11, v2
	ds_read2_b64 v[0:3], v67 offset0:128 offset1:160
	;; [unrolled: 12-line block ×3, first 2 shown]
	v_pk_fma_f16 v9, v3, v10, v9
	v_pk_fma_f16 v3, v3, v11, v8
	v_mul_u32_u24_sdwa v8, v19, s6 dst_sel:DWORD dst_unused:UNUSED_PAD src0_sel:WORD_0 src1_sel:DWORD
	v_mul_u32_u24_sdwa v10, v19, s6 dst_sel:DWORD dst_unused:UNUSED_PAD src0_sel:WORD_1 src1_sel:DWORD
	s_waitcnt lgkmcnt(0)
	v_pk_fma_f16 v33, v4, v8, v12
	v_pk_fma_f16 v32, v4, v10, v0
	;; [unrolled: 1-line block ×8, first 2 shown]
	v_mov_b64_e32 v[10:11], v[44:45]
	s_barrier
.LBB46_29:
	v_cmp_lt_i32_e32 vcc, v57, v56
	s_cmp_eq_u64 s[16:17], 0
	s_cselect_b64 s[4:5], -1, 0
	v_cndmask_b32_e32 v0, v55, v57, vcc
	v_lshlrev_b32_e32 v1, 2, v0
	ds_bpermute_b32 v0, v1, v40
	ds_bpermute_b32 v1, v1, v41
	v_cmp_lt_i32_e32 vcc, v58, v56
	s_cmp_lg_u32 s3, 0
	s_cselect_b64 s[6:7], -1, 0
	v_cndmask_b32_e32 v2, v55, v58, vcc
	v_lshlrev_b32_e32 v3, 2, v2
	s_waitcnt lgkmcnt(0)
	v_pk_add_f32 v[0:1], v[40:41], v[0:1]
	ds_bpermute_b32 v2, v3, v0
	ds_bpermute_b32 v3, v3, v1
	v_cmp_lt_i32_e32 vcc, v59, v56
	s_or_b64 s[4:5], s[6:7], s[4:5]
	s_waitcnt lgkmcnt(0)
	v_pk_add_f32 v[0:1], v[0:1], v[2:3]
	v_cndmask_b32_e32 v4, v55, v59, vcc
	v_lshlrev_b32_e32 v4, 2, v4
	ds_bpermute_b32 v2, v4, v0
	ds_bpermute_b32 v3, v4, v1
	v_cmp_lt_i32_e32 vcc, v60, v56
	s_waitcnt lgkmcnt(0)
	v_pk_add_f32 v[0:1], v[0:1], v[2:3]
	v_cndmask_b32_e32 v4, v55, v60, vcc
	v_lshlrev_b32_e32 v4, 2, v4
	ds_bpermute_b32 v2, v4, v0
	ds_bpermute_b32 v3, v4, v1
	v_cmp_lt_i32_e32 vcc, v61, v56
	s_waitcnt lgkmcnt(0)
	v_pk_add_f32 v[0:1], v[0:1], v[2:3]
	v_cndmask_b32_e32 v4, v55, v61, vcc
	v_lshlrev_b32_e32 v4, 2, v4
	ds_bpermute_b32 v2, v4, v0
	ds_bpermute_b32 v3, v4, v1
	s_and_b64 vcc, exec, s[4:5]
	s_waitcnt lgkmcnt(0)
	v_pk_add_f32 v[0:1], v[0:1], v[2:3]
	s_cbranch_vccnz .LBB46_31
; %bb.30:
	s_lshl_b64 s[4:5], s[34:35], 2
	s_add_u32 s4, s16, s4
	s_addc_u32 s5, s17, s5
	v_mov_b32_e32 v2, 0
	global_load_dword v4, v2, s[4:5]
	v_max_f32_e32 v2, v10, v10
	v_max_f32_e32 v3, v11, v11
	s_mov_b32 s2, 0x3fb8aa3b
	s_mov_b32 s4, 0xc2ce8ed0
	;; [unrolled: 1-line block ×3, first 2 shown]
	v_mov_b32_e32 v7, 0x7f800000
	s_waitcnt vmcnt(0)
	v_max_f32_e32 v5, v4, v4
	v_max_f32_e32 v2, v2, v5
	v_max_f32_e32 v3, v3, v5
	v_sub_f32_e32 v5, v10, v2
	v_sub_f32_e32 v6, v4, v2
	;; [unrolled: 1-line block ×3, first 2 shown]
	v_mul_f32_e32 v4, 0x3fb8aa3b, v5
	v_sub_f32_e32 v8, v11, v3
	v_mul_f32_e32 v10, 0x3fb8aa3b, v6
	v_fma_f32 v13, v5, s2, -v4
	v_rndne_f32_e32 v14, v4
	v_mul_f32_e32 v11, 0x3fb8aa3b, v8
	v_fma_f32 v15, v6, s2, -v10
	v_rndne_f32_e32 v16, v10
	v_fmac_f32_e32 v13, 0x32a5705f, v5
	v_sub_f32_e32 v4, v4, v14
	v_mul_f32_e32 v12, 0x3fb8aa3b, v9
	v_fma_f32 v17, v8, s2, -v11
	v_rndne_f32_e32 v18, v11
	v_fmac_f32_e32 v15, 0x32a5705f, v6
	v_sub_f32_e32 v10, v10, v16
	v_add_f32_e32 v4, v4, v13
	v_fma_f32 v19, v9, s2, -v12
	v_rndne_f32_e32 v20, v12
	v_cvt_i32_f32_e32 v14, v14
	v_fmac_f32_e32 v17, 0x32a5705f, v8
	v_sub_f32_e32 v11, v11, v18
	v_add_f32_e32 v10, v10, v15
	v_exp_f32_e32 v4, v4
	v_cvt_i32_f32_e32 v16, v16
	v_fmac_f32_e32 v19, 0x32a5705f, v9
	v_sub_f32_e32 v12, v12, v20
	v_add_f32_e32 v11, v11, v17
	v_exp_f32_e32 v10, v10
	v_cvt_i32_f32_e32 v18, v18
	v_add_f32_e32 v12, v12, v19
	v_exp_f32_e32 v11, v11
	v_cvt_i32_f32_e32 v20, v20
	v_exp_f32_e32 v12, v12
	v_ldexp_f32 v4, v4, v14
	v_cmp_ngt_f32_e32 vcc, s4, v5
	v_ldexp_f32 v10, v10, v16
	v_ldexp_f32 v11, v11, v18
	v_cndmask_b32_e32 v4, 0, v4, vcc
	v_cmp_ngt_f32_e32 vcc, s4, v6
	v_ldexp_f32 v12, v12, v20
	s_nop 0
	v_cndmask_b32_e32 v10, 0, v10, vcc
	v_cmp_ngt_f32_e32 vcc, s4, v8
	s_nop 1
	v_cndmask_b32_e32 v11, 0, v11, vcc
	v_cmp_ngt_f32_e32 vcc, s4, v9
	s_nop 1
	v_cndmask_b32_e32 v12, 0, v12, vcc
	v_cmp_nlt_f32_e32 vcc, s5, v5
	s_nop 1
	v_cndmask_b32_e32 v4, v7, v4, vcc
	v_cmp_nlt_f32_e32 vcc, s5, v6
	;; [unrolled: 3-line block ×3, first 2 shown]
	v_cvt_f16_f32_e32 v8, v4
	s_nop 0
	v_cndmask_b32_e32 v5, v7, v11, vcc
	v_cvt_f16_f32_e32 v10, v5
	v_cmp_nlt_f32_e32 vcc, s5, v9
	s_nop 1
	v_cndmask_b32_e32 v7, v7, v12, vcc
	v_pk_fma_f32 v[0:1], v[0:1], v[4:5], v[6:7]
	v_mul_u32_u24_e32 v4, 0x10001, v8
	v_mul_u32_u24_e32 v5, 0x10001, v10
	v_pk_mul_f16 v33, v33, v4
	v_pk_mul_f16 v30, v30, v4
	v_pk_mul_f16 v29, v29, v4
	v_pk_mul_f16 v28, v28, v4
	v_pk_mul_f16 v32, v32, v5
	v_pk_mul_f16 v26, v26, v5
	v_pk_mul_f16 v24, v24, v5
	v_pk_mul_f16 v25, v25, v5
	v_mov_b64_e32 v[10:11], v[2:3]
.LBB46_31:
	v_cmp_gt_i32_e32 vcc, s26, v53
	s_and_saveexec_b64 s[4:5], vcc
	s_cbranch_execz .LBB46_41
; %bb.32:
	s_load_dword s2, s[0:1], 0xd4
	v_mov_b32_e32 v2, 1.0
	s_waitcnt lgkmcnt(0)
	s_cmp_lg_u32 s2, 1
	s_cselect_b64 s[4:5], -1, 0
	s_cmp_eq_u32 s2, 1
	s_cselect_b64 s[0:1], -1, 0
	s_and_b64 vcc, exec, s[4:5]
	s_cbranch_vccnz .LBB46_34
; %bb.33:
	v_div_scale_f32 v2, s[6:7], v0, v0, 1.0
	v_rcp_f32_e32 v3, v2
	v_div_scale_f32 v4, vcc, 1.0, v0, 1.0
	v_fma_f32 v5, -v2, v3, 1.0
	v_fmac_f32_e32 v3, v5, v3
	v_mul_f32_e32 v5, v4, v3
	v_fma_f32 v6, -v2, v5, v4
	v_fmac_f32_e32 v5, v6, v3
	v_fma_f32 v2, -v2, v5, v4
	v_div_fmas_f32 v2, v2, v3, v5
	v_div_fixup_f32 v2, v2, v0, 1.0
.LBB46_34:
	s_mul_i32 s8, s33, s26
	s_add_i32 s8, s8, s14
	v_add_u32_e32 v3, s8, v51
	v_mul_lo_u32 v3, v3, s27
	v_add_u32_e32 v3, s34, v3
	v_cvt_f32_f16_sdwa v7, v33 dst_sel:DWORD dst_unused:UNUSED_PAD src0_sel:WORD_1
	v_cvt_f32_f16_e32 v6, v33
	v_cvt_f32_f16_sdwa v9, v30 dst_sel:DWORD dst_unused:UNUSED_PAD src0_sel:WORD_1
	v_cvt_f32_f16_e32 v8, v30
	v_mul_lo_u32 v3, s2, v3
	v_add_u32_e32 v4, s3, v3
	v_lshl_add_u32 v12, v4, 8, v49
	v_mov_b32_e32 v13, 0
	v_lshl_add_u64 v[14:15], v[12:13], 2, s[20:21]
	v_pk_mul_f32 v[6:7], v[2:3], v[6:7] op_sel_hi:[0,1]
	v_pk_mul_f32 v[8:9], v[2:3], v[8:9] op_sel_hi:[0,1]
	global_store_dwordx4 v[14:15], v[6:9], off
	v_cmp_eq_u32_e32 vcc, 0, v52
	v_add_u32_e32 v12, 0x80, v12
	v_cvt_f32_f16_sdwa v7, v29 dst_sel:DWORD dst_unused:UNUSED_PAD src0_sel:WORD_1
	v_cvt_f32_f16_e32 v6, v29
	v_cvt_f32_f16_sdwa v9, v28 dst_sel:DWORD dst_unused:UNUSED_PAD src0_sel:WORD_1
	v_cvt_f32_f16_e32 v8, v28
	v_lshl_add_u64 v[12:13], v[12:13], 2, s[20:21]
	v_pk_mul_f32 v[6:7], v[2:3], v[6:7] op_sel_hi:[0,1]
	s_and_b64 s[4:5], vcc, s[4:5]
	v_pk_mul_f32 v[8:9], v[2:3], v[8:9] op_sel_hi:[0,1]
	global_store_dwordx4 v[12:13], v[6:9], off
	s_and_saveexec_b64 s[6:7], s[4:5]
	s_cbranch_execz .LBB46_36
; %bb.35:
	v_ashrrev_i32_e32 v5, 31, v4
	v_lshl_add_u64 v[2:3], v[4:5], 3, s[22:23]
	v_mov_b32_e32 v4, v10
	v_mov_b32_e32 v5, v0
	global_store_dwordx2 v[2:3], v[4:5], off
.LBB46_36:
	s_or_b64 exec, exec, s[6:7]
	v_cmp_gt_i32_e32 vcc, s26, v50
	s_and_b64 exec, exec, vcc
	s_cbranch_execz .LBB46_41
; %bb.37:
	s_andn2_b64 vcc, exec, s[0:1]
	v_mov_b32_e32 v0, 1.0
	s_cbranch_vccnz .LBB46_39
; %bb.38:
	v_div_scale_f32 v0, s[0:1], v1, v1, 1.0
	v_rcp_f32_e32 v2, v0
	v_div_scale_f32 v3, vcc, 1.0, v1, 1.0
	v_fma_f32 v4, -v0, v2, 1.0
	v_fmac_f32_e32 v2, v4, v2
	v_mul_f32_e32 v4, v3, v2
	v_fma_f32 v5, -v0, v4, v3
	v_fmac_f32_e32 v4, v5, v2
	v_fma_f32 v0, -v0, v4, v3
	v_div_fmas_f32 v0, v0, v2, v4
	v_div_fixup_f32 v0, v0, v1, 1.0
.LBB46_39:
	v_add_u32_e32 v2, s8, v48
	v_mul_lo_u32 v2, v2, s27
	v_add_u32_e32 v2, s34, v2
	v_cvt_f32_f16_sdwa v5, v32 dst_sel:DWORD dst_unused:UNUSED_PAD src0_sel:WORD_1
	v_cvt_f32_f16_e32 v4, v32
	v_cvt_f32_f16_sdwa v7, v26 dst_sel:DWORD dst_unused:UNUSED_PAD src0_sel:WORD_1
	v_cvt_f32_f16_e32 v6, v26
	v_mul_lo_u32 v2, s2, v2
	v_add_u32_e32 v2, s3, v2
	v_lshl_add_u32 v8, v2, 8, v49
	v_mov_b32_e32 v9, 0
	v_lshl_add_u64 v[12:13], v[8:9], 2, s[20:21]
	v_pk_mul_f32 v[4:5], v[0:1], v[4:5] op_sel_hi:[0,1]
	v_pk_mul_f32 v[6:7], v[0:1], v[6:7] op_sel_hi:[0,1]
	global_store_dwordx4 v[12:13], v[4:7], off
	v_add_u32_e32 v8, 0x80, v8
	v_lshl_add_u64 v[8:9], v[8:9], 2, s[20:21]
	v_cvt_f32_f16_sdwa v5, v24 dst_sel:DWORD dst_unused:UNUSED_PAD src0_sel:WORD_1
	v_cvt_f32_f16_e32 v4, v24
	v_cvt_f32_f16_sdwa v7, v25 dst_sel:DWORD dst_unused:UNUSED_PAD src0_sel:WORD_1
	v_cvt_f32_f16_e32 v6, v25
	v_pk_mul_f32 v[4:5], v[0:1], v[4:5] op_sel_hi:[0,1]
	v_pk_mul_f32 v[6:7], v[0:1], v[6:7] op_sel_hi:[0,1]
	global_store_dwordx4 v[8:9], v[4:7], off
	s_and_b64 exec, exec, s[4:5]
	s_cbranch_execz .LBB46_41
; %bb.40:
	v_ashrrev_i32_e32 v3, 31, v2
	v_lshl_add_u64 v[2:3], v[2:3], 3, s[22:23]
	v_mov_b32_e32 v0, v11
	global_store_dwordx2 v[2:3], v[0:1], off
.LBB46_41:
	s_endpgm
	.section	.rodata,"a",@progbits
	.p2align	6, 0x0
	.amdhsa_kernel _ZL15flash_attn_tileILi256ELi256ELi16ELi1ELb0EEvPKcS1_S1_S1_S1_PKiPfP15HIP_vector_typeIfLj2EEffffjfiS5_IjLj3EEiiiiiiiiiiiliiliiiiil
		.amdhsa_group_segment_fixed_size 17920
		.amdhsa_private_segment_fixed_size 32
		.amdhsa_kernarg_size 464
		.amdhsa_user_sgpr_count 2
		.amdhsa_user_sgpr_dispatch_ptr 0
		.amdhsa_user_sgpr_queue_ptr 0
		.amdhsa_user_sgpr_kernarg_segment_ptr 1
		.amdhsa_user_sgpr_dispatch_id 0
		.amdhsa_user_sgpr_kernarg_preload_length 0
		.amdhsa_user_sgpr_kernarg_preload_offset 0
		.amdhsa_user_sgpr_private_segment_size 0
		.amdhsa_uses_dynamic_stack 0
		.amdhsa_enable_private_segment 1
		.amdhsa_system_sgpr_workgroup_id_x 1
		.amdhsa_system_sgpr_workgroup_id_y 1
		.amdhsa_system_sgpr_workgroup_id_z 1
		.amdhsa_system_sgpr_workgroup_info 0
		.amdhsa_system_vgpr_workitem_id 1
		.amdhsa_next_free_vgpr 107
		.amdhsa_next_free_sgpr 48
		.amdhsa_accum_offset 108
		.amdhsa_reserve_vcc 1
		.amdhsa_float_round_mode_32 0
		.amdhsa_float_round_mode_16_64 0
		.amdhsa_float_denorm_mode_32 3
		.amdhsa_float_denorm_mode_16_64 3
		.amdhsa_dx10_clamp 1
		.amdhsa_ieee_mode 1
		.amdhsa_fp16_overflow 0
		.amdhsa_tg_split 0
		.amdhsa_exception_fp_ieee_invalid_op 0
		.amdhsa_exception_fp_denorm_src 0
		.amdhsa_exception_fp_ieee_div_zero 0
		.amdhsa_exception_fp_ieee_overflow 0
		.amdhsa_exception_fp_ieee_underflow 0
		.amdhsa_exception_fp_ieee_inexact 0
		.amdhsa_exception_int_div_zero 0
	.end_amdhsa_kernel
	.section	.text._ZL15flash_attn_tileILi256ELi256ELi16ELi1ELb0EEvPKcS1_S1_S1_S1_PKiPfP15HIP_vector_typeIfLj2EEffffjfiS5_IjLj3EEiiiiiiiiiiiliiliiiiil,"axG",@progbits,_ZL15flash_attn_tileILi256ELi256ELi16ELi1ELb0EEvPKcS1_S1_S1_S1_PKiPfP15HIP_vector_typeIfLj2EEffffjfiS5_IjLj3EEiiiiiiiiiiiliiliiiiil,comdat
.Lfunc_end46:
	.size	_ZL15flash_attn_tileILi256ELi256ELi16ELi1ELb0EEvPKcS1_S1_S1_S1_PKiPfP15HIP_vector_typeIfLj2EEffffjfiS5_IjLj3EEiiiiiiiiiiiliiliiiiil, .Lfunc_end46-_ZL15flash_attn_tileILi256ELi256ELi16ELi1ELb0EEvPKcS1_S1_S1_S1_PKiPfP15HIP_vector_typeIfLj2EEffffjfiS5_IjLj3EEiiiiiiiiiiiliiliiiiil
                                        ; -- End function
	.set _ZL15flash_attn_tileILi256ELi256ELi16ELi1ELb0EEvPKcS1_S1_S1_S1_PKiPfP15HIP_vector_typeIfLj2EEffffjfiS5_IjLj3EEiiiiiiiiiiiliiliiiiil.num_vgpr, 107
	.set _ZL15flash_attn_tileILi256ELi256ELi16ELi1ELb0EEvPKcS1_S1_S1_S1_PKiPfP15HIP_vector_typeIfLj2EEffffjfiS5_IjLj3EEiiiiiiiiiiiliiliiiiil.num_agpr, 0
	.set _ZL15flash_attn_tileILi256ELi256ELi16ELi1ELb0EEvPKcS1_S1_S1_S1_PKiPfP15HIP_vector_typeIfLj2EEffffjfiS5_IjLj3EEiiiiiiiiiiiliiliiiiil.numbered_sgpr, 48
	.set _ZL15flash_attn_tileILi256ELi256ELi16ELi1ELb0EEvPKcS1_S1_S1_S1_PKiPfP15HIP_vector_typeIfLj2EEffffjfiS5_IjLj3EEiiiiiiiiiiiliiliiiiil.num_named_barrier, 0
	.set _ZL15flash_attn_tileILi256ELi256ELi16ELi1ELb0EEvPKcS1_S1_S1_S1_PKiPfP15HIP_vector_typeIfLj2EEffffjfiS5_IjLj3EEiiiiiiiiiiiliiliiiiil.private_seg_size, 32
	.set _ZL15flash_attn_tileILi256ELi256ELi16ELi1ELb0EEvPKcS1_S1_S1_S1_PKiPfP15HIP_vector_typeIfLj2EEffffjfiS5_IjLj3EEiiiiiiiiiiiliiliiiiil.uses_vcc, 1
	.set _ZL15flash_attn_tileILi256ELi256ELi16ELi1ELb0EEvPKcS1_S1_S1_S1_PKiPfP15HIP_vector_typeIfLj2EEffffjfiS5_IjLj3EEiiiiiiiiiiiliiliiiiil.uses_flat_scratch, 0
	.set _ZL15flash_attn_tileILi256ELi256ELi16ELi1ELb0EEvPKcS1_S1_S1_S1_PKiPfP15HIP_vector_typeIfLj2EEffffjfiS5_IjLj3EEiiiiiiiiiiiliiliiiiil.has_dyn_sized_stack, 0
	.set _ZL15flash_attn_tileILi256ELi256ELi16ELi1ELb0EEvPKcS1_S1_S1_S1_PKiPfP15HIP_vector_typeIfLj2EEffffjfiS5_IjLj3EEiiiiiiiiiiiliiliiiiil.has_recursion, 0
	.set _ZL15flash_attn_tileILi256ELi256ELi16ELi1ELb0EEvPKcS1_S1_S1_S1_PKiPfP15HIP_vector_typeIfLj2EEffffjfiS5_IjLj3EEiiiiiiiiiiiliiliiiiil.has_indirect_call, 0
	.section	.AMDGPU.csdata,"",@progbits
; Kernel info:
; codeLenInByte = 25224
; TotalNumSgprs: 54
; NumVgprs: 107
; NumAgprs: 0
; TotalNumVgprs: 107
; ScratchSize: 32
; MemoryBound: 0
; FloatMode: 240
; IeeeMode: 1
; LDSByteSize: 17920 bytes/workgroup (compile time only)
; SGPRBlocks: 6
; VGPRBlocks: 13
; NumSGPRsForWavesPerEU: 54
; NumVGPRsForWavesPerEU: 107
; AccumOffset: 108
; Occupancy: 4
; WaveLimiterHint : 1
; COMPUTE_PGM_RSRC2:SCRATCH_EN: 1
; COMPUTE_PGM_RSRC2:USER_SGPR: 2
; COMPUTE_PGM_RSRC2:TRAP_HANDLER: 0
; COMPUTE_PGM_RSRC2:TGID_X_EN: 1
; COMPUTE_PGM_RSRC2:TGID_Y_EN: 1
; COMPUTE_PGM_RSRC2:TGID_Z_EN: 1
; COMPUTE_PGM_RSRC2:TIDIG_COMP_CNT: 1
; COMPUTE_PGM_RSRC3_GFX90A:ACCUM_OFFSET: 26
; COMPUTE_PGM_RSRC3_GFX90A:TG_SPLIT: 0
	.section	.text._ZL33flash_attn_stream_k_fixup_uniformILi256ELi16ELi1EEvPfPK15HIP_vector_typeIfLj2EEiiiiiiS1_IjLj3EES5_S5_,"axG",@progbits,_ZL33flash_attn_stream_k_fixup_uniformILi256ELi16ELi1EEvPfPK15HIP_vector_typeIfLj2EEiiiiiiS1_IjLj3EES5_S5_,comdat
	.globl	_ZL33flash_attn_stream_k_fixup_uniformILi256ELi16ELi1EEvPfPK15HIP_vector_typeIfLj2EEiiiiiiS1_IjLj3EES5_S5_ ; -- Begin function _ZL33flash_attn_stream_k_fixup_uniformILi256ELi16ELi1EEvPfPK15HIP_vector_typeIfLj2EEiiiiiiS1_IjLj3EES5_S5_
	.p2align	8
	.type	_ZL33flash_attn_stream_k_fixup_uniformILi256ELi16ELi1EEvPfPK15HIP_vector_typeIfLj2EEiiiiiiS1_IjLj3EES5_S5_,@function
_ZL33flash_attn_stream_k_fixup_uniformILi256ELi16ELi1EEvPfPK15HIP_vector_typeIfLj2EEiiiiiiS1_IjLj3EES5_S5_: ; @_ZL33flash_attn_stream_k_fixup_uniformILi256ELi16ELi1EEvPfPK15HIP_vector_typeIfLj2EEiiiiiiS1_IjLj3EES5_S5_
; %bb.0:
	s_load_dwordx8 s[8:15], s[0:1], 0x1c
	s_load_dwordx2 s[6:7], s[0:1], 0x10
	s_load_dwordx4 s[20:23], s[0:1], 0x3c
	s_waitcnt lgkmcnt(0)
	s_mul_hi_u32 s5, s11, s2
	s_add_i32 s5, s2, s5
	s_lshr_b32 s5, s5, s12
	s_mul_i32 s11, s5, s13
	s_sub_i32 s11, s2, s11
	s_mul_hi_u32 s12, s11, s14
	s_add_i32 s12, s11, s12
	s_lshr_b32 s16, s12, s15
	s_mul_i32 s12, s16, s20
	s_sub_i32 s12, s11, s12
	;; [unrolled: 5-line block ×3, first 2 shown]
	s_lshl_b32 s12, s17, 4
	s_add_i32 s12, s12, s3
	s_cmp_lt_i32 s12, s6
	s_cselect_b64 s[12:13], -1, 0
	s_add_i32 s14, s11, s4
	s_cmp_lt_i32 s14, s9
	s_cselect_b64 s[14:15], -1, 0
	s_and_b64 s[12:13], s[12:13], s[14:15]
	s_andn2_b64 vcc, exec, s[12:13]
	s_cbranch_vccnz .LBB47_6
; %bb.1:
	s_load_dwordx4 s[12:15], s[0:1], 0x0
	s_mul_i32 s0, s5, s6
	s_add_i32 s0, s0, s3
	s_mul_i32 s0, s0, s7
	s_mul_i32 s16, s16, s9
	s_add_i32 s0, s0, s4
	s_add_i32 s0, s0, s16
	s_mul_i32 s1, s7, s17
	s_add_i32 s0, s0, s11
	s_lshl_b32 s1, s1, 12
	s_lshl_b32 s0, s0, 8
	s_add_i32 s1, s1, s0
	v_or_b32_e32 v4, s1, v0
	s_waitcnt lgkmcnt(0)
	v_mov_b32_e32 v2, s12
	v_mov_b32_e32 v3, s13
	v_ashrrev_i32_e32 v5, 31, v4
	v_lshl_add_u64 v[2:3], v[4:5], 2, v[2:3]
	global_load_dword v5, v[2:3], off
	s_mul_i32 s6, s10, s2
	s_add_i32 s7, s6, s10
	s_add_i32 s3, s3, s4
	s_lshl_b32 s0, s7, 4
	s_add_i32 s0, s3, s0
	s_add_i32 s0, s0, -16
	s_ashr_i32 s1, s0, 31
	s_lshl_b64 s[0:1], s[0:1], 3
	s_add_u32 s0, s14, s0
	s_addc_u32 s1, s15, s1
	s_load_dword s9, s[0:1], 0x4
	s_add_i32 s4, s7, -2
	s_cmp_lt_i32 s4, s6
	s_cbranch_scc1 .LBB47_4
; %bb.2:
	s_lshl_b32 s4, s8, 6
	s_ashr_i32 s5, s4, 31
	s_lshl_b64 s[4:5], s[4:5], 2
	s_add_u32 s4, s14, s4
	s_addc_u32 s5, s15, s5
	s_add_i32 s2, s2, 1
	s_mul_i32 s2, s10, s2
	s_load_dword s0, s[0:1], 0x0
	s_lshl_b32 s1, s3, 8
	s_lshl_b32 s10, s2, 12
	s_add_i32 s1, s1, s10
	v_or_b32_e32 v0, s1, v0
	s_lshl_b32 s1, s2, 4
	s_add_i32 s1, s3, s1
	s_lshl_b32 s2, s8, 4
	s_add_i32 s1, s1, s2
	s_add_i32 s7, s7, -1
	v_add_u32_e32 v0, 0xffffe000, v0
	s_sub_i32 s2, s1, 32
	s_waitcnt lgkmcnt(0)
	v_mov_b32_e32 v7, s0
	v_mov_b32_e32 v4, s9
	s_mov_b32 s8, 0x3fb8aa3b
	s_mov_b32 s9, 0xc2ce8ed0
	;; [unrolled: 1-line block ×3, first 2 shown]
	v_mov_b32_e32 v6, 0x7f800000
	s_mov_b32 s11, 0xc1a00000
.LBB47_3:                               ; =>This Inner Loop Header: Depth=1
	v_ashrrev_i32_e32 v1, 31, v0
	v_lshl_add_u64 v[8:9], v[0:1], 2, s[4:5]
	global_load_dword v9, v[8:9], off
	s_ashr_i32 s3, s2, 31
	s_lshl_b64 s[0:1], s[2:3], 3
	s_add_u32 s0, s14, s0
	s_addc_u32 s1, s15, s1
	s_load_dwordx2 s[0:1], s[0:1], 0x0
	v_max_f32_e32 v1, v7, v7
	s_add_i32 s7, s7, -1
	s_add_i32 s2, s2, -16
	v_add_u32_e32 v0, 0xfffff000, v0
	s_waitcnt lgkmcnt(0)
	v_max_f32_e64 v10, s0, s0
	v_max_f32_e32 v1, v1, v10
	v_sub_f32_e32 v11, s0, v1
	v_sub_f32_e32 v10, v7, v1
	v_mul_f32_e32 v12, 0x3fb8aa3b, v11
	v_mov_b32_e32 v7, v1
	v_mul_f32_e32 v1, 0x3fb8aa3b, v10
	v_fma_f32 v15, v11, s8, -v12
	v_rndne_f32_e32 v16, v12
	v_fma_f32 v13, v10, s8, -v1
	v_rndne_f32_e32 v14, v1
	v_fmac_f32_e32 v15, 0x32a5705f, v11
	v_sub_f32_e32 v12, v12, v16
	v_fmac_f32_e32 v13, 0x32a5705f, v10
	v_sub_f32_e32 v1, v1, v14
	v_add_f32_e32 v12, v12, v15
	v_cvt_i32_f32_e32 v16, v16
	v_add_f32_e32 v1, v1, v13
	v_exp_f32_e32 v12, v12
	v_cvt_i32_f32_e32 v14, v14
	v_exp_f32_e32 v1, v1
	v_cmp_ngt_f32_e32 vcc, s9, v11
	v_ldexp_f32 v12, v12, v16
	v_mov_b32_e32 v8, s1
	v_ldexp_f32 v1, v1, v14
	v_cmp_ngt_f32_e64 s[0:1], s9, v10
	v_cndmask_b32_e32 v12, 0, v12, vcc
	v_cmp_nlt_f32_e32 vcc, s10, v11
	v_cndmask_b32_e64 v1, 0, v1, s[0:1]
	v_cmp_nlt_f32_e64 s[0:1], s10, v10
	v_cndmask_b32_e32 v12, v6, v12, vcc
	v_cmp_le_f32_e32 vcc, s11, v11
	v_cndmask_b32_e64 v1, v6, v1, s[0:1]
	v_cmp_le_f32_e64 s[0:1], s11, v10
	v_cndmask_b32_e32 v12, 0, v12, vcc
	s_cmp_le_i32 s7, s6
	v_cndmask_b32_e64 v10, 0, v1, s[0:1]
	s_waitcnt vmcnt(0)
	v_pk_mul_f32 v[8:9], v[8:9], v[12:13] op_sel_hi:[1,0]
	s_nop 0
	v_pk_fma_f32 v[4:5], v[4:5], v[10:11], v[8:9] op_sel_hi:[1,0,1]
	s_cbranch_scc0 .LBB47_3
	s_branch .LBB47_5
.LBB47_4:
	s_waitcnt lgkmcnt(0)
	v_mov_b32_e32 v4, s9
.LBB47_5:
	s_waitcnt vmcnt(0)
	v_div_scale_f32 v0, s[0:1], v4, v4, v5
	v_rcp_f32_e32 v1, v0
	v_div_scale_f32 v6, vcc, v5, v4, v5
	v_fma_f32 v7, -v0, v1, 1.0
	v_fmac_f32_e32 v1, v7, v1
	v_mul_f32_e32 v7, v6, v1
	v_fma_f32 v8, -v0, v7, v6
	v_fmac_f32_e32 v7, v8, v1
	v_fma_f32 v0, -v0, v7, v6
	v_div_fmas_f32 v0, v0, v1, v7
	v_div_fixup_f32 v0, v0, v4, v5
	global_store_dword v[2:3], v0, off
.LBB47_6:
	s_endpgm
	.section	.rodata,"a",@progbits
	.p2align	6, 0x0
	.amdhsa_kernel _ZL33flash_attn_stream_k_fixup_uniformILi256ELi16ELi1EEvPfPK15HIP_vector_typeIfLj2EEiiiiiiS1_IjLj3EES5_S5_
		.amdhsa_group_segment_fixed_size 0
		.amdhsa_private_segment_fixed_size 0
		.amdhsa_kernarg_size 76
		.amdhsa_user_sgpr_count 2
		.amdhsa_user_sgpr_dispatch_ptr 0
		.amdhsa_user_sgpr_queue_ptr 0
		.amdhsa_user_sgpr_kernarg_segment_ptr 1
		.amdhsa_user_sgpr_dispatch_id 0
		.amdhsa_user_sgpr_kernarg_preload_length 0
		.amdhsa_user_sgpr_kernarg_preload_offset 0
		.amdhsa_user_sgpr_private_segment_size 0
		.amdhsa_uses_dynamic_stack 0
		.amdhsa_enable_private_segment 0
		.amdhsa_system_sgpr_workgroup_id_x 1
		.amdhsa_system_sgpr_workgroup_id_y 1
		.amdhsa_system_sgpr_workgroup_id_z 1
		.amdhsa_system_sgpr_workgroup_info 0
		.amdhsa_system_vgpr_workitem_id 0
		.amdhsa_next_free_vgpr 17
		.amdhsa_next_free_sgpr 24
		.amdhsa_accum_offset 20
		.amdhsa_reserve_vcc 1
		.amdhsa_float_round_mode_32 0
		.amdhsa_float_round_mode_16_64 0
		.amdhsa_float_denorm_mode_32 3
		.amdhsa_float_denorm_mode_16_64 3
		.amdhsa_dx10_clamp 1
		.amdhsa_ieee_mode 1
		.amdhsa_fp16_overflow 0
		.amdhsa_tg_split 0
		.amdhsa_exception_fp_ieee_invalid_op 0
		.amdhsa_exception_fp_denorm_src 0
		.amdhsa_exception_fp_ieee_div_zero 0
		.amdhsa_exception_fp_ieee_overflow 0
		.amdhsa_exception_fp_ieee_underflow 0
		.amdhsa_exception_fp_ieee_inexact 0
		.amdhsa_exception_int_div_zero 0
	.end_amdhsa_kernel
	.section	.text._ZL33flash_attn_stream_k_fixup_uniformILi256ELi16ELi1EEvPfPK15HIP_vector_typeIfLj2EEiiiiiiS1_IjLj3EES5_S5_,"axG",@progbits,_ZL33flash_attn_stream_k_fixup_uniformILi256ELi16ELi1EEvPfPK15HIP_vector_typeIfLj2EEiiiiiiS1_IjLj3EES5_S5_,comdat
.Lfunc_end47:
	.size	_ZL33flash_attn_stream_k_fixup_uniformILi256ELi16ELi1EEvPfPK15HIP_vector_typeIfLj2EEiiiiiiS1_IjLj3EES5_S5_, .Lfunc_end47-_ZL33flash_attn_stream_k_fixup_uniformILi256ELi16ELi1EEvPfPK15HIP_vector_typeIfLj2EEiiiiiiS1_IjLj3EES5_S5_
                                        ; -- End function
	.set _ZL33flash_attn_stream_k_fixup_uniformILi256ELi16ELi1EEvPfPK15HIP_vector_typeIfLj2EEiiiiiiS1_IjLj3EES5_S5_.num_vgpr, 17
	.set _ZL33flash_attn_stream_k_fixup_uniformILi256ELi16ELi1EEvPfPK15HIP_vector_typeIfLj2EEiiiiiiS1_IjLj3EES5_S5_.num_agpr, 0
	.set _ZL33flash_attn_stream_k_fixup_uniformILi256ELi16ELi1EEvPfPK15HIP_vector_typeIfLj2EEiiiiiiS1_IjLj3EES5_S5_.numbered_sgpr, 24
	.set _ZL33flash_attn_stream_k_fixup_uniformILi256ELi16ELi1EEvPfPK15HIP_vector_typeIfLj2EEiiiiiiS1_IjLj3EES5_S5_.num_named_barrier, 0
	.set _ZL33flash_attn_stream_k_fixup_uniformILi256ELi16ELi1EEvPfPK15HIP_vector_typeIfLj2EEiiiiiiS1_IjLj3EES5_S5_.private_seg_size, 0
	.set _ZL33flash_attn_stream_k_fixup_uniformILi256ELi16ELi1EEvPfPK15HIP_vector_typeIfLj2EEiiiiiiS1_IjLj3EES5_S5_.uses_vcc, 1
	.set _ZL33flash_attn_stream_k_fixup_uniformILi256ELi16ELi1EEvPfPK15HIP_vector_typeIfLj2EEiiiiiiS1_IjLj3EES5_S5_.uses_flat_scratch, 0
	.set _ZL33flash_attn_stream_k_fixup_uniformILi256ELi16ELi1EEvPfPK15HIP_vector_typeIfLj2EEiiiiiiS1_IjLj3EES5_S5_.has_dyn_sized_stack, 0
	.set _ZL33flash_attn_stream_k_fixup_uniformILi256ELi16ELi1EEvPfPK15HIP_vector_typeIfLj2EEiiiiiiS1_IjLj3EES5_S5_.has_recursion, 0
	.set _ZL33flash_attn_stream_k_fixup_uniformILi256ELi16ELi1EEvPfPK15HIP_vector_typeIfLj2EEiiiiiiS1_IjLj3EES5_S5_.has_indirect_call, 0
	.section	.AMDGPU.csdata,"",@progbits
; Kernel info:
; codeLenInByte = 816
; TotalNumSgprs: 30
; NumVgprs: 17
; NumAgprs: 0
; TotalNumVgprs: 17
; ScratchSize: 0
; MemoryBound: 0
; FloatMode: 240
; IeeeMode: 1
; LDSByteSize: 0 bytes/workgroup (compile time only)
; SGPRBlocks: 3
; VGPRBlocks: 2
; NumSGPRsForWavesPerEU: 30
; NumVGPRsForWavesPerEU: 17
; AccumOffset: 20
; Occupancy: 8
; WaveLimiterHint : 0
; COMPUTE_PGM_RSRC2:SCRATCH_EN: 0
; COMPUTE_PGM_RSRC2:USER_SGPR: 2
; COMPUTE_PGM_RSRC2:TRAP_HANDLER: 0
; COMPUTE_PGM_RSRC2:TGID_X_EN: 1
; COMPUTE_PGM_RSRC2:TGID_Y_EN: 1
; COMPUTE_PGM_RSRC2:TGID_Z_EN: 1
; COMPUTE_PGM_RSRC2:TIDIG_COMP_CNT: 0
; COMPUTE_PGM_RSRC3_GFX90A:ACCUM_OFFSET: 4
; COMPUTE_PGM_RSRC3_GFX90A:TG_SPLIT: 0
	.section	.text._ZL33flash_attn_stream_k_fixup_generalILi256ELi16ELi1EEvPfPK15HIP_vector_typeIfLj2EEiiiiS1_IjLj3EES5_S5_S5_,"axG",@progbits,_ZL33flash_attn_stream_k_fixup_generalILi256ELi16ELi1EEvPfPK15HIP_vector_typeIfLj2EEiiiiS1_IjLj3EES5_S5_S5_,comdat
	.globl	_ZL33flash_attn_stream_k_fixup_generalILi256ELi16ELi1EEvPfPK15HIP_vector_typeIfLj2EEiiiiS1_IjLj3EES5_S5_S5_ ; -- Begin function _ZL33flash_attn_stream_k_fixup_generalILi256ELi16ELi1EEvPfPK15HIP_vector_typeIfLj2EEiiiiS1_IjLj3EES5_S5_S5_
	.p2align	8
	.type	_ZL33flash_attn_stream_k_fixup_generalILi256ELi16ELi1EEvPfPK15HIP_vector_typeIfLj2EEiiiiS1_IjLj3EES5_S5_S5_,@function
_ZL33flash_attn_stream_k_fixup_generalILi256ELi16ELi1EEvPfPK15HIP_vector_typeIfLj2EEiiiiS1_IjLj3EES5_S5_S5_: ; @_ZL33flash_attn_stream_k_fixup_generalILi256ELi16ELi1EEvPfPK15HIP_vector_typeIfLj2EEiiiiS1_IjLj3EES5_S5_S5_
; %bb.0:
	s_load_dwordx4 s[8:11], s[0:1], 0x10
	s_load_dword s22, s[0:1], 0x50
	s_mov_b32 s12, 0
	s_waitcnt lgkmcnt(0)
	s_mul_hi_i32 s13, s11, s2
	s_cmp_lg_u64 s[12:13], 0
	s_mul_i32 s5, s11, s2
	s_cbranch_scc0 .LBB48_20
; %bb.1:
	s_add_u32 s6, s22, 0
	s_addc_u32 s7, 0, 0
	s_xor_b64 s[6:7], s[6:7], 0
	v_cvt_f32_u32_e32 v1, s6
	v_cvt_f32_u32_e32 v2, s7
	s_sub_u32 s12, 0, s6
	s_subb_u32 s18, 0, s7
	v_fmamk_f32 v1, v2, 0x4f800000, v1
	v_rcp_f32_e32 v1, v1
	s_nop 0
	v_mul_f32_e32 v1, 0x5f7ffffc, v1
	v_mul_f32_e32 v2, 0x2f800000, v1
	v_trunc_f32_e32 v2, v2
	v_fmamk_f32 v1, v2, 0xcf800000, v1
	v_cvt_u32_f32_e32 v2, v2
	v_cvt_u32_f32_e32 v1, v1
	v_readfirstlane_b32 s19, v2
	v_readfirstlane_b32 s14, v1
	s_mul_i32 s15, s12, s19
	s_mul_hi_u32 s21, s12, s14
	s_mul_i32 s20, s18, s14
	s_add_i32 s15, s21, s15
	s_add_i32 s15, s15, s20
	s_mul_i32 s23, s12, s14
	s_mul_i32 s21, s14, s15
	s_mul_hi_u32 s24, s14, s23
	s_mul_hi_u32 s20, s14, s15
	s_add_u32 s21, s24, s21
	s_addc_u32 s20, 0, s20
	s_mul_hi_u32 s25, s19, s23
	s_mul_i32 s23, s19, s23
	s_add_u32 s21, s21, s23
	s_mul_hi_u32 s24, s19, s15
	s_addc_u32 s20, s20, s25
	s_addc_u32 s21, s24, 0
	s_mul_i32 s15, s19, s15
	s_add_u32 s15, s20, s15
	s_addc_u32 s20, 0, s21
	s_add_u32 s21, s14, s15
	s_cselect_b64 s[14:15], -1, 0
	s_cmp_lg_u64 s[14:15], 0
	s_addc_u32 s19, s19, s20
	s_mul_i32 s14, s12, s19
	s_mul_hi_u32 s15, s12, s21
	s_add_i32 s14, s15, s14
	s_mul_i32 s18, s18, s21
	s_add_i32 s14, s14, s18
	s_mul_i32 s12, s12, s21
	s_mul_hi_u32 s18, s19, s12
	s_mul_i32 s20, s19, s12
	s_mul_i32 s24, s21, s14
	s_mul_hi_u32 s12, s21, s12
	s_mul_hi_u32 s23, s21, s14
	s_add_u32 s12, s12, s24
	s_addc_u32 s23, 0, s23
	s_add_u32 s12, s12, s20
	s_mul_hi_u32 s15, s19, s14
	s_addc_u32 s12, s23, s18
	s_addc_u32 s15, s15, 0
	s_mul_i32 s14, s19, s14
	s_add_u32 s12, s12, s14
	s_addc_u32 s18, 0, s15
	s_add_u32 s20, s21, s12
	s_cselect_b64 s[14:15], -1, 0
	s_cmp_lg_u64 s[14:15], 0
	s_addc_u32 s18, s19, s18
	s_ashr_i32 s14, s13, 31
	s_add_u32 s12, s5, s14
	s_mov_b32 s15, s14
	s_addc_u32 s13, s13, s14
	s_xor_b64 s[12:13], s[12:13], s[14:15]
	s_mul_i32 s21, s12, s18
	s_mul_hi_u32 s23, s12, s20
	s_mul_hi_u32 s19, s12, s18
	s_add_u32 s21, s23, s21
	s_addc_u32 s19, 0, s19
	s_mul_hi_u32 s24, s13, s20
	s_mul_i32 s20, s13, s20
	s_add_u32 s20, s21, s20
	s_mul_hi_u32 s23, s13, s18
	s_addc_u32 s19, s19, s24
	s_addc_u32 s20, s23, 0
	s_mul_i32 s18, s13, s18
	s_add_u32 s23, s19, s18
	s_addc_u32 s24, 0, s20
	s_mul_i32 s18, s6, s24
	s_mul_hi_u32 s19, s6, s23
	s_add_i32 s18, s19, s18
	s_mul_i32 s19, s7, s23
	s_add_i32 s25, s18, s19
	s_sub_i32 s20, s13, s25
	s_mul_i32 s18, s6, s23
	s_sub_u32 s12, s12, s18
	s_cselect_b64 s[18:19], -1, 0
	s_cmp_lg_u64 s[18:19], 0
	s_subb_u32 s26, s20, s7
	s_sub_u32 s27, s12, s6
	s_cselect_b64 s[20:21], -1, 0
	s_cmp_lg_u64 s[20:21], 0
	s_subb_u32 s20, s26, 0
	s_cmp_ge_u32 s20, s7
	s_cselect_b32 s21, -1, 0
	s_cmp_ge_u32 s27, s6
	s_cselect_b32 s26, -1, 0
	s_cmp_eq_u32 s20, s7
	s_cselect_b32 s20, s26, s21
	s_add_u32 s21, s23, 1
	s_addc_u32 s26, s24, 0
	s_add_u32 s27, s23, 2
	s_addc_u32 s28, s24, 0
	s_cmp_lg_u32 s20, 0
	s_cselect_b32 s20, s27, s21
	s_cselect_b32 s21, s28, s26
	s_cmp_lg_u64 s[18:19], 0
	s_subb_u32 s13, s13, s25
	s_cmp_ge_u32 s13, s7
	s_cselect_b32 s18, -1, 0
	s_cmp_ge_u32 s12, s6
	s_cselect_b32 s6, -1, 0
	s_cmp_eq_u32 s13, s7
	s_cselect_b32 s6, s6, s18
	s_cmp_lg_u32 s6, 0
	s_cselect_b32 s7, s21, s24
	s_cselect_b32 s6, s20, s23
	s_xor_b64 s[12:13], s[14:15], 0
	s_xor_b64 s[6:7], s[6:7], s[12:13]
	s_sub_u32 s6, s6, s12
	s_load_dwordx4 s[12:15], s[0:1], 0x44
	s_cbranch_execnz .LBB48_3
.LBB48_2:
	v_cvt_f32_u32_e32 v1, s22
	s_sub_i32 s6, 0, s22
	v_rcp_iflag_f32_e32 v1, v1
	s_nop 0
	v_mul_f32_e32 v1, 0x4f7ffffe, v1
	v_cvt_u32_f32_e32 v1, v1
	s_nop 0
	v_readfirstlane_b32 s7, v1
	s_mul_i32 s6, s6, s7
	s_mul_hi_u32 s6, s7, s6
	s_add_i32 s7, s7, s6
	s_mul_hi_u32 s6, s5, s7
	s_waitcnt lgkmcnt(0)
	s_mul_i32 s15, s6, s22
	s_sub_i32 s5, s5, s15
	s_add_i32 s7, s6, 1
	s_sub_i32 s15, s5, s22
	s_cmp_ge_u32 s5, s22
	s_cselect_b32 s6, s7, s6
	s_cselect_b32 s5, s15, s5
	s_add_i32 s7, s6, 1
	s_cmp_ge_u32 s5, s22
	s_cselect_b32 s6, s7, s6
.LBB48_3:
	s_add_i32 s5, s2, 1
	s_mul_hi_i32 s21, s11, s5
	s_mov_b32 s20, 0
	s_cmp_lg_u64 s[20:21], 0
	s_mul_i32 s5, s11, s5
	s_cbranch_scc0 .LBB48_21
; %bb.4:
	s_add_u32 s16, s22, 0
	s_addc_u32 s17, 0, 0
	s_xor_b64 s[18:19], s[16:17], 0
	v_cvt_f32_u32_e32 v1, s18
	v_cvt_f32_u32_e32 v2, s19
	s_sub_u32 s7, 0, s18
	s_waitcnt lgkmcnt(0)
	s_subb_u32 s15, 0, s19
	v_fmamk_f32 v1, v2, 0x4f800000, v1
	v_rcp_f32_e32 v1, v1
	s_nop 0
	v_mul_f32_e32 v1, 0x5f7ffffc, v1
	v_mul_f32_e32 v2, 0x2f800000, v1
	v_trunc_f32_e32 v2, v2
	v_fmamk_f32 v1, v2, 0xcf800000, v1
	v_cvt_u32_f32_e32 v2, v2
	v_cvt_u32_f32_e32 v1, v1
	v_readfirstlane_b32 s20, v2
	v_readfirstlane_b32 s23, v1
	s_mul_i32 s24, s7, s20
	s_mul_hi_u32 s26, s7, s23
	s_mul_i32 s25, s15, s23
	s_add_i32 s24, s26, s24
	s_add_i32 s24, s24, s25
	s_mul_i32 s27, s7, s23
	s_mul_i32 s26, s23, s24
	s_mul_hi_u32 s28, s23, s27
	s_mul_hi_u32 s25, s23, s24
	s_add_u32 s26, s28, s26
	s_addc_u32 s25, 0, s25
	s_mul_hi_u32 s29, s20, s27
	s_mul_i32 s27, s20, s27
	s_add_u32 s26, s26, s27
	s_mul_hi_u32 s28, s20, s24
	s_addc_u32 s25, s25, s29
	s_addc_u32 s26, s28, 0
	s_mul_i32 s24, s20, s24
	s_add_u32 s24, s25, s24
	s_addc_u32 s26, 0, s26
	s_add_u32 s23, s23, s24
	s_cselect_b64 s[24:25], -1, 0
	s_cmp_lg_u64 s[24:25], 0
	s_addc_u32 s20, s20, s26
	s_mul_i32 s24, s7, s20
	s_mul_hi_u32 s25, s7, s23
	s_add_i32 s24, s25, s24
	s_mul_i32 s15, s15, s23
	s_add_i32 s24, s24, s15
	s_mul_i32 s7, s7, s23
	s_mul_hi_u32 s25, s20, s7
	s_mul_i32 s26, s20, s7
	s_mul_i32 s28, s23, s24
	s_mul_hi_u32 s7, s23, s7
	s_mul_hi_u32 s27, s23, s24
	s_add_u32 s7, s7, s28
	s_addc_u32 s27, 0, s27
	s_add_u32 s7, s7, s26
	s_mul_hi_u32 s15, s20, s24
	s_addc_u32 s7, s27, s25
	s_addc_u32 s15, s15, 0
	s_mul_i32 s24, s20, s24
	s_add_u32 s7, s7, s24
	s_addc_u32 s15, 0, s15
	s_add_u32 s7, s23, s7
	s_cselect_b64 s[24:25], -1, 0
	s_cmp_lg_u64 s[24:25], 0
	s_addc_u32 s15, s20, s15
	s_ashr_i32 s24, s21, 31
	s_add_u32 s20, s5, s24
	s_mov_b32 s25, s24
	s_addc_u32 s21, s21, s24
	s_xor_b64 s[20:21], s[20:21], s[24:25]
	s_mul_i32 s26, s20, s15
	s_mul_hi_u32 s27, s20, s7
	s_mul_hi_u32 s23, s20, s15
	s_add_u32 s26, s27, s26
	s_addc_u32 s23, 0, s23
	s_mul_hi_u32 s28, s21, s7
	s_mul_i32 s7, s21, s7
	s_add_u32 s7, s26, s7
	s_mul_hi_u32 s27, s21, s15
	s_addc_u32 s7, s23, s28
	s_addc_u32 s23, s27, 0
	s_mul_i32 s15, s21, s15
	s_add_u32 s7, s7, s15
	s_addc_u32 s15, 0, s23
	s_mul_i32 s23, s18, s15
	s_mul_hi_u32 s26, s18, s7
	s_add_i32 s23, s26, s23
	s_mul_i32 s26, s19, s7
	s_add_i32 s23, s23, s26
	s_sub_i32 s28, s21, s23
	s_mul_i32 s26, s18, s7
	s_sub_u32 s20, s20, s26
	s_cselect_b64 s[26:27], -1, 0
	s_cmp_lg_u64 s[26:27], 0
	s_subb_u32 s30, s28, s19
	s_sub_u32 s31, s20, s18
	s_cselect_b64 s[28:29], -1, 0
	s_cmp_lg_u64 s[28:29], 0
	s_subb_u32 s28, s30, 0
	s_cmp_ge_u32 s28, s19
	s_cselect_b32 s29, -1, 0
	s_cmp_ge_u32 s31, s18
	s_cselect_b32 s30, -1, 0
	s_cmp_eq_u32 s28, s19
	s_cselect_b32 s28, s30, s29
	s_add_u32 s29, s7, 1
	s_addc_u32 s30, s15, 0
	s_add_u32 s31, s7, 2
	s_addc_u32 s33, s15, 0
	s_cmp_lg_u32 s28, 0
	s_cselect_b32 s28, s31, s29
	s_cselect_b32 s29, s33, s30
	s_cmp_lg_u64 s[26:27], 0
	s_subb_u32 s21, s21, s23
	s_cmp_ge_u32 s21, s19
	s_cselect_b32 s23, -1, 0
	s_cmp_ge_u32 s20, s18
	s_cselect_b32 s18, -1, 0
	s_cmp_eq_u32 s21, s19
	s_cselect_b32 s18, s18, s23
	s_cmp_lg_u32 s18, 0
	s_cselect_b32 s19, s29, s15
	s_cselect_b32 s18, s28, s7
	s_xor_b64 s[20:21], s[24:25], 0
	s_xor_b64 s[18:19], s[18:19], s[20:21]
	s_sub_u32 s18, s18, s20
	s_cbranch_execnz .LBB48_6
.LBB48_5:
	v_cvt_f32_u32_e32 v1, s22
	s_sub_i32 s7, 0, s22
	v_rcp_iflag_f32_e32 v1, v1
	s_nop 0
	v_mul_f32_e32 v1, 0x4f7ffffe, v1
	v_cvt_u32_f32_e32 v1, v1
	s_waitcnt lgkmcnt(0)
	v_readfirstlane_b32 s15, v1
	s_mul_i32 s7, s7, s15
	s_mul_hi_u32 s7, s15, s7
	s_add_i32 s15, s15, s7
	s_mul_hi_u32 s7, s5, s15
	s_mul_i32 s16, s7, s22
	s_sub_i32 s5, s5, s16
	s_add_i32 s15, s7, 1
	s_sub_i32 s16, s5, s22
	s_cmp_ge_u32 s5, s22
	s_cselect_b32 s7, s15, s7
	s_cselect_b32 s5, s16, s5
	s_add_i32 s15, s7, 1
	s_cmp_ge_u32 s5, s22
	s_cselect_b32 s18, s15, s7
.LBB48_6:
	s_cmp_eq_u32 s6, s18
	s_waitcnt lgkmcnt(0)
	s_mul_hi_u32 s5, s6, s12
	s_cselect_b64 s[16:17], -1, 0
	s_add_i32 s5, s5, s6
	s_lshr_b32 s7, s5, s13
	s_mul_i32 s5, s7, s14
	s_cmp_eq_u32 s5, s6
	s_mul_hi_u32 s5, s18, s12
	s_cselect_b64 s[20:21], -1, 0
	s_add_i32 s5, s5, s18
	s_lshr_b32 s5, s5, s13
	s_cmp_eq_u32 s7, s5
	s_mul_i32 s5, s5, s14
	s_cselect_b64 s[24:25], -1, 0
	s_cmp_lg_u32 s5, s18
	s_cselect_b64 s[18:19], -1, 0
	s_and_b64 s[18:19], s[24:25], s[18:19]
	s_or_b64 s[16:17], s[16:17], s[20:21]
	s_or_b64 s[16:17], s[16:17], s[18:19]
	s_and_b64 vcc, exec, s[16:17]
	s_cbranch_vccnz .LBB48_23
; %bb.7:
	s_load_dwordx8 s[24:31], s[0:1], 0x20
	s_load_dword s15, s[0:1], 0x40
	s_waitcnt lgkmcnt(0)
	s_mul_hi_u32 s5, s6, s24
	s_add_i32 s5, s5, s6
	s_lshr_b32 s5, s5, s25
	s_mul_i32 s16, s5, s26
	s_sub_i32 s16, s6, s16
	s_mul_hi_u32 s17, s16, s27
	s_add_i32 s17, s16, s17
	s_lshr_b32 s21, s17, s28
	s_mul_i32 s17, s21, s29
	s_sub_i32 s16, s16, s17
	;; [unrolled: 5-line block ×3, first 2 shown]
	s_mul_hi_u32 s16, s15, s12
	s_add_i32 s15, s15, s16
	s_lshr_b32 s23, s15, s13
	s_lshl_b32 s15, s23, 4
	s_add_i32 s15, s15, s3
	s_cmp_lt_i32 s15, s8
	s_cselect_b64 s[16:17], -1, 0
	s_add_i32 s15, s20, s4
	s_cmp_lt_i32 s15, s10
	s_cselect_b64 s[18:19], -1, 0
	s_and_b64 s[16:17], s[16:17], s[18:19]
	s_andn2_b64 vcc, exec, s[16:17]
	s_cbranch_vccnz .LBB48_23
; %bb.8:
	s_load_dwordx4 s[16:19], s[0:1], 0x0
	s_mov_b32 s0, 0
	s_lshl_b32 s24, s22, 6
	s_mov_b32 s25, s0
	s_add_i32 s15, s3, s4
	s_waitcnt lgkmcnt(0)
	v_mov_b32_e32 v2, s16
	v_mov_b32_e32 v3, s17
	s_lshl_b64 s[16:17], s[24:25], 2
	s_add_u32 s16, s18, s16
	s_mul_i32 s1, s5, s8
	s_addc_u32 s17, s19, s17
	s_add_i32 s1, s1, s3
	s_mul_i32 s1, s1, s9
	s_mul_i32 s21, s21, s10
	s_add_i32 s1, s1, s4
	s_add_i32 s1, s1, s21
	s_mul_i32 s5, s9, s23
	s_add_i32 s1, s1, s20
	s_lshl_b32 s5, s5, 12
	s_lshl_b32 s1, s1, 8
	s_add_i32 s5, s5, s1
	v_or_b32_e32 v4, s5, v0
	v_ashrrev_i32_e32 v5, 31, v4
	v_lshl_add_u64 v[2:3], v[4:5], 2, v[2:3]
	global_load_dword v1, v[2:3], off
	v_cvt_f32_u32_e32 v4, s22
	s_lshl_b32 s1, s2, 4
	s_add_i32 s4, s1, s15
	s_ashr_i32 s5, s4, 31
	s_lshl_b64 s[4:5], s[4:5], 3
	v_rcp_iflag_f32_e32 v4, v4
	s_add_u32 s4, s18, s4
	s_addc_u32 s5, s19, s5
	s_load_dwordx2 s[4:5], s[4:5], 0x0
	v_mul_f32_e32 v4, 0x4f7ffffe, v4
	v_cvt_u32_f32_e32 v7, v4
	s_add_i32 s24, s2, -1
	v_lshl_or_b32 v6, s15, 8, v0
	s_waitcnt lgkmcnt(0)
	v_mov_b32_e32 v0, s5
	v_mov_b32_e32 v9, s4
	s_mov_b32 s10, 0x3fb8aa3b
	s_mov_b32 s20, 0xc2ce8ed0
	;; [unrolled: 1-line block ×4, first 2 shown]
	v_mov_b32_e32 v8, 0x7f800000
	s_mul_hi_i32 s1, s24, s11
	s_cmp_lg_u64 s[0:1], 0
	s_mul_i32 s8, s24, s11
	s_cbranch_scc0 .LBB48_19
.LBB48_9:
	s_add_u32 s2, s22, 0
	s_addc_u32 s3, 0, 0
	s_xor_b64 s[2:3], s[2:3], 0
	v_cvt_f32_u32_e32 v4, s2
	v_cvt_f32_u32_e32 v5, s3
	s_sub_u32 s9, 0, s2
	s_subb_u32 s25, 0, s3
	v_fmac_f32_e32 v4, 0x4f800000, v5
	v_rcp_f32_e32 v4, v4
	s_nop 0
	v_mul_f32_e32 v4, 0x5f7ffffc, v4
	v_mul_f32_e32 v5, 0x2f800000, v4
	v_trunc_f32_e32 v5, v5
	v_fmac_f32_e32 v4, 0xcf800000, v5
	v_cvt_u32_f32_e32 v5, v5
	v_cvt_u32_f32_e32 v4, v4
	v_readfirstlane_b32 s26, v5
	v_readfirstlane_b32 s4, v4
	s_mul_i32 s5, s9, s26
	s_mul_hi_u32 s28, s9, s4
	s_mul_i32 s27, s25, s4
	s_add_i32 s5, s28, s5
	s_mul_i32 s29, s9, s4
	s_add_i32 s5, s5, s27
	s_mul_i32 s28, s4, s5
	s_mul_hi_u32 s30, s4, s29
	s_mul_hi_u32 s27, s4, s5
	s_add_u32 s28, s30, s28
	s_addc_u32 s27, 0, s27
	s_mul_hi_u32 s31, s26, s29
	s_mul_i32 s29, s26, s29
	s_add_u32 s28, s28, s29
	s_mul_hi_u32 s30, s26, s5
	s_addc_u32 s27, s27, s31
	s_addc_u32 s28, s30, 0
	s_mul_i32 s5, s26, s5
	s_add_u32 s5, s27, s5
	s_addc_u32 s27, 0, s28
	s_add_u32 s28, s4, s5
	s_cselect_b64 s[4:5], -1, 0
	s_cmp_lg_u64 s[4:5], 0
	s_addc_u32 s26, s26, s27
	s_mul_i32 s4, s9, s26
	s_mul_hi_u32 s5, s9, s28
	s_add_i32 s4, s5, s4
	s_mul_i32 s25, s25, s28
	s_add_i32 s4, s4, s25
	s_mul_i32 s9, s9, s28
	s_mul_hi_u32 s25, s26, s9
	s_mul_i32 s27, s26, s9
	s_mul_i32 s30, s28, s4
	s_mul_hi_u32 s9, s28, s9
	s_mul_hi_u32 s29, s28, s4
	s_add_u32 s9, s9, s30
	s_addc_u32 s29, 0, s29
	s_add_u32 s9, s9, s27
	s_mul_hi_u32 s5, s26, s4
	s_addc_u32 s9, s29, s25
	s_addc_u32 s5, s5, 0
	s_mul_i32 s4, s26, s4
	s_add_u32 s4, s9, s4
	s_addc_u32 s9, 0, s5
	s_add_u32 s25, s28, s4
	s_cselect_b64 s[4:5], -1, 0
	s_cmp_lg_u64 s[4:5], 0
	s_addc_u32 s9, s26, s9
	s_ashr_i32 s4, s1, 31
	s_add_u32 s26, s8, s4
	s_mov_b32 s5, s4
	s_addc_u32 s27, s1, s4
	s_xor_b64 s[26:27], s[26:27], s[4:5]
	s_mul_i32 s28, s26, s9
	s_mul_hi_u32 s29, s26, s25
	s_mul_hi_u32 s1, s26, s9
	s_add_u32 s28, s29, s28
	s_addc_u32 s1, 0, s1
	s_mul_hi_u32 s30, s27, s25
	s_mul_i32 s25, s27, s25
	s_add_u32 s25, s28, s25
	s_mul_hi_u32 s29, s27, s9
	s_addc_u32 s1, s1, s30
	s_addc_u32 s25, s29, 0
	s_mul_i32 s9, s27, s9
	s_add_u32 s1, s1, s9
	s_addc_u32 s9, 0, s25
	s_mul_i32 s25, s2, s9
	s_mul_hi_u32 s28, s2, s1
	s_add_i32 s25, s28, s25
	s_mul_i32 s28, s3, s1
	s_add_i32 s25, s25, s28
	s_sub_i32 s30, s27, s25
	s_mul_i32 s28, s2, s1
	s_sub_u32 s26, s26, s28
	s_cselect_b64 s[28:29], -1, 0
	s_cmp_lg_u64 s[28:29], 0
	s_subb_u32 s33, s30, s3
	s_sub_u32 s34, s26, s2
	s_cselect_b64 s[30:31], -1, 0
	s_cmp_lg_u64 s[30:31], 0
	s_subb_u32 s30, s33, 0
	s_cmp_ge_u32 s30, s3
	s_cselect_b32 s31, -1, 0
	s_cmp_ge_u32 s34, s2
	s_cselect_b32 s33, -1, 0
	s_cmp_eq_u32 s30, s3
	s_cselect_b32 s30, s33, s31
	s_add_u32 s31, s1, 1
	s_addc_u32 s33, s9, 0
	s_add_u32 s34, s1, 2
	s_addc_u32 s35, s9, 0
	s_cmp_lg_u32 s30, 0
	s_cselect_b32 s30, s34, s31
	s_cselect_b32 s31, s35, s33
	s_cmp_lg_u64 s[28:29], 0
	s_subb_u32 s25, s27, s25
	s_cmp_ge_u32 s25, s3
	s_cselect_b32 s27, -1, 0
	s_cmp_ge_u32 s26, s2
	s_cselect_b32 s2, -1, 0
	s_cmp_eq_u32 s25, s3
	s_cselect_b32 s2, s2, s27
	s_cmp_lg_u32 s2, 0
	s_cselect_b32 s3, s31, s9
	s_cselect_b32 s2, s30, s1
	s_xor_b64 s[4:5], s[4:5], 0
	s_xor_b64 s[2:3], s[2:3], s[4:5]
	s_sub_u32 s4, s2, s4
	s_cbranch_execnz .LBB48_11
.LBB48_10:
	s_sub_i32 s1, 0, s22
	v_readfirstlane_b32 s2, v7
	s_mul_i32 s1, s1, s2
	s_mul_hi_u32 s1, s2, s1
	s_add_i32 s2, s2, s1
	s_mul_hi_u32 s1, s8, s2
	s_mul_i32 s3, s1, s22
	s_sub_i32 s3, s8, s3
	s_add_i32 s2, s1, 1
	s_sub_i32 s4, s3, s22
	s_cmp_ge_u32 s3, s22
	s_cselect_b32 s1, s2, s1
	s_cselect_b32 s3, s4, s3
	s_add_i32 s2, s1, 1
	s_cmp_ge_u32 s3, s22
	s_cselect_b32 s4, s2, s1
.LBB48_11:
	s_cmp_lg_u32 s6, s4
	s_cbranch_scc0 .LBB48_15
; %bb.12:
	s_add_i32 s1, s24, s22
	s_lshl_b32 s1, s1, 4
	s_add_i32 s2, s1, s15
	s_mov_b32 s3, s0
	s_lshl_b64 s[2:3], s[2:3], 3
	s_add_u32 s8, s18, s2
	s_mul_hi_u32 s1, s4, s12
	s_addc_u32 s9, s19, s3
	s_add_i32 s1, s1, s4
	s_lshr_b32 s1, s1, s13
	s_mul_i32 s2, s1, s14
	s_cmp_eq_u32 s2, s4
	s_cselect_b64 s[2:3], -1, 0
	s_cmp_lt_u32 s1, s7
	s_cselect_b64 s[26:27], -1, 0
	s_or_b64 s[26:27], s[26:27], s[2:3]
	s_mov_b64 s[2:3], -1
	s_and_b64 vcc, exec, s[26:27]
	s_mov_b32 s1, s24
	s_mov_b32 s25, s6
	s_cbranch_vccnz .LBB48_14
; %bb.13:
	s_add_i32 s1, s24, -1
	s_mov_b64 s[2:3], 0
	s_mov_b32 s25, s4
.LBB48_14:
	v_lshl_add_u32 v4, s24, 12, v6
	v_ashrrev_i32_e32 v5, 31, v4
	v_lshl_add_u64 v[4:5], v[4:5], 2, s[16:17]
	global_load_dword v5, v[4:5], off
	s_load_dwordx2 s[4:5], s[8:9], 0x0
	v_max_f32_e32 v4, v9, v9
	s_waitcnt lgkmcnt(0)
	v_max_f32_e64 v10, s4, s4
	v_max_f32_e32 v10, v4, v10
	v_sub_f32_e32 v11, v9, v10
	v_sub_f32_e32 v13, s4, v10
	v_mul_f32_e32 v4, 0x3fb8aa3b, v11
	v_mul_f32_e32 v12, 0x3fb8aa3b, v13
	v_fma_f32 v14, v11, s10, -v4
	v_rndne_f32_e32 v15, v4
	v_fma_f32 v16, v13, s10, -v12
	v_rndne_f32_e32 v17, v12
	v_fmac_f32_e32 v14, 0x32a5705f, v11
	v_sub_f32_e32 v4, v4, v15
	v_fmac_f32_e32 v16, 0x32a5705f, v13
	v_sub_f32_e32 v12, v12, v17
	v_add_f32_e32 v4, v4, v14
	v_cvt_i32_f32_e32 v15, v15
	v_add_f32_e32 v12, v12, v16
	v_exp_f32_e32 v14, v4
	v_cvt_i32_f32_e32 v17, v17
	v_exp_f32_e32 v12, v12
	v_cmp_ngt_f32_e32 vcc, s20, v11
	v_ldexp_f32 v14, v14, v15
	v_mov_b32_e32 v4, s5
	v_ldexp_f32 v12, v12, v17
	v_cndmask_b32_e32 v14, 0, v14, vcc
	v_cmp_ngt_f32_e32 vcc, s20, v13
	s_nop 1
	v_cndmask_b32_e32 v12, 0, v12, vcc
	v_cmp_nlt_f32_e32 vcc, s21, v11
	s_nop 1
	v_cndmask_b32_e32 v14, v8, v14, vcc
	v_cmp_nlt_f32_e32 vcc, s21, v13
	s_nop 1
	v_cndmask_b32_e32 v15, v8, v12, vcc
	v_cmp_le_f32_e32 vcc, s23, v11
	s_nop 1
	v_cndmask_b32_e32 v12, 0, v14, vcc
	v_cmp_le_f32_e32 vcc, s23, v13
	s_nop 1
	v_cndmask_b32_e32 v14, 0, v15, vcc
	s_waitcnt vmcnt(0)
	v_pk_mul_f32 v[4:5], v[4:5], v[14:15] op_sel_hi:[1,0]
	s_nop 0
	v_pk_fma_f32 v[4:5], v[0:1], v[12:13], v[4:5] op_sel_hi:[1,0,1]
	s_cbranch_execz .LBB48_16
	s_branch .LBB48_17
.LBB48_15:
                                        ; implicit-def: $vgpr4_vgpr5
                                        ; implicit-def: $sgpr2_sgpr3
                                        ; implicit-def: $vgpr10
                                        ; implicit-def: $sgpr1
                                        ; implicit-def: $sgpr25
.LBB48_16:
	s_add_i32 s1, s24, -1
	s_mov_b64 s[2:3], 0
	s_mov_b32 s25, s6
	v_mov_b32_e32 v10, v9
	s_waitcnt vmcnt(0)
	v_mov_b64_e32 v[4:5], v[0:1]
.LBB48_17:
	s_andn2_b64 vcc, exec, s[2:3]
	s_cbranch_vccz .LBB48_22
; %bb.18:
	s_mov_b32 s6, s25
	s_mov_b32 s24, s1
	v_mov_b32_e32 v9, v10
	s_waitcnt vmcnt(0)
	v_mov_b64_e32 v[0:1], v[4:5]
	s_mul_hi_i32 s1, s24, s11
	s_cmp_lg_u64 s[0:1], 0
	s_mul_i32 s8, s24, s11
	s_cbranch_scc1 .LBB48_9
.LBB48_19:
                                        ; implicit-def: $sgpr4_sgpr5
	s_branch .LBB48_10
.LBB48_20:
                                        ; implicit-def: $sgpr6_sgpr7
	s_load_dwordx4 s[12:15], s[0:1], 0x44
	s_branch .LBB48_2
.LBB48_21:
                                        ; implicit-def: $sgpr18_sgpr19
	s_branch .LBB48_5
.LBB48_22:
	v_div_scale_f32 v0, s[0:1], v4, v4, v5
	s_waitcnt vmcnt(0)
	v_rcp_f32_e32 v1, v0
	v_div_scale_f32 v6, vcc, v5, v4, v5
	v_fma_f32 v7, -v0, v1, 1.0
	v_fmac_f32_e32 v1, v7, v1
	v_mul_f32_e32 v7, v6, v1
	v_fma_f32 v8, -v0, v7, v6
	v_fmac_f32_e32 v7, v8, v1
	v_fma_f32 v0, -v0, v7, v6
	v_div_fmas_f32 v0, v0, v1, v7
	v_div_fixup_f32 v0, v0, v4, v5
	global_store_dword v[2:3], v0, off
.LBB48_23:
	s_endpgm
	.section	.rodata,"a",@progbits
	.p2align	6, 0x0
	.amdhsa_kernel _ZL33flash_attn_stream_k_fixup_generalILi256ELi16ELi1EEvPfPK15HIP_vector_typeIfLj2EEiiiiS1_IjLj3EES5_S5_S5_
		.amdhsa_group_segment_fixed_size 0
		.amdhsa_private_segment_fixed_size 0
		.amdhsa_kernarg_size 336
		.amdhsa_user_sgpr_count 2
		.amdhsa_user_sgpr_dispatch_ptr 0
		.amdhsa_user_sgpr_queue_ptr 0
		.amdhsa_user_sgpr_kernarg_segment_ptr 1
		.amdhsa_user_sgpr_dispatch_id 0
		.amdhsa_user_sgpr_kernarg_preload_length 0
		.amdhsa_user_sgpr_kernarg_preload_offset 0
		.amdhsa_user_sgpr_private_segment_size 0
		.amdhsa_uses_dynamic_stack 0
		.amdhsa_enable_private_segment 0
		.amdhsa_system_sgpr_workgroup_id_x 1
		.amdhsa_system_sgpr_workgroup_id_y 1
		.amdhsa_system_sgpr_workgroup_id_z 1
		.amdhsa_system_sgpr_workgroup_info 0
		.amdhsa_system_vgpr_workitem_id 0
		.amdhsa_next_free_vgpr 18
		.amdhsa_next_free_sgpr 36
		.amdhsa_accum_offset 20
		.amdhsa_reserve_vcc 1
		.amdhsa_float_round_mode_32 0
		.amdhsa_float_round_mode_16_64 0
		.amdhsa_float_denorm_mode_32 3
		.amdhsa_float_denorm_mode_16_64 3
		.amdhsa_dx10_clamp 1
		.amdhsa_ieee_mode 1
		.amdhsa_fp16_overflow 0
		.amdhsa_tg_split 0
		.amdhsa_exception_fp_ieee_invalid_op 0
		.amdhsa_exception_fp_denorm_src 0
		.amdhsa_exception_fp_ieee_div_zero 0
		.amdhsa_exception_fp_ieee_overflow 0
		.amdhsa_exception_fp_ieee_underflow 0
		.amdhsa_exception_fp_ieee_inexact 0
		.amdhsa_exception_int_div_zero 0
	.end_amdhsa_kernel
	.section	.text._ZL33flash_attn_stream_k_fixup_generalILi256ELi16ELi1EEvPfPK15HIP_vector_typeIfLj2EEiiiiS1_IjLj3EES5_S5_S5_,"axG",@progbits,_ZL33flash_attn_stream_k_fixup_generalILi256ELi16ELi1EEvPfPK15HIP_vector_typeIfLj2EEiiiiS1_IjLj3EES5_S5_S5_,comdat
.Lfunc_end48:
	.size	_ZL33flash_attn_stream_k_fixup_generalILi256ELi16ELi1EEvPfPK15HIP_vector_typeIfLj2EEiiiiS1_IjLj3EES5_S5_S5_, .Lfunc_end48-_ZL33flash_attn_stream_k_fixup_generalILi256ELi16ELi1EEvPfPK15HIP_vector_typeIfLj2EEiiiiS1_IjLj3EES5_S5_S5_
                                        ; -- End function
	.set _ZL33flash_attn_stream_k_fixup_generalILi256ELi16ELi1EEvPfPK15HIP_vector_typeIfLj2EEiiiiS1_IjLj3EES5_S5_S5_.num_vgpr, 18
	.set _ZL33flash_attn_stream_k_fixup_generalILi256ELi16ELi1EEvPfPK15HIP_vector_typeIfLj2EEiiiiS1_IjLj3EES5_S5_S5_.num_agpr, 0
	.set _ZL33flash_attn_stream_k_fixup_generalILi256ELi16ELi1EEvPfPK15HIP_vector_typeIfLj2EEiiiiS1_IjLj3EES5_S5_S5_.numbered_sgpr, 36
	.set _ZL33flash_attn_stream_k_fixup_generalILi256ELi16ELi1EEvPfPK15HIP_vector_typeIfLj2EEiiiiS1_IjLj3EES5_S5_S5_.num_named_barrier, 0
	.set _ZL33flash_attn_stream_k_fixup_generalILi256ELi16ELi1EEvPfPK15HIP_vector_typeIfLj2EEiiiiS1_IjLj3EES5_S5_S5_.private_seg_size, 0
	.set _ZL33flash_attn_stream_k_fixup_generalILi256ELi16ELi1EEvPfPK15HIP_vector_typeIfLj2EEiiiiS1_IjLj3EES5_S5_S5_.uses_vcc, 1
	.set _ZL33flash_attn_stream_k_fixup_generalILi256ELi16ELi1EEvPfPK15HIP_vector_typeIfLj2EEiiiiS1_IjLj3EES5_S5_S5_.uses_flat_scratch, 0
	.set _ZL33flash_attn_stream_k_fixup_generalILi256ELi16ELi1EEvPfPK15HIP_vector_typeIfLj2EEiiiiS1_IjLj3EES5_S5_S5_.has_dyn_sized_stack, 0
	.set _ZL33flash_attn_stream_k_fixup_generalILi256ELi16ELi1EEvPfPK15HIP_vector_typeIfLj2EEiiiiS1_IjLj3EES5_S5_S5_.has_recursion, 0
	.set _ZL33flash_attn_stream_k_fixup_generalILi256ELi16ELi1EEvPfPK15HIP_vector_typeIfLj2EEiiiiS1_IjLj3EES5_S5_S5_.has_indirect_call, 0
	.section	.AMDGPU.csdata,"",@progbits
; Kernel info:
; codeLenInByte = 2932
; TotalNumSgprs: 42
; NumVgprs: 18
; NumAgprs: 0
; TotalNumVgprs: 18
; ScratchSize: 0
; MemoryBound: 0
; FloatMode: 240
; IeeeMode: 1
; LDSByteSize: 0 bytes/workgroup (compile time only)
; SGPRBlocks: 5
; VGPRBlocks: 2
; NumSGPRsForWavesPerEU: 42
; NumVGPRsForWavesPerEU: 18
; AccumOffset: 20
; Occupancy: 8
; WaveLimiterHint : 0
; COMPUTE_PGM_RSRC2:SCRATCH_EN: 0
; COMPUTE_PGM_RSRC2:USER_SGPR: 2
; COMPUTE_PGM_RSRC2:TRAP_HANDLER: 0
; COMPUTE_PGM_RSRC2:TGID_X_EN: 1
; COMPUTE_PGM_RSRC2:TGID_Y_EN: 1
; COMPUTE_PGM_RSRC2:TGID_Z_EN: 1
; COMPUTE_PGM_RSRC2:TIDIG_COMP_CNT: 0
; COMPUTE_PGM_RSRC3_GFX90A:ACCUM_OFFSET: 4
; COMPUTE_PGM_RSRC3_GFX90A:TG_SPLIT: 0
	.section	.text._ZL15flash_attn_tileILi256ELi256ELi8ELi1ELb0EEvPKcS1_S1_S1_S1_PKiPfP15HIP_vector_typeIfLj2EEffffjfiS5_IjLj3EEiiiiiiiiiiiliiliiiiil,"axG",@progbits,_ZL15flash_attn_tileILi256ELi256ELi8ELi1ELb0EEvPKcS1_S1_S1_S1_PKiPfP15HIP_vector_typeIfLj2EEffffjfiS5_IjLj3EEiiiiiiiiiiiliiliiiiil,comdat
	.globl	_ZL15flash_attn_tileILi256ELi256ELi8ELi1ELb0EEvPKcS1_S1_S1_S1_PKiPfP15HIP_vector_typeIfLj2EEffffjfiS5_IjLj3EEiiiiiiiiiiiliiliiiiil ; -- Begin function _ZL15flash_attn_tileILi256ELi256ELi8ELi1ELb0EEvPKcS1_S1_S1_S1_PKiPfP15HIP_vector_typeIfLj2EEffffjfiS5_IjLj3EEiiiiiiiiiiiliiliiiiil
	.p2align	8
	.type	_ZL15flash_attn_tileILi256ELi256ELi8ELi1ELb0EEvPKcS1_S1_S1_S1_PKiPfP15HIP_vector_typeIfLj2EEffffjfiS5_IjLj3EEiiiiiiiiiiiliiliiiiil,@function
_ZL15flash_attn_tileILi256ELi256ELi8ELi1ELb0EEvPKcS1_S1_S1_S1_PKiPfP15HIP_vector_typeIfLj2EEffffjfiS5_IjLj3EEiiiiiiiiiiiliiliiiiil: ; @_ZL15flash_attn_tileILi256ELi256ELi8ELi1ELb0EEvPKcS1_S1_S1_S1_PKiPfP15HIP_vector_typeIfLj2EEffffjfiS5_IjLj3EEiiiiiiiiiiiliiliiiiil
; %bb.0:
	s_load_dwordx4 s[24:27], s[0:1], 0x5c
	s_load_dwordx2 s[38:39], s[0:1], 0x80
	s_load_dwordx2 s[40:41], s[0:1], 0xb8
	s_mov_b64 s[36:37], 0
	s_waitcnt lgkmcnt(0)
	v_cvt_f32_u32_e32 v1, s27
	s_sub_i32 s5, 0, s27
	v_rcp_iflag_f32_e32 v1, v1
	s_nop 0
	v_mul_f32_e32 v1, 0x4f7ffffe, v1
	v_cvt_u32_f32_e32 v1, v1
	s_nop 0
	v_readfirstlane_b32 s6, v1
	s_mul_i32 s5, s5, s6
	s_mul_hi_u32 s5, s6, s5
	s_add_i32 s6, s6, s5
	s_mul_hi_u32 s5, s4, s6
	s_mul_i32 s6, s5, s27
	s_sub_i32 s6, s4, s6
	s_add_i32 s7, s5, 1
	s_sub_i32 s8, s6, s27
	s_cmp_ge_u32 s6, s27
	s_cselect_b32 s5, s7, s5
	s_cselect_b32 s6, s8, s6
	s_add_i32 s7, s5, 1
	s_cmp_ge_u32 s6, s27
	s_cselect_b32 s33, s7, s5
	s_abs_i32 s5, s39
	v_cvt_f32_u32_e32 v1, s5
	s_mul_i32 s8, s33, s27
	s_sub_i32 s9, 0, s5
	s_sub_i32 s34, s4, s8
	v_rcp_iflag_f32_e32 v1, v1
	s_abs_i32 s7, s27
	s_xor_b32 s6, s27, s39
	s_ashr_i32 s6, s6, 31
	v_mul_f32_e32 v1, 0x4f7ffffe, v1
	v_cvt_u32_f32_e32 v1, v1
	s_nop 0
	v_readfirstlane_b32 s4, v1
	s_mul_i32 s9, s9, s4
	s_mul_hi_u32 s8, s4, s9
	s_add_i32 s4, s4, s8
	s_mul_hi_u32 s4, s7, s4
	s_mul_i32 s8, s4, s5
	s_sub_i32 s7, s7, s8
	s_add_i32 s9, s4, 1
	s_sub_i32 s8, s7, s5
	s_cmp_ge_u32 s7, s5
	s_cselect_b32 s4, s9, s4
	s_cselect_b32 s7, s8, s7
	s_add_i32 s8, s4, 1
	s_cmp_ge_u32 s7, s5
	s_cselect_b32 s4, s8, s4
	s_xor_b32 s4, s4, s6
	s_sub_i32 s43, s4, s6
	s_abs_i32 s39, s43
	v_cvt_f32_u32_e32 v1, s39
	s_load_dwordx16 s[8:23], s[0:1], 0x0
	s_sub_i32 s4, 0, s39
	s_abs_i32 s42, s34
	v_rcp_iflag_f32_e32 v1, v1
	s_nop 0
	v_mul_f32_e32 v1, 0x4f7ffffe, v1
	v_cvt_u32_f32_e32 v1, v1
	s_nop 0
	v_readfirstlane_b32 s5, v1
	s_mul_i32 s4, s4, s5
	s_mul_hi_u32 s4, s5, s4
	s_add_i32 s4, s5, s4
	s_waitcnt lgkmcnt(0)
	s_cmp_eq_u64 s[14:15], 0
	s_cbranch_scc1 .LBB49_2
; %bb.1:
	s_abs_i32 s5, s40
	v_cvt_f32_u32_e32 v1, s5
	s_sub_i32 s30, 0, s5
	s_abs_i32 s29, s33
	s_ashr_i32 s28, s33, 31
	v_rcp_iflag_f32_e32 v1, v1
	s_load_dwordx2 s[6:7], s[0:1], 0xc8
	v_mul_f32_e32 v1, 0x4f7ffffe, v1
	v_cvt_u32_f32_e32 v1, v1
	s_nop 0
	v_readfirstlane_b32 s31, v1
	s_mul_i32 s30, s30, s31
	s_mul_hi_u32 s30, s31, s30
	s_add_i32 s31, s31, s30
	s_mul_hi_u32 s30, s29, s31
	s_mul_i32 s30, s30, s5
	s_sub_i32 s29, s29, s30
	s_sub_i32 s30, s29, s5
	s_cmp_ge_u32 s29, s5
	s_cselect_b32 s29, s30, s29
	s_sub_i32 s30, s29, s5
	s_cmp_ge_u32 s29, s5
	s_cselect_b32 s5, s30, s29
	s_xor_b32 s5, s5, s28
	s_sub_i32 s5, s5, s28
	s_ashr_i32 s28, s5, 31
	s_waitcnt lgkmcnt(0)
	s_mul_hi_u32 s29, s6, s5
	s_mul_i32 s28, s6, s28
	s_mul_i32 s7, s7, s5
	s_add_i32 s28, s29, s28
	s_add_i32 s28, s28, s7
	s_mul_i32 s5, s6, s5
	s_add_u32 s36, s14, s5
	s_addc_u32 s37, s15, s28
.LBB49_2:
	s_load_dwordx4 s[28:31], s[0:1], 0x40
	s_mul_hi_u32 s15, s42, s4
	s_load_dword s4, s[0:1], 0x50
	v_mov_b32_e32 v45, 1.0
	s_waitcnt lgkmcnt(0)
	v_cmp_le_f32_e64 s[6:7], s29, 0
	s_and_b64 vcc, exec, s[6:7]
	s_cbranch_vccnz .LBB49_4
; %bb.3:
	v_mov_b32_e32 v1, s4
	v_sub_co_u32_e32 v1, vcc, s34, v1
	v_mov_b32_e32 v2, s31
	v_mov_b32_e32 v3, s30
	s_add_i32 s4, s34, 1
	v_lshlrev_b32_e32 v1, 1, v1
	v_cndmask_b32_e32 v2, v2, v3, vcc
	v_or_b32_e32 v1, 1, v1
	v_mov_b32_e32 v3, s4
	v_cndmask_b32_e32 v1, v1, v3, vcc
	v_cvt_f32_i32_e32 v1, v1
	v_cmp_neq_f32_e32 vcc, 1.0, v2
	s_mov_b32 s4, 0x3f2aaaab
	s_movk_i32 s6, 0x204
	v_cndmask_b32_e32 v1, 1.0, v1, vcc
	v_cmp_neq_f32_e32 vcc, 0, v1
	s_mov_b32 s5, 0x42b17218
	s_mov_b32 s7, 0x3fb8aa3b
	v_cndmask_b32_e32 v18, 1.0, v2, vcc
	v_frexp_mant_f32_e64 v2, |v18|
	v_cmp_gt_f32_e32 vcc, s4, v2
	s_mov_b32 s4, 0x3f317218
	s_brev_b32 s14, -2
	v_cndmask_b32_e64 v3, 1.0, 2.0, vcc
	v_mul_f32_e32 v2, v2, v3
	v_add_f32_e32 v5, 1.0, v2
	v_rcp_f32_e32 v10, v5
	v_add_f32_e32 v3, -1.0, v5
	v_sub_f32_e32 v7, v2, v3
	v_add_f32_e32 v3, -1.0, v2
	v_mul_f32_e32 v11, v3, v10
	v_mul_f32_e32 v4, v5, v11
	v_fma_f32 v6, v11, v5, -v4
	v_fmac_f32_e32 v6, v11, v7
	v_add_f32_e32 v2, v4, v6
	v_sub_f32_e32 v5, v3, v2
	v_pk_add_f32 v[8:9], v[2:3], v[4:5] neg_lo:[0,1] neg_hi:[0,1]
	v_mov_b32_e32 v7, v2
	v_pk_add_f32 v[2:3], v[8:9], v[6:7] neg_lo:[0,1] neg_hi:[0,1]
	v_mov_b32_e32 v6, 0x3e91f4c4
	v_add_f32_e32 v2, v2, v3
	v_add_f32_e32 v2, v5, v2
	v_mul_f32_e32 v3, v10, v2
	v_add_f32_e32 v2, v11, v3
	v_sub_f32_e32 v4, v2, v11
	v_sub_f32_e32 v12, v3, v4
	v_mul_f32_e32 v3, v2, v2
	v_fma_f32 v5, v2, v2, -v3
	v_add_f32_e32 v4, v12, v12
	v_fmac_f32_e32 v5, v2, v4
	v_add_f32_e32 v4, v3, v5
	v_fmac_f32_e32 v6, 0x3e76c4e1, v4
	v_fmaak_f32 v6, v4, v6, 0x3ecccdef
	v_sub_f32_e32 v3, v4, v3
	v_sub_f32_e32 v13, v5, v3
	v_mul_f32_e32 v3, v4, v6
	v_fma_f32 v5, v4, v6, -v3
	v_fmac_f32_e32 v5, v13, v6
	v_add_f32_e32 v6, v3, v5
	v_add_f32_e32 v7, 0x3f2aaaaa, v6
	v_sub_f32_e32 v3, v6, v3
	v_sub_f32_e32 v3, v5, v3
	v_add_f32_e32 v5, 0xbf2aaaaa, v7
	v_add_f32_e32 v3, 0x31739010, v3
	v_sub_f32_e32 v5, v6, v5
	v_pk_mul_f32 v[8:9], v[2:3], v[4:5]
	v_pk_add_f32 v[10:11], v[2:3], v[4:5]
	v_fma_f32 v6, v4, v2, -v8
	v_fmac_f32_e32 v6, v4, v12
	v_mov_b32_e32 v9, v11
	v_fmac_f32_e32 v6, v13, v2
	v_pk_add_f32 v[4:5], v[8:9], v[6:7]
	v_ldexp_f32 v14, v12, 1
	v_sub_f32_e32 v3, v4, v8
	v_sub_f32_e32 v3, v6, v3
	v_sub_f32_e32 v6, v7, v5
	v_add_f32_e32 v9, v11, v6
	v_pk_mul_f32 v[6:7], v[4:5], v[4:5] op_sel:[0,1] op_sel_hi:[1,0]
	v_cvt_f64_f32_e64 v[10:11], |v18|
	v_frexp_exp_i32_f64_e32 v7, v[10:11]
	v_subbrev_co_u32_e32 v7, vcc, 0, v7, vcc
	v_cvt_f32_i32_e32 v7, v7
	v_fma_f32 v8, v4, v5, -v6
	v_fmac_f32_e32 v8, v4, v9
	v_fmac_f32_e32 v8, v3, v5
	v_mul_f32_e32 v4, 0x3f317218, v7
	v_fma_f32 v3, v7, s4, -v4
	v_fmamk_f32 v10, v7, 0xb102e308, v3
	v_ldexp_f32 v11, v2, 1
	v_add_f32_e32 v5, v6, v8
	v_pk_add_f32 v[2:3], v[4:5], v[10:11]
	v_mov_b32_e32 v12, v5
	v_mov_b32_e32 v13, v3
	;; [unrolled: 1-line block ×3, first 2 shown]
	v_pk_add_f32 v[6:7], v[12:13], v[6:7] neg_lo:[0,1] neg_hi:[0,1]
	v_mov_b32_e32 v9, v5
	v_pk_add_f32 v[6:7], v[8:9], v[6:7] neg_lo:[0,1] neg_hi:[0,1]
	v_mov_b32_e32 v11, v2
	v_add_f32_e32 v5, v14, v6
	v_add_f32_e32 v5, v5, v7
	v_pk_add_f32 v[6:7], v[2:3], v[4:5] neg_lo:[0,1] neg_hi:[0,1]
	v_pk_add_f32 v[8:9], v[2:3], v[4:5]
	v_mov_b32_e32 v16, v3
	v_mov_b32_e32 v7, v9
	v_pk_add_f32 v[12:13], v[10:11], v[6:7] neg_lo:[0,1] neg_hi:[0,1]
	v_pk_add_f32 v[6:7], v[10:11], v[6:7]
	v_mov_b32_e32 v4, v5
	v_pk_add_f32 v[10:11], v[6:7], v[2:3] op_sel:[1,0] op_sel_hi:[0,1] neg_lo:[0,1] neg_hi:[0,1]
	v_pk_add_f32 v[14:15], v[8:9], v[10:11] op_sel_hi:[1,0] neg_lo:[0,1] neg_hi:[0,1]
	v_mov_b32_e32 v8, v9
	v_mov_b32_e32 v9, v7
	v_mov_b32_e32 v17, v10
	v_pk_add_f32 v[8:9], v[8:9], v[16:17] neg_lo:[0,1] neg_hi:[0,1]
	v_mov_b32_e32 v5, v2
	v_pk_add_f32 v[2:3], v[4:5], v[8:9] neg_lo:[0,1] neg_hi:[0,1]
	v_mov_b32_e32 v14, v12
	v_pk_add_f32 v[4:5], v[14:15], v[2:3]
	v_mov_b32_e32 v13, v7
	v_pk_add_f32 v[8:9], v[4:5], v[4:5] op_sel:[0,1] op_sel_hi:[1,0]
	s_mov_b32 s4, 0x7f800000
	v_pk_add_f32 v[6:7], v[6:7], v[8:9] op_sel:[1,0] op_sel_hi:[0,1]
	v_mov_b32_e32 v5, v6
	v_pk_add_f32 v[10:11], v[4:5], v[12:13] neg_lo:[0,1] neg_hi:[0,1]
	v_mov_b32_e32 v3, v8
	v_sub_f32_e32 v4, v4, v10
	v_pk_add_f32 v[2:3], v[2:3], v[10:11] neg_lo:[0,1] neg_hi:[0,1]
	v_sub_f32_e32 v4, v12, v4
	v_add_f32_e32 v2, v2, v4
	v_add_f32_e32 v2, v2, v3
	;; [unrolled: 1-line block ×3, first 2 shown]
	v_sub_f32_e32 v4, v3, v6
	v_sub_f32_e32 v2, v2, v4
	v_mul_f32_e32 v4, v1, v3
	v_fma_f32 v3, v1, v3, -v4
	v_fmac_f32_e32 v3, v1, v2
	v_add_f32_e32 v2, v4, v3
	v_cmp_class_f32_e64 vcc, v4, s6
	v_sub_f32_e32 v5, v2, v4
	v_sub_f32_e32 v3, v3, v5
	v_cndmask_b32_e32 v2, v2, v4, vcc
	v_mov_b32_e32 v4, 0x37000000
	v_cmp_eq_f32_e32 vcc, s5, v2
	v_cmp_class_f32_e64 s[30:31], v18, s6
	s_nop 0
	v_cndmask_b32_e32 v4, 0, v4, vcc
	v_sub_f32_e32 v5, v2, v4
	v_mul_f32_e32 v6, 0x3fb8aa3b, v5
	v_fma_f32 v7, v5, s7, -v6
	v_rndne_f32_e32 v8, v6
	v_fmamk_f32 v7, v5, 0x32a5705f, v7
	v_sub_f32_e32 v6, v6, v8
	v_add_f32_e32 v6, v6, v7
	v_exp_f32_e32 v6, v6
	v_cvt_i32_f32_e32 v7, v8
	v_cmp_neq_f32_e64 vcc, |v2|, s4
	s_mov_b32 s4, 0xc2ce8ed0
	s_nop 0
	v_cndmask_b32_e32 v2, 0, v3, vcc
	v_ldexp_f32 v3, v6, v7
	v_cmp_ngt_f32_e32 vcc, s4, v5
	v_add_f32_e32 v2, v4, v2
	v_mov_b32_e32 v4, 0x7f800000
	v_cndmask_b32_e32 v3, 0, v3, vcc
	v_cmp_nlt_f32_e32 vcc, s5, v5
	v_mov_b32_e32 v5, 0x7fc00000
	s_nop 0
	v_cndmask_b32_e32 v3, v4, v3, vcc
	v_fma_f32 v2, v3, v2, v3
	v_cmp_class_f32_e64 vcc, v3, s6
	v_cmp_gt_f32_e64 s[6:7], 0, v1
	s_nop 0
	v_cndmask_b32_e32 v2, v2, v3, vcc
	v_trunc_f32_e32 v3, v1
	v_cmp_eq_f32_e32 vcc, v3, v1
	v_mul_f32_e32 v3, 0.5, v1
	v_trunc_f32_e32 v6, v3
	v_cmp_neq_f32_e64 s[4:5], v6, v3
	s_and_b64 s[4:5], vcc, s[4:5]
	s_nop 0
	v_cndmask_b32_e64 v3, 1.0, v18, s[4:5]
	v_bfi_b32 v2, s14, v2, v3
	v_cndmask_b32_e32 v3, v5, v2, vcc
	v_cmp_gt_f32_e32 vcc, 0, v18
	s_nop 1
	v_cndmask_b32_e32 v2, v2, v3, vcc
	v_cmp_eq_f32_e32 vcc, 0, v18
	s_xor_b64 s[6:7], s[6:7], vcc
	v_cndmask_b32_e64 v1, v4, 0, s[6:7]
	v_cndmask_b32_e64 v3, 0, v18, s[4:5]
	v_bfi_b32 v1, s14, v1, v3
	s_or_b64 vcc, vcc, s[30:31]
	v_cndmask_b32_e32 v1, v2, v1, vcc
	v_cmp_o_f32_e32 vcc, v18, v18
	s_nop 1
	v_cndmask_b32_e32 v45, v5, v1, vcc
.LBB49_4:
	s_load_dwordx4 s[44:47], s[0:1], 0x70
	v_bfe_u32 v41, v0, 10, 10
	s_ashr_i32 s35, s34, 31
	s_ashr_i32 s4, s43, 31
	v_lshl_add_u32 v38, s2, 3, v41
	s_waitcnt lgkmcnt(0)
	s_mul_i32 s5, s33, s46
	s_ashr_i32 s7, s5, 31
	s_mul_i32 s6, s34, s45
	s_add_u32 s5, s8, s5
	v_mul_hi_u32 v1, s24, v38
	s_addc_u32 s7, s9, s7
	s_ashr_i32 s8, s6, 31
	v_add_u32_e32 v1, v38, v1
	s_add_u32 s6, s5, s6
	v_lshrrev_b32_e32 v1, s25, v1
	s_addc_u32 s7, s7, s8
	v_mul_lo_u32 v1, v1, s26
	s_ashr_i32 s45, s44, 31
	v_sub_u32_e32 v13, v38, v1
	s_lshr_b64 s[8:9], s[44:45], 2
	v_mad_u64_u32 v[2:3], s[8:9], s8, v13, 0
	v_mov_b32_e32 v4, v3
	s_lshr_b32 s5, s45, 2
	v_mad_u64_u32 v[4:5], s[8:9], s5, v13, v[4:5]
	v_mov_b32_e32 v3, v4
	v_and_b32_e32 v12, 0x3ff, v0
	v_mov_b32_e32 v9, 0
	v_lshl_add_u64 v[0:1], v[2:3], 2, s[6:7]
	v_lshlrev_b32_e32 v8, 4, v12
	v_lshl_add_u64 v[10:11], v[0:1], 0, v[8:9]
	global_load_dwordx4 v[0:3], v[10:11], off
	global_load_dwordx4 v[4:7], v[10:11], off offset:512
	v_lshlrev_b32_e32 v11, 9, v41
	v_lshlrev_b32_e32 v40, 3, v12
	v_add_u32_e32 v46, 0x4400, v11
	v_lshlrev_b32_e32 v39, 2, v12
	v_add_u32_e32 v8, v46, v40
	s_cmp_eq_u64 s[18:19], 0
	s_waitcnt vmcnt(1)
	v_fma_mixlo_f16 v0, s28, v0, 0
	v_fma_mixlo_f16 v1, s28, v1, 0
	;; [unrolled: 1-line block ×4, first 2 shown]
	s_waitcnt vmcnt(0)
	v_fma_mixlo_f16 v4, s28, v4, 0
	v_fma_mixlo_f16 v5, s28, v5, 0
	;; [unrolled: 1-line block ×4, first 2 shown]
	v_lshlrev_b32_e32 v1, 16, v1
	v_and_b32_e32 v0, 0xffff, v0
	v_lshlrev_b32_e32 v3, 16, v3
	v_and_b32_e32 v2, 0xffff, v2
	;; [unrolled: 2-line block ×4, first 2 shown]
	v_or_b32_e32 v0, v1, v0
	v_or3_b32 v1, v3, v2, 0
	v_or_b32_e32 v2, v5, v4
	v_or3_b32 v3, v7, v6, 0
	v_or3_b32 v0, 0, 0, v0
	;; [unrolled: 1-line block ×3, first 2 shown]
	ds_write2_b64 v8, v[0:1], v[2:3] offset1:32
	s_waitcnt lgkmcnt(0)
	s_barrier
	s_cbranch_scc1 .LBB49_6
; %bb.5:
	s_load_dword s5, s[0:1], 0xd0
	s_mov_b32 s7, 0
	s_waitcnt lgkmcnt(0)
	s_mul_i32 s5, s5, s33
	s_add_i32 s6, s5, s2
	s_lshl_b64 s[6:7], s[6:7], 2
	s_add_u32 s6, s18, s6
	s_addc_u32 s7, s19, s7
	s_load_dword s38, s[6:7], 0x0
.LBB49_6:
	s_nop 0
	s_load_dwordx2 s[6:7], s[0:1], 0x8c
	s_load_dwordx4 s[28:31], s[0:1], 0x98
	s_load_dwordx2 s[24:25], s[0:1], 0xa8
	s_ashr_i32 s5, s33, 31
	s_ashr_i32 s14, s41, 1
	s_waitcnt lgkmcnt(0)
	s_ashr_i32 s18, s6, 2
	s_mul_hi_u32 s6, s28, s33
	s_mul_i32 s8, s28, s5
	s_add_i32 s6, s6, s8
	s_mul_i32 s8, s29, s33
	s_ashr_i32 s2, s30, 2
	s_add_i32 s6, s6, s8
	s_mul_i32 s8, s28, s33
	s_add_u32 s8, s10, s8
	s_mul_i32 s9, s15, s39
	s_addc_u32 s6, s11, s6
	s_sub_i32 s9, s42, s9
	s_xor_b32 s4, s35, s4
	s_add_i32 s10, s15, 1
	s_sub_i32 s11, s9, s39
	s_cmp_ge_u32 s9, s39
	s_cselect_b32 s10, s10, s15
	s_cselect_b32 s9, s11, s9
	s_add_i32 s11, s10, 1
	s_cmp_ge_u32 s9, s39
	s_cselect_b32 s9, s11, s10
	s_xor_b32 s9, s9, s4
	s_sub_i32 s4, s9, s4
	s_mul_i32 s7, s4, s7
	s_ashr_i32 s9, s7, 31
	s_add_u32 s8, s8, s7
	s_addc_u32 s9, s6, s9
	s_mul_hi_u32 s6, s24, s33
	s_mul_i32 s5, s24, s5
	s_add_i32 s5, s6, s5
	s_mul_i32 s6, s25, s33
	s_add_i32 s5, s5, s6
	s_mul_i32 s6, s24, s33
	s_add_u32 s6, s12, s6
	s_mul_i32 s4, s4, s31
	s_addc_u32 s5, s13, s5
	s_ashr_i32 s7, s4, 31
	s_add_u32 s11, s6, s4
	s_addc_u32 s12, s5, s7
	s_lshl_b32 s13, s3, 6
	s_sub_i32 s10, s38, 64
	s_cmp_ge_i32 s13, s10
	v_lshrrev_b32_e32 v17, 4, v12
	v_and_b32_e32 v16, 60, v39
	v_lshlrev_b32_e32 v14, 2, v39
	v_mul_lo_u32 v8, s2, v41
	v_mbcnt_lo_u32_b32 v47, -1, 0
	s_cbranch_scc1 .LBB49_15
; %bb.7:
	v_lshl_add_u32 v0, v41, 1, v17
	v_lshlrev_b32_e32 v1, 2, v16
	s_movk_i32 s4, 0x110
	v_mad_u32_u24 v48, v0, s4, v1
	v_mul_lo_u32 v18, s18, v0
	s_lshl_b32 s4, s18, 4
	v_add_u32_e32 v20, s4, v18
	v_add_u32_e32 v22, s4, v20
	s_cmp_lg_u64 s[36:37], 0
	v_mad_u64_u32 v[26:27], s[6:7], v13, s14, v[12:13]
	v_add_u32_e32 v24, s4, v22
	s_cselect_b64 s[4:5], -1, 0
	v_mov_b32_e32 v0, 0x5400
	s_lshl_b32 s6, s2, 3
	v_lshl_add_u32 v53, v41, 7, v0
	v_add_u32_e32 v0, s6, v8
	v_lshl_add_u32 v4, v41, 9, v14
	v_add_u32_e32 v2, s6, v0
	v_add_u32_e32 v56, 0x1000, v4
	;; [unrolled: 1-line block ×5, first 2 shown]
	v_mov_b32_e32 v15, 0
	v_ashrrev_i32_e32 v9, 31, v8
	v_ashrrev_i32_e32 v1, 31, v0
	;; [unrolled: 1-line block ×4, first 2 shown]
	s_add_u32 s6, s0, 0xd0
	v_cndmask_b32_e64 v6, 0, 1, s[4:5]
	v_ashrrev_i32_e32 v19, 31, v18
	v_add_u32_e32 v49, 0x1100, v48
	v_ashrrev_i32_e32 v21, 31, v20
	v_add_u32_e32 v50, 0x2200, v48
	v_ashrrev_i32_e32 v23, 31, v22
	v_add_u32_e32 v51, 0x3300, v48
	v_ashrrev_i32_e32 v25, 31, v24
	v_mul_u32_u24_e32 v52, 0x110, v12
	v_lshl_add_u32 v54, v12, 1, v53
	v_add_u32_e32 v55, v11, v14
	s_addc_u32 s7, s1, 0
	v_mov_b32_e32 v62, 0xfeffffff
	v_lshlrev_b32_e32 v28, 2, v16
	v_mov_b32_e32 v29, v15
	s_mov_b32 s15, 0x3fb8aa3b
	s_mov_b32 s19, 0xc2ce8ed0
	;; [unrolled: 1-line block ×4, first 2 shown]
	v_lshlrev_b64 v[30:31], 2, v[8:9]
	v_lshlrev_b64 v[32:33], 2, v[0:1]
	v_lshlrev_b64 v[34:35], 2, v[2:3]
	v_lshlrev_b64 v[36:37], 2, v[4:5]
	v_cmp_ne_u32_e64 s[4:5], 1, v6
	v_mbcnt_hi_u32_b32 v59, -1, v47
	v_mov_b32_e32 v60, 0x7f800000
	v_mov_b32_e32 v43, v15
	;; [unrolled: 1-line block ×6, first 2 shown]
.LBB49_8:                               ; =>This Inner Loop Header: Depth=1
	s_mul_hi_i32 s29, s13, s18
	s_mul_i32 s28, s13, s18
	s_lshl_b64 s[28:29], s[28:29], 2
	s_add_u32 s28, s8, s28
	s_addc_u32 s29, s9, s29
	v_lshl_add_u64 v[0:1], v[18:19], 2, s[28:29]
	v_lshl_add_u64 v[4:5], v[22:23], 2, s[28:29]
	;; [unrolled: 1-line block ×7, first 2 shown]
	global_load_dwordx4 v[64:67], v[0:1], off
	global_load_dwordx4 v[68:71], v[2:3], off
	v_lshl_add_u64 v[6:7], v[6:7], 0, v[28:29]
	global_load_dwordx4 v[72:75], v[4:5], off
	global_load_dwordx4 v[76:79], v[6:7], off
	v_mov_b32_e32 v10, 0
	v_mov_b32_e32 v9, 0
	s_and_b64 vcc, exec, s[4:5]
	s_waitcnt vmcnt(3)
	ds_write_b128 v48, v[64:67]
	s_waitcnt vmcnt(2)
	ds_write_b128 v49, v[68:71]
	;; [unrolled: 2-line block ×4, first 2 shown]
	s_waitcnt lgkmcnt(0)
	s_barrier
	ds_read_b128 v[64:67], v52
	ds_read_b128 v[68:71], v46
	ds_read_b128 v[72:75], v52 offset:8704
	s_waitcnt lgkmcnt(1)
	;;#ASMSTART
	v_dot2_f32_f16 v10, v64, v68, v10
	;;#ASMEND
	s_nop 0
	;;#ASMSTART
	v_dot2_f32_f16 v10, v65, v69, v10
	;;#ASMEND
	s_nop 0
	;;#ASMSTART
	v_dot2_f32_f16 v10, v66, v70, v10
	;;#ASMEND
	s_nop 0
	;;#ASMSTART
	v_dot2_f32_f16 v10, v67, v71, v10
	;;#ASMEND
	s_waitcnt lgkmcnt(0)
	;;#ASMSTART
	v_dot2_f32_f16 v9, v72, v68, v9
	;;#ASMEND
	s_nop 0
	;;#ASMSTART
	v_dot2_f32_f16 v9, v73, v69, v9
	;;#ASMEND
	s_nop 0
	;;#ASMSTART
	v_dot2_f32_f16 v9, v74, v70, v9
	;;#ASMEND
	s_nop 0
	;;#ASMSTART
	v_dot2_f32_f16 v9, v75, v71, v9
	;;#ASMEND
	ds_read_b128 v[64:67], v52 offset:16
	ds_read_b128 v[68:71], v46 offset:16
	ds_read_b128 v[72:75], v52 offset:8720
	s_waitcnt lgkmcnt(1)
	;;#ASMSTART
	v_dot2_f32_f16 v10, v64, v68, v10
	;;#ASMEND
	s_nop 0
	;;#ASMSTART
	v_dot2_f32_f16 v10, v65, v69, v10
	;;#ASMEND
	s_nop 0
	;;#ASMSTART
	v_dot2_f32_f16 v10, v66, v70, v10
	;;#ASMEND
	s_nop 0
	;;#ASMSTART
	v_dot2_f32_f16 v10, v67, v71, v10
	;;#ASMEND
	s_waitcnt lgkmcnt(0)
	;;#ASMSTART
	v_dot2_f32_f16 v9, v72, v68, v9
	;;#ASMEND
	s_nop 0
	;;#ASMSTART
	v_dot2_f32_f16 v9, v73, v69, v9
	;;#ASMEND
	s_nop 0
	;;#ASMSTART
	v_dot2_f32_f16 v9, v74, v70, v9
	;;#ASMEND
	s_nop 0
	;;#ASMSTART
	v_dot2_f32_f16 v9, v75, v71, v9
	;;#ASMEND
	ds_read_b128 v[64:67], v52 offset:32
	ds_read_b128 v[68:71], v46 offset:32
	;; [unrolled: 35-line block ×15, first 2 shown]
	ds_read_b128 v[72:75], v52 offset:8944
	s_waitcnt lgkmcnt(1)
	;;#ASMSTART
	v_dot2_f32_f16 v10, v64, v68, v10
	;;#ASMEND
	s_nop 0
	;;#ASMSTART
	v_dot2_f32_f16 v10, v65, v69, v10
	;;#ASMEND
	s_nop 0
	;; [unrolled: 4-line block ×3, first 2 shown]
	;;#ASMSTART
	v_dot2_f32_f16 v10, v67, v71, v10
	;;#ASMEND
	s_waitcnt lgkmcnt(0)
	;;#ASMSTART
	v_dot2_f32_f16 v9, v72, v68, v9
	;;#ASMEND
	s_nop 0
	;;#ASMSTART
	v_dot2_f32_f16 v9, v73, v69, v9
	;;#ASMEND
	s_nop 0
	;; [unrolled: 4-line block ×3, first 2 shown]
	;;#ASMSTART
	v_dot2_f32_f16 v9, v75, v71, v9
	;;#ASMEND
	s_barrier
	global_load_dwordx4 v[64:67], v[0:1], off offset:256
	global_load_dwordx4 v[68:71], v[2:3], off offset:256
	;; [unrolled: 1-line block ×4, first 2 shown]
	s_waitcnt vmcnt(3)
	ds_write_b128 v48, v[64:67]
	s_waitcnt vmcnt(2)
	ds_write_b128 v49, v[68:71]
	;; [unrolled: 2-line block ×4, first 2 shown]
	s_waitcnt lgkmcnt(0)
	s_barrier
	ds_read_b128 v[0:3], v52
	ds_read_b128 v[4:7], v46 offset:256
	ds_read_b128 v[64:67], v52 offset:8704
	s_waitcnt lgkmcnt(1)
	;;#ASMSTART
	v_dot2_f32_f16 v10, v0, v4, v10
	;;#ASMEND
	s_nop 0
	;;#ASMSTART
	v_dot2_f32_f16 v10, v1, v5, v10
	;;#ASMEND
	s_nop 0
	;;#ASMSTART
	v_dot2_f32_f16 v10, v2, v6, v10
	;;#ASMEND
	s_nop 0
	;;#ASMSTART
	v_dot2_f32_f16 v10, v3, v7, v10
	;;#ASMEND
	s_waitcnt lgkmcnt(0)
	;;#ASMSTART
	v_dot2_f32_f16 v9, v64, v4, v9
	;;#ASMEND
	s_nop 0
	;;#ASMSTART
	v_dot2_f32_f16 v9, v65, v5, v9
	;;#ASMEND
	s_nop 0
	;;#ASMSTART
	v_dot2_f32_f16 v9, v66, v6, v9
	;;#ASMEND
	s_nop 0
	;;#ASMSTART
	v_dot2_f32_f16 v9, v67, v7, v9
	;;#ASMEND
	ds_read_b128 v[0:3], v52 offset:16
	ds_read_b128 v[4:7], v46 offset:272
	ds_read_b128 v[64:67], v52 offset:8720
	s_waitcnt lgkmcnt(1)
	;;#ASMSTART
	v_dot2_f32_f16 v10, v0, v4, v10
	;;#ASMEND
	s_nop 0
	;;#ASMSTART
	v_dot2_f32_f16 v10, v1, v5, v10
	;;#ASMEND
	s_nop 0
	;;#ASMSTART
	v_dot2_f32_f16 v10, v2, v6, v10
	;;#ASMEND
	s_nop 0
	;;#ASMSTART
	v_dot2_f32_f16 v10, v3, v7, v10
	;;#ASMEND
	s_waitcnt lgkmcnt(0)
	;;#ASMSTART
	v_dot2_f32_f16 v9, v64, v4, v9
	;;#ASMEND
	s_nop 0
	;;#ASMSTART
	v_dot2_f32_f16 v9, v65, v5, v9
	;;#ASMEND
	s_nop 0
	;;#ASMSTART
	v_dot2_f32_f16 v9, v66, v6, v9
	;;#ASMEND
	s_nop 0
	;;#ASMSTART
	v_dot2_f32_f16 v9, v67, v7, v9
	;;#ASMEND
	ds_read_b128 v[0:3], v52 offset:32
	;; [unrolled: 35-line block ×14, first 2 shown]
	ds_read_b128 v[4:7], v46 offset:480
	ds_read_b128 v[64:67], v52 offset:8928
	s_waitcnt lgkmcnt(1)
	;;#ASMSTART
	v_dot2_f32_f16 v10, v0, v4, v10
	;;#ASMEND
	s_nop 0
	;;#ASMSTART
	v_dot2_f32_f16 v10, v1, v5, v10
	;;#ASMEND
	v_add_u32_e32 v0, s13, v26
	;;#ASMSTART
	v_dot2_f32_f16 v10, v2, v6, v10
	;;#ASMEND
	v_ashrrev_i32_e32 v1, 31, v0
	;;#ASMSTART
	v_dot2_f32_f16 v10, v3, v7, v10
	;;#ASMEND
	s_waitcnt lgkmcnt(0)
	;;#ASMSTART
	v_dot2_f32_f16 v9, v64, v4, v9
	;;#ASMEND
	s_nop 0
	;;#ASMSTART
	v_dot2_f32_f16 v9, v65, v5, v9
	;;#ASMEND
	s_nop 0
	;; [unrolled: 4-line block ×3, first 2 shown]
	;;#ASMSTART
	v_dot2_f32_f16 v9, v67, v7, v9
	;;#ASMEND
	ds_read_b128 v[2:5], v52 offset:240
	ds_read_b128 v[64:67], v46 offset:496
	;; [unrolled: 1-line block ×3, first 2 shown]
	s_waitcnt lgkmcnt(1)
	;;#ASMSTART
	v_dot2_f32_f16 v10, v2, v64, v10
	;;#ASMEND
	s_nop 0
	;;#ASMSTART
	v_dot2_f32_f16 v10, v3, v65, v10
	;;#ASMEND
	v_mov_b32_e32 v2, 0
	;;#ASMSTART
	v_dot2_f32_f16 v10, v4, v66, v10
	;;#ASMEND
	s_nop 0
	;;#ASMSTART
	v_dot2_f32_f16 v10, v5, v67, v10
	;;#ASMEND
	s_waitcnt lgkmcnt(0)
	;;#ASMSTART
	v_dot2_f32_f16 v9, v68, v64, v9
	;;#ASMEND
	s_nop 0
	;;#ASMSTART
	v_dot2_f32_f16 v9, v69, v65, v9
	;;#ASMEND
	s_nop 0
	;; [unrolled: 4-line block ×3, first 2 shown]
	;;#ASMSTART
	v_dot2_f32_f16 v9, v71, v67, v9
	;;#ASMEND
	s_cbranch_vccnz .LBB49_10
; %bb.9:                                ;   in Loop: Header=BB49_8 Depth=1
	v_lshl_add_u64 v[2:3], v[0:1], 1, s[36:37]
	global_load_ushort v2, v[2:3], off
	s_waitcnt vmcnt(0)
	v_cvt_f32_f16_e32 v2, v2
	v_mul_f32_e32 v2, v45, v2
.LBB49_10:                              ;   in Loop: Header=BB49_8 Depth=1
	s_and_b64 vcc, exec, s[4:5]
	s_cbranch_vccnz .LBB49_12
; %bb.11:                               ;   in Loop: Header=BB49_8 Depth=1
	v_lshl_add_u64 v[0:1], v[0:1], 1, s[36:37]
	global_load_ushort v0, v[0:1], off offset:64
	s_waitcnt vmcnt(0)
	v_cvt_f32_f16_e32 v0, v0
	v_mul_f32_e32 v0, v45, v0
	s_branch .LBB49_13
.LBB49_12:                              ;   in Loop: Header=BB49_8 Depth=1
	v_mov_b32_e32 v0, 0
.LBB49_13:                              ;   in Loop: Header=BB49_8 Depth=1
	v_add_f32_e32 v63, v10, v2
	v_and_b32_e32 v2, 0x60, v59
	v_add_u32_e32 v10, 32, v2
	v_xor_b32_e32 v2, 4, v59
	v_cmp_lt_i32_e32 vcc, v2, v10
	v_add_f32_e32 v77, v9, v0
	v_add_f32_e32 v1, 0x40051340, v63
	v_cndmask_b32_e32 v76, v59, v2, vcc
	v_xor_b32_e32 v2, 16, v59
	v_cmp_lt_i32_e32 vcc, v2, v10
	v_add_f32_e32 v0, 0x40051340, v77
	v_max3_f32 v0, v62, v1, v0
	v_cndmask_b32_e32 v2, v59, v2, vcc
	v_lshlrev_b32_e32 v1, 2, v2
	ds_bpermute_b32 v1, v1, v0
	s_mul_hi_i32 s29, s13, s2
	s_mul_i32 s28, s13, s2
	s_lshl_b64 s[28:29], s[28:29], 2
	v_xor_b32_e32 v2, 8, v59
	s_add_u32 s28, s11, s28
	v_cmp_lt_i32_e32 vcc, v2, v10
	s_waitcnt lgkmcnt(0)
	v_max_f32_e32 v1, v1, v1
	s_addc_u32 s29, s12, s29
	v_cndmask_b32_e32 v2, v59, v2, vcc
	v_max_f32_e32 v9, v0, v1
	v_lshl_add_u64 v[0:1], s[28:29], 0, v[30:31]
	v_lshlrev_b32_e32 v2, 2, v2
	v_lshl_add_u64 v[64:65], v[0:1], 0, v[14:15]
	v_lshl_add_u64 v[0:1], s[28:29], 0, v[32:33]
	ds_bpermute_b32 v78, v2, v9
	s_waitcnt lgkmcnt(0)
	s_barrier
	v_lshl_add_u64 v[66:67], v[0:1], 0, v[14:15]
	global_load_dwordx4 v[0:3], v[64:65], off
	global_load_dwordx4 v[4:7], v[66:67], off
	v_lshl_add_u64 v[64:65], s[28:29], 0, v[34:35]
	v_lshl_add_u64 v[72:73], v[64:65], 0, v[14:15]
	;; [unrolled: 1-line block ×4, first 2 shown]
	global_load_dwordx4 v[64:67], v[72:73], off
	global_load_dwordx4 v[68:71], v[74:75], off
	v_max_f32_e32 v73, v78, v78
	v_lshlrev_b32_e32 v72, 2, v76
	v_max_f32_e32 v9, v9, v73
	ds_bpermute_b32 v72, v72, v9
	v_xor_b32_e32 v73, 2, v59
	v_cmp_lt_i32_e32 vcc, v73, v10
	s_or_b32 s28, s13, 32
	v_add_u32_e32 v110, 0x3000, v40
	v_cndmask_b32_e32 v73, v59, v73, vcc
	s_waitcnt lgkmcnt(0)
	v_max_f32_e32 v72, v72, v72
	v_lshlrev_b32_e32 v73, 2, v73
	v_max_f32_e32 v9, v9, v72
	ds_bpermute_b32 v72, v73, v9
	v_xor_b32_e32 v73, 1, v59
	v_cmp_lt_i32_e32 vcc, v73, v10
	s_mul_hi_i32 s29, s28, s2
	s_mul_i32 s28, s28, s2
	v_cndmask_b32_e32 v10, v59, v73, vcc
	s_waitcnt lgkmcnt(0)
	v_max_f32_e32 v72, v72, v72
	v_lshlrev_b32_e32 v10, 2, v10
	v_max_f32_e32 v9, v9, v72
	ds_bpermute_b32 v10, v10, v9
	s_lshl_b64 s[28:29], s[28:29], 2
	s_add_u32 s28, s11, s28
	s_addc_u32 s29, s12, s29
	v_lshl_add_u64 v[88:89], s[28:29], 0, v[30:31]
	s_waitcnt lgkmcnt(0)
	v_max_f32_e32 v10, v10, v10
	v_max_f32_e32 v10, v9, v10
	v_sub_f32_e32 v9, v63, v10
	v_mul_f32_e32 v63, 0x3fb8aa3b, v9
	v_fma_f32 v72, v9, s15, -v63
	v_rndne_f32_e32 v73, v63
	v_fmac_f32_e32 v72, 0x32a5705f, v9
	v_sub_f32_e32 v63, v63, v73
	v_add_f32_e32 v63, v63, v72
	v_exp_f32_e32 v63, v63
	v_cvt_i32_f32_e32 v72, v73
	v_sub_f32_e32 v62, v62, v10
	v_cmp_ngt_f32_e32 vcc, s19, v9
	v_add_u32_e32 v114, 0x3800, v40
	v_ldexp_f32 v63, v63, v72
	v_sub_f32_e32 v72, v77, v10
	v_mul_f32_e32 v73, 0x3fb8aa3b, v72
	v_fma_f32 v74, v72, s15, -v73
	v_rndne_f32_e32 v75, v73
	v_fmac_f32_e32 v74, 0x32a5705f, v72
	v_sub_f32_e32 v73, v73, v75
	v_add_f32_e32 v73, v73, v74
	v_cvt_i32_f32_e32 v74, v75
	v_mul_f32_e32 v75, 0x3fb8aa3b, v62
	v_fma_f32 v76, v62, s15, -v75
	v_rndne_f32_e32 v77, v75
	v_fmac_f32_e32 v76, 0x32a5705f, v62
	v_sub_f32_e32 v75, v75, v77
	v_exp_f32_e32 v73, v73
	v_add_f32_e32 v75, v75, v76
	v_exp_f32_e32 v75, v75
	v_cvt_i32_f32_e32 v76, v77
	v_cndmask_b32_e32 v63, 0, v63, vcc
	v_cmp_nlt_f32_e32 vcc, s24, v9
	v_ldexp_f32 v73, v73, v74
	v_ldexp_f32 v74, v75, v76
	v_cndmask_b32_e32 v9, v60, v63, vcc
	v_cmp_ngt_f32_e32 vcc, s19, v72
	v_cvt_f16_f32_e32 v63, v9
	v_lshl_add_u64 v[96:97], v[88:89], 0, v[14:15]
	v_cndmask_b32_e32 v73, 0, v73, vcc
	v_cmp_ngt_f32_e32 vcc, s19, v62
	v_lshl_add_u64 v[88:89], s[28:29], 0, v[32:33]
	v_lshl_add_u64 v[98:99], v[88:89], 0, v[14:15]
	v_cndmask_b32_e32 v74, 0, v74, vcc
	v_cmp_nlt_f32_e32 vcc, s24, v62
	s_nop 1
	v_cndmask_b32_e32 v108, v60, v74, vcc
	v_cmp_nlt_f32_e32 vcc, s24, v72
	v_cvt_f16_f32_e32 v62, v108
	v_mul_u32_u24_e32 v78, 0x10001, v62
	v_cndmask_b32_e32 v109, v60, v73, vcc
	v_cvt_f16_f32_e32 v72, v109
	ds_write_b16 v54, v63
	ds_write_b16 v54, v72 offset:64
	s_waitcnt vmcnt(3)
	ds_write_b128 v55, v[0:3]
	s_waitcnt vmcnt(2)
	ds_write_b128 v56, v[4:7]
	;; [unrolled: 2-line block ×4, first 2 shown]
	s_waitcnt lgkmcnt(0)
	s_barrier
	ds_read_b128 v[62:65], v53
	ds_read2_b64 v[66:69], v40 offset1:32
	ds_read_b128 v[70:73], v53 offset:16
	ds_read_b128 v[4:7], v53 offset:32
	;; [unrolled: 1-line block ×3, first 2 shown]
	s_waitcnt lgkmcnt(4)
	v_mul_u32_u24_sdwa v79, v62, s25 dst_sel:DWORD dst_unused:UNUSED_PAD src0_sel:WORD_0 src1_sel:DWORD
	ds_read2_b64 v[74:77], v40 offset0:64 offset1:96
	s_waitcnt lgkmcnt(4)
	v_pk_mul_f16 v66, v66, v79
	v_pk_mul_f16 v44, v44, v78
	;; [unrolled: 1-line block ×3, first 2 shown]
	v_pk_fma_f16 v42, v42, v78, v66
	v_pk_mul_f16 v66, v67, v79
	v_pk_fma_f16 v44, v68, v79, v44
	v_pk_fma_f16 v27, v27, v78, v66
	;; [unrolled: 1-line block ×3, first 2 shown]
	ds_read2_b64 v[66:69], v40 offset0:128 offset1:160
	v_mul_u32_u24_sdwa v62, v62, s25 dst_sel:DWORD dst_unused:UNUSED_PAD src0_sel:WORD_1 src1_sel:DWORD
	s_waitcnt lgkmcnt(1)
	v_pk_fma_f16 v42, v74, v62, v42
	v_pk_fma_f16 v27, v75, v62, v27
	v_pk_fma_f16 v44, v76, v62, v44
	v_pk_fma_f16 v43, v77, v62, v43
	ds_read2_b64 v[74:77], v40 offset0:192 offset1:224
	v_mul_u32_u24_sdwa v62, v63, s25 dst_sel:DWORD dst_unused:UNUSED_PAD src0_sel:WORD_0 src1_sel:DWORD
	s_waitcnt lgkmcnt(1)
	v_pk_fma_f16 v78, v67, v62, v27
	v_add_u32_e32 v27, 0x800, v40
	v_pk_fma_f16 v42, v66, v62, v42
	v_pk_fma_f16 v44, v68, v62, v44
	;; [unrolled: 1-line block ×3, first 2 shown]
	v_mul_u32_u24_sdwa v62, v63, s25 dst_sel:DWORD dst_unused:UNUSED_PAD src0_sel:WORD_1 src1_sel:DWORD
	ds_read2_b64 v[66:69], v27 offset1:32
	s_waitcnt lgkmcnt(1)
	v_pk_fma_f16 v42, v74, v62, v42
	v_pk_fma_f16 v63, v75, v62, v78
	;; [unrolled: 1-line block ×4, first 2 shown]
	ds_read2_b64 v[74:77], v27 offset0:64 offset1:96
	v_mul_u32_u24_sdwa v62, v64, s25 dst_sel:DWORD dst_unused:UNUSED_PAD src0_sel:WORD_0 src1_sel:DWORD
	s_waitcnt lgkmcnt(1)
	v_pk_fma_f16 v42, v66, v62, v42
	v_pk_fma_f16 v63, v67, v62, v63
	;; [unrolled: 1-line block ×4, first 2 shown]
	v_mul_u32_u24_sdwa v62, v64, s25 dst_sel:DWORD dst_unused:UNUSED_PAD src0_sel:WORD_1 src1_sel:DWORD
	ds_read2_b64 v[66:69], v27 offset0:128 offset1:160
	s_waitcnt lgkmcnt(1)
	v_pk_fma_f16 v42, v74, v62, v42
	v_pk_fma_f16 v63, v75, v62, v63
	;; [unrolled: 1-line block ×4, first 2 shown]
	ds_read2_b64 v[74:77], v27 offset0:192 offset1:224
	v_mul_u32_u24_sdwa v62, v65, s25 dst_sel:DWORD dst_unused:UNUSED_PAD src0_sel:WORD_0 src1_sel:DWORD
	s_waitcnt lgkmcnt(1)
	v_pk_fma_f16 v42, v66, v62, v42
	v_pk_fma_f16 v66, v67, v62, v63
	v_mul_u32_u24_sdwa v67, v65, s25 dst_sel:DWORD dst_unused:UNUSED_PAD src0_sel:WORD_1 src1_sel:DWORD
	v_pk_fma_f16 v44, v68, v62, v44
	s_waitcnt lgkmcnt(0)
	v_pk_fma_f16 v68, v74, v67, v42
	v_add_u32_e32 v42, 0x1000, v40
	v_pk_fma_f16 v43, v69, v62, v43
	ds_read2_b64 v[62:65], v42 offset1:32
	v_pk_fma_f16 v74, v75, v67, v66
	v_mul_u32_u24_sdwa v75, v70, s25 dst_sel:DWORD dst_unused:UNUSED_PAD src0_sel:WORD_0 src1_sel:DWORD
	v_pk_fma_f16 v44, v76, v67, v44
	v_pk_fma_f16 v43, v77, v67, v43
	s_waitcnt lgkmcnt(0)
	v_pk_fma_f16 v62, v62, v75, v68
	ds_read2_b64 v[66:69], v42 offset0:64 offset1:96
	v_mul_u32_u24_sdwa v70, v70, s25 dst_sel:DWORD dst_unused:UNUSED_PAD src0_sel:WORD_1 src1_sel:DWORD
	v_pk_fma_f16 v74, v63, v75, v74
	v_pk_fma_f16 v44, v64, v75, v44
	;; [unrolled: 1-line block ×3, first 2 shown]
	s_waitcnt lgkmcnt(0)
	v_pk_fma_f16 v66, v66, v70, v62
	ds_read2_b64 v[62:65], v42 offset0:128 offset1:160
	v_pk_fma_f16 v74, v67, v70, v74
	v_pk_fma_f16 v44, v68, v70, v44
	;; [unrolled: 1-line block ×3, first 2 shown]
	v_mul_u32_u24_sdwa v70, v71, s25 dst_sel:DWORD dst_unused:UNUSED_PAD src0_sel:WORD_0 src1_sel:DWORD
	s_waitcnt lgkmcnt(0)
	v_pk_fma_f16 v62, v62, v70, v66
	ds_read2_b64 v[66:69], v42 offset0:192 offset1:224
	v_pk_fma_f16 v74, v63, v70, v74
	v_pk_fma_f16 v44, v64, v70, v44
	;; [unrolled: 1-line block ×3, first 2 shown]
	v_mul_u32_u24_sdwa v71, v71, s25 dst_sel:DWORD dst_unused:UNUSED_PAD src0_sel:WORD_1 src1_sel:DWORD
	v_add_u32_e32 v43, 0x1800, v40
	s_waitcnt lgkmcnt(0)
	v_pk_fma_f16 v66, v66, v71, v62
	ds_read2_b64 v[62:65], v43 offset1:32
	v_pk_fma_f16 v74, v67, v71, v74
	v_pk_fma_f16 v44, v68, v71, v44
	;; [unrolled: 1-line block ×3, first 2 shown]
	v_mul_u32_u24_sdwa v71, v72, s25 dst_sel:DWORD dst_unused:UNUSED_PAD src0_sel:WORD_0 src1_sel:DWORD
	s_waitcnt lgkmcnt(0)
	v_pk_fma_f16 v62, v62, v71, v66
	ds_read2_b64 v[66:69], v43 offset0:64 offset1:96
	v_pk_fma_f16 v74, v63, v71, v74
	v_pk_fma_f16 v44, v64, v71, v44
	;; [unrolled: 1-line block ×3, first 2 shown]
	v_mul_u32_u24_sdwa v71, v72, s25 dst_sel:DWORD dst_unused:UNUSED_PAD src0_sel:WORD_1 src1_sel:DWORD
	s_waitcnt lgkmcnt(0)
	v_pk_fma_f16 v66, v66, v71, v62
	ds_read2_b64 v[62:65], v43 offset0:128 offset1:160
	v_pk_fma_f16 v72, v67, v71, v74
	v_pk_fma_f16 v44, v68, v71, v44
	;; [unrolled: 1-line block ×3, first 2 shown]
	v_mul_u32_u24_sdwa v71, v73, s25 dst_sel:DWORD dst_unused:UNUSED_PAD src0_sel:WORD_0 src1_sel:DWORD
	s_waitcnt lgkmcnt(0)
	v_pk_fma_f16 v62, v62, v71, v66
	ds_read2_b64 v[66:69], v43 offset0:192 offset1:224
	v_pk_fma_f16 v72, v63, v71, v72
	v_pk_fma_f16 v74, v64, v71, v44
	;; [unrolled: 1-line block ×3, first 2 shown]
	v_mul_u32_u24_sdwa v71, v73, s25 dst_sel:DWORD dst_unused:UNUSED_PAD src0_sel:WORD_1 src1_sel:DWORD
	v_add_u32_e32 v44, 0x2000, v40
	s_waitcnt lgkmcnt(0)
	v_pk_fma_f16 v66, v66, v71, v62
	ds_read2_b64 v[62:65], v44 offset1:32
	v_pk_fma_f16 v72, v67, v71, v72
	v_pk_fma_f16 v73, v68, v71, v74
	;; [unrolled: 1-line block ×3, first 2 shown]
	v_mul_u32_u24_sdwa v71, v4, s25 dst_sel:DWORD dst_unused:UNUSED_PAD src0_sel:WORD_0 src1_sel:DWORD
	s_waitcnt lgkmcnt(0)
	v_pk_fma_f16 v62, v62, v71, v66
	ds_read2_b64 v[66:69], v44 offset0:64 offset1:96
	v_mul_u32_u24_sdwa v4, v4, s25 dst_sel:DWORD dst_unused:UNUSED_PAD src0_sel:WORD_1 src1_sel:DWORD
	v_pk_fma_f16 v72, v63, v71, v72
	v_pk_fma_f16 v73, v64, v71, v73
	;; [unrolled: 1-line block ×3, first 2 shown]
	s_waitcnt lgkmcnt(0)
	v_pk_fma_f16 v66, v66, v4, v62
	ds_read2_b64 v[62:65], v44 offset0:128 offset1:160
	v_pk_fma_f16 v71, v67, v4, v72
	v_pk_fma_f16 v72, v68, v4, v73
	;; [unrolled: 1-line block ×3, first 2 shown]
	v_mul_u32_u24_sdwa v70, v5, s25 dst_sel:DWORD dst_unused:UNUSED_PAD src0_sel:WORD_0 src1_sel:DWORD
	s_waitcnt lgkmcnt(0)
	v_pk_fma_f16 v62, v62, v70, v66
	ds_read2_b64 v[66:69], v44 offset0:192 offset1:224
	v_mul_u32_u24_sdwa v5, v5, s25 dst_sel:DWORD dst_unused:UNUSED_PAD src0_sel:WORD_1 src1_sel:DWORD
	v_pk_fma_f16 v4, v65, v70, v4
	v_pk_fma_f16 v63, v63, v70, v71
	;; [unrolled: 1-line block ×3, first 2 shown]
	s_waitcnt lgkmcnt(0)
	v_pk_fma_f16 v65, v66, v5, v62
	v_add_u32_e32 v62, 0x2800, v40
	ds_read2_b64 v[70:73], v62 offset1:32
	v_pk_fma_f16 v63, v67, v5, v63
	v_pk_fma_f16 v68, v68, v5, v64
	;; [unrolled: 1-line block ×3, first 2 shown]
	v_mul_u32_u24_sdwa v5, v6, s25 dst_sel:DWORD dst_unused:UNUSED_PAD src0_sel:WORD_0 src1_sel:DWORD
	s_waitcnt lgkmcnt(0)
	v_pk_fma_f16 v69, v70, v5, v65
	ds_read2_b64 v[64:67], v62 offset0:64 offset1:96
	v_pk_fma_f16 v63, v71, v5, v63
	v_pk_fma_f16 v72, v72, v5, v68
	;; [unrolled: 1-line block ×3, first 2 shown]
	v_mul_u32_u24_sdwa v5, v6, s25 dst_sel:DWORD dst_unused:UNUSED_PAD src0_sel:WORD_1 src1_sel:DWORD
	s_waitcnt lgkmcnt(0)
	v_pk_fma_f16 v6, v64, v5, v69
	ds_read2_b64 v[68:71], v62 offset0:128 offset1:160
	v_pk_fma_f16 v63, v65, v5, v63
	v_pk_fma_f16 v72, v66, v5, v72
	;; [unrolled: 1-line block ×3, first 2 shown]
	ds_read2_b64 v[64:67], v62 offset0:192 offset1:224
	v_mul_u32_u24_sdwa v5, v7, s25 dst_sel:DWORD dst_unused:UNUSED_PAD src0_sel:WORD_0 src1_sel:DWORD
	s_waitcnt lgkmcnt(1)
	v_pk_fma_f16 v6, v68, v5, v6
	v_pk_fma_f16 v68, v70, v5, v72
	v_mul_u32_u24_sdwa v70, v7, s25 dst_sel:DWORD dst_unused:UNUSED_PAD src0_sel:WORD_1 src1_sel:DWORD
	v_pk_fma_f16 v63, v69, v5, v63
	v_pk_fma_f16 v69, v71, v5, v4
	s_waitcnt lgkmcnt(0)
	v_pk_fma_f16 v64, v64, v70, v6
	ds_read2_b64 v[4:7], v110 offset1:32
	v_pk_fma_f16 v63, v65, v70, v63
	v_pk_fma_f16 v68, v66, v70, v68
	;; [unrolled: 1-line block ×3, first 2 shown]
	v_mul_u32_u24_sdwa v70, v0, s25 dst_sel:DWORD dst_unused:UNUSED_PAD src0_sel:WORD_0 src1_sel:DWORD
	s_waitcnt lgkmcnt(0)
	v_pk_fma_f16 v111, v4, v70, v64
	ds_read2_b64 v[64:67], v110 offset0:64 offset1:96
	v_pk_fma_f16 v63, v5, v70, v63
	v_pk_fma_f16 v112, v6, v70, v68
	;; [unrolled: 1-line block ×3, first 2 shown]
	ds_read2_b64 v[4:7], v110 offset0:128 offset1:160
	ds_read2_b64 v[68:71], v110 offset0:192 offset1:224
	ds_read2_b64 v[72:75], v114 offset1:32
	ds_read2_b64 v[76:79], v114 offset0:64 offset1:96
	ds_read2_b64 v[80:83], v114 offset0:128 offset1:160
	;; [unrolled: 1-line block ×3, first 2 shown]
	s_waitcnt lgkmcnt(0)
	s_barrier
	global_load_dwordx4 v[88:91], v[96:97], off
	global_load_dwordx4 v[92:95], v[98:99], off
	v_lshl_add_u64 v[96:97], s[28:29], 0, v[34:35]
	v_lshl_add_u64 v[104:105], v[96:97], 0, v[14:15]
	;; [unrolled: 1-line block ×4, first 2 shown]
	global_load_dwordx4 v[96:99], v[104:105], off
	global_load_dwordx4 v[100:103], v[106:107], off
	v_mul_u32_u24_sdwa v0, v0, s25 dst_sel:DWORD dst_unused:UNUSED_PAD src0_sel:WORD_1 src1_sel:DWORD
	v_pk_fma_f16 v64, v64, v0, v111
	v_pk_fma_f16 v63, v65, v0, v63
	;; [unrolled: 1-line block ×4, first 2 shown]
	v_mul_u32_u24_sdwa v66, v1, s25 dst_sel:DWORD dst_unused:UNUSED_PAD src0_sel:WORD_0 src1_sel:DWORD
	v_pk_fma_f16 v4, v4, v66, v64
	v_pk_fma_f16 v5, v5, v66, v63
	;; [unrolled: 1-line block ×4, first 2 shown]
	v_mul_u32_u24_sdwa v1, v1, s25 dst_sel:DWORD dst_unused:UNUSED_PAD src0_sel:WORD_1 src1_sel:DWORD
	v_pk_fma_f16 v4, v68, v1, v4
	v_pk_fma_f16 v5, v69, v1, v5
	;; [unrolled: 1-line block ×4, first 2 shown]
	v_mul_u32_u24_sdwa v1, v2, s25 dst_sel:DWORD dst_unused:UNUSED_PAD src0_sel:WORD_0 src1_sel:DWORD
	v_pk_fma_f16 v4, v72, v1, v4
	v_pk_fma_f16 v5, v73, v1, v5
	;; [unrolled: 1-line block ×4, first 2 shown]
	v_mul_u32_u24_sdwa v1, v2, s25 dst_sel:DWORD dst_unused:UNUSED_PAD src0_sel:WORD_1 src1_sel:DWORD
	v_pk_fma_f16 v2, v76, v1, v4
	v_pk_fma_f16 v4, v77, v1, v5
	;; [unrolled: 1-line block ×4, first 2 shown]
	v_mul_u32_u24_sdwa v1, v3, s25 dst_sel:DWORD dst_unused:UNUSED_PAD src0_sel:WORD_0 src1_sel:DWORD
	v_add_f32_e32 v9, v9, v109
	v_pk_fma_f16 v2, v80, v1, v2
	v_pk_fma_f16 v4, v81, v1, v4
	;; [unrolled: 1-line block ×4, first 2 shown]
	v_mul_u32_u24_sdwa v1, v3, s25 dst_sel:DWORD dst_unused:UNUSED_PAD src0_sel:WORD_1 src1_sel:DWORD
	v_fmac_f32_e32 v9, v61, v108
	v_pk_fma_f16 v61, v84, v1, v2
	v_pk_fma_f16 v63, v85, v1, v4
	;; [unrolled: 1-line block ×4, first 2 shown]
	s_waitcnt vmcnt(3)
	ds_write_b128 v55, v[88:91]
	s_waitcnt vmcnt(2)
	ds_write_b128 v56, v[92:95]
	;; [unrolled: 2-line block ×4, first 2 shown]
	s_waitcnt lgkmcnt(0)
	s_barrier
	ds_read_b128 v[64:67], v53 offset:64
	ds_read2_b64 v[68:71], v40 offset1:32
	ds_read_b128 v[72:75], v53 offset:80
	ds_read_b128 v[4:7], v53 offset:96
	;; [unrolled: 1-line block ×3, first 2 shown]
	ds_read2_b64 v[76:79], v40 offset0:64 offset1:96
	s_waitcnt lgkmcnt(5)
	v_mul_u32_u24_sdwa v82, v64, s25 dst_sel:DWORD dst_unused:UNUSED_PAD src0_sel:WORD_0 src1_sel:DWORD
	s_waitcnt lgkmcnt(4)
	v_pk_fma_f16 v61, v68, v82, v61
	v_pk_fma_f16 v63, v69, v82, v63
	v_pk_fma_f16 v80, v70, v82, v80
	v_pk_fma_f16 v81, v71, v82, v81
	v_mul_u32_u24_sdwa v64, v64, s25 dst_sel:DWORD dst_unused:UNUSED_PAD src0_sel:WORD_1 src1_sel:DWORD
	ds_read2_b64 v[68:71], v40 offset0:128 offset1:160
	s_waitcnt lgkmcnt(1)
	v_pk_fma_f16 v61, v76, v64, v61
	v_pk_fma_f16 v63, v77, v64, v63
	v_pk_fma_f16 v80, v78, v64, v80
	v_pk_fma_f16 v64, v79, v64, v81
	ds_read2_b64 v[76:79], v40 offset0:192 offset1:224
	v_mul_u32_u24_sdwa v81, v65, s25 dst_sel:DWORD dst_unused:UNUSED_PAD src0_sel:WORD_0 src1_sel:DWORD
	s_waitcnt lgkmcnt(1)
	v_pk_fma_f16 v61, v68, v81, v61
	v_pk_fma_f16 v63, v69, v81, v63
	v_pk_fma_f16 v80, v70, v81, v80
	v_pk_fma_f16 v64, v71, v81, v64
	v_mul_u32_u24_sdwa v65, v65, s25 dst_sel:DWORD dst_unused:UNUSED_PAD src0_sel:WORD_1 src1_sel:DWORD
	ds_read2_b64 v[68:71], v27 offset1:32
	s_waitcnt lgkmcnt(1)
	v_pk_fma_f16 v61, v76, v65, v61
	v_pk_fma_f16 v63, v77, v65, v63
	v_pk_fma_f16 v80, v78, v65, v80
	v_pk_fma_f16 v64, v79, v65, v64
	ds_read2_b64 v[76:79], v27 offset0:64 offset1:96
	v_mul_u32_u24_sdwa v65, v66, s25 dst_sel:DWORD dst_unused:UNUSED_PAD src0_sel:WORD_0 src1_sel:DWORD
	s_waitcnt lgkmcnt(1)
	v_pk_fma_f16 v61, v68, v65, v61
	v_pk_fma_f16 v63, v69, v65, v63
	v_pk_fma_f16 v80, v70, v65, v80
	v_pk_fma_f16 v64, v71, v65, v64
	v_mul_u32_u24_sdwa v65, v66, s25 dst_sel:DWORD dst_unused:UNUSED_PAD src0_sel:WORD_1 src1_sel:DWORD
	ds_read2_b64 v[68:71], v27 offset0:128 offset1:160
	s_waitcnt lgkmcnt(1)
	v_pk_fma_f16 v61, v76, v65, v61
	v_pk_fma_f16 v63, v77, v65, v63
	v_pk_fma_f16 v66, v78, v65, v80
	v_pk_fma_f16 v64, v79, v65, v64
	ds_read2_b64 v[76:79], v27 offset0:192 offset1:224
	v_mul_u32_u24_sdwa v65, v67, s25 dst_sel:DWORD dst_unused:UNUSED_PAD src0_sel:WORD_0 src1_sel:DWORD
	s_waitcnt lgkmcnt(1)
	v_pk_fma_f16 v61, v68, v65, v61
	v_pk_fma_f16 v27, v69, v65, v63
	v_pk_fma_f16 v63, v70, v65, v66
	v_pk_fma_f16 v68, v71, v65, v64
	v_mul_u32_u24_sdwa v69, v67, s25 dst_sel:DWORD dst_unused:UNUSED_PAD src0_sel:WORD_1 src1_sel:DWORD
	ds_read2_b64 v[64:67], v42 offset1:32
	s_waitcnt lgkmcnt(1)
	v_pk_fma_f16 v61, v76, v69, v61
	v_pk_fma_f16 v27, v77, v69, v27
	v_pk_fma_f16 v63, v78, v69, v63
	v_pk_fma_f16 v76, v79, v69, v68
	ds_read2_b64 v[68:71], v42 offset0:64 offset1:96
	;; [unrolled: 28-line block ×5, first 2 shown]
	v_mul_u32_u24_sdwa v5, v6, s25 dst_sel:DWORD dst_unused:UNUSED_PAD src0_sel:WORD_0 src1_sel:DWORD
	s_waitcnt lgkmcnt(1)
	v_pk_fma_f16 v43, v64, v5, v43
	v_pk_fma_f16 v27, v65, v5, v27
	;; [unrolled: 1-line block ×4, first 2 shown]
	v_mul_u32_u24_sdwa v5, v6, s25 dst_sel:DWORD dst_unused:UNUSED_PAD src0_sel:WORD_1 src1_sel:DWORD
	ds_read2_b64 v[64:67], v62 offset0:128 offset1:160
	s_waitcnt lgkmcnt(1)
	v_pk_fma_f16 v6, v68, v5, v43
	v_pk_fma_f16 v27, v69, v5, v27
	;; [unrolled: 1-line block ×4, first 2 shown]
	ds_read2_b64 v[68:71], v62 offset0:192 offset1:224
	v_mul_u32_u24_sdwa v5, v7, s25 dst_sel:DWORD dst_unused:UNUSED_PAD src0_sel:WORD_0 src1_sel:DWORD
	s_waitcnt lgkmcnt(1)
	v_pk_fma_f16 v6, v64, v5, v6
	v_mul_u32_u24_sdwa v44, v7, s25 dst_sel:DWORD dst_unused:UNUSED_PAD src0_sel:WORD_1 src1_sel:DWORD
	v_pk_fma_f16 v27, v65, v5, v27
	v_pk_fma_f16 v42, v66, v5, v42
	;; [unrolled: 1-line block ×3, first 2 shown]
	s_waitcnt lgkmcnt(0)
	v_pk_fma_f16 v61, v68, v44, v6
	ds_read2_b64 v[4:7], v110 offset1:32
	ds_read2_b64 v[62:65], v110 offset0:64 offset1:96
	v_pk_fma_f16 v27, v69, v44, v27
	v_pk_fma_f16 v42, v70, v44, v42
	;; [unrolled: 1-line block ×3, first 2 shown]
	v_mul_u32_u24_sdwa v44, v0, s25 dst_sel:DWORD dst_unused:UNUSED_PAD src0_sel:WORD_0 src1_sel:DWORD
	s_waitcnt lgkmcnt(1)
	v_pk_fma_f16 v4, v4, v44, v61
	v_mul_u32_u24_sdwa v0, v0, s25 dst_sel:DWORD dst_unused:UNUSED_PAD src0_sel:WORD_1 src1_sel:DWORD
	v_pk_fma_f16 v27, v5, v44, v27
	v_pk_fma_f16 v42, v6, v44, v42
	;; [unrolled: 1-line block ×3, first 2 shown]
	s_waitcnt lgkmcnt(0)
	v_pk_fma_f16 v44, v62, v0, v4
	ds_read2_b64 v[4:7], v110 offset0:128 offset1:160
	v_pk_fma_f16 v27, v63, v0, v27
	v_pk_fma_f16 v42, v64, v0, v42
	;; [unrolled: 1-line block ×3, first 2 shown]
	ds_read2_b64 v[62:65], v110 offset0:192 offset1:224
	v_mul_u32_u24_sdwa v43, v1, s25 dst_sel:DWORD dst_unused:UNUSED_PAD src0_sel:WORD_0 src1_sel:DWORD
	s_waitcnt lgkmcnt(1)
	v_pk_fma_f16 v4, v4, v43, v44
	v_mul_u32_u24_sdwa v1, v1, s25 dst_sel:DWORD dst_unused:UNUSED_PAD src0_sel:WORD_1 src1_sel:DWORD
	v_pk_fma_f16 v27, v5, v43, v27
	v_pk_fma_f16 v42, v6, v43, v42
	;; [unrolled: 1-line block ×3, first 2 shown]
	s_waitcnt lgkmcnt(0)
	v_pk_fma_f16 v43, v62, v1, v4
	ds_read2_b64 v[4:7], v114 offset1:32
	v_pk_fma_f16 v27, v63, v1, v27
	v_pk_fma_f16 v42, v64, v1, v42
	;; [unrolled: 1-line block ×3, first 2 shown]
	ds_read2_b64 v[62:65], v114 offset0:64 offset1:96
	v_mul_u32_u24_sdwa v1, v2, s25 dst_sel:DWORD dst_unused:UNUSED_PAD src0_sel:WORD_0 src1_sel:DWORD
	s_waitcnt lgkmcnt(1)
	v_pk_fma_f16 v4, v4, v1, v43
	v_pk_fma_f16 v27, v5, v1, v27
	;; [unrolled: 1-line block ×4, first 2 shown]
	v_mul_u32_u24_sdwa v1, v2, s25 dst_sel:DWORD dst_unused:UNUSED_PAD src0_sel:WORD_1 src1_sel:DWORD
	s_waitcnt lgkmcnt(0)
	v_pk_fma_f16 v2, v62, v1, v4
	ds_read2_b64 v[4:7], v114 offset0:128 offset1:160
	v_pk_fma_f16 v27, v63, v1, v27
	v_pk_fma_f16 v42, v64, v1, v42
	v_pk_fma_f16 v0, v65, v1, v0
	v_mul_u32_u24_sdwa v1, v3, s25 dst_sel:DWORD dst_unused:UNUSED_PAD src0_sel:WORD_0 src1_sel:DWORD
	s_waitcnt lgkmcnt(0)
	v_pk_fma_f16 v2, v4, v1, v2
	v_pk_fma_f16 v27, v5, v1, v27
	;; [unrolled: 1-line block ×4, first 2 shown]
	ds_read2_b64 v[4:7], v114 offset0:192 offset1:224
	s_waitcnt lgkmcnt(0)
	s_barrier
	s_load_dword s28, s[6:7], 0x4
	v_mul_u32_u24_sdwa v1, v3, s25 dst_sel:DWORD dst_unused:UNUSED_PAD src0_sel:WORD_1 src1_sel:DWORD
	v_pk_fma_f16 v42, v4, v1, v2
	v_pk_fma_f16 v27, v5, v1, v27
	;; [unrolled: 1-line block ×3, first 2 shown]
	s_waitcnt lgkmcnt(0)
	s_lshl_b32 s28, s28, 6
	s_add_i32 s13, s28, s13
	s_cmp_lt_i32 s13, s10
	v_pk_fma_f16 v43, v7, v1, v0
	s_cbranch_scc0 .LBB49_16
; %bb.14:                               ;   in Loop: Header=BB49_8 Depth=1
	v_mov_b32_e32 v62, v10
	v_mov_b32_e32 v61, v9
	s_branch .LBB49_8
.LBB49_15:
	v_mov_b32_e32 v42, 0
	v_mov_b32_e32 v10, 0xfeffffff
	;; [unrolled: 1-line block ×5, first 2 shown]
.LBB49_16:
	s_cmp_gt_i32 s38, s13
	s_cbranch_scc1 .LBB49_18
; %bb.17:
	v_mbcnt_hi_u32_b32 v24, -1, v47
	v_and_b32_e32 v0, 0x60, v24
	v_add_u32_e32 v25, 32, v0
	v_xor_b32_e32 v31, 16, v24
	v_xor_b32_e32 v30, 8, v24
	;; [unrolled: 1-line block ×5, first 2 shown]
	s_cbranch_execz .LBB49_19
	s_branch .LBB49_29
.LBB49_18:
                                        ; implicit-def: $vgpr24
                                        ; implicit-def: $vgpr25
                                        ; implicit-def: $vgpr31
                                        ; implicit-def: $vgpr30
                                        ; implicit-def: $vgpr29
                                        ; implicit-def: $vgpr28
                                        ; implicit-def: $vgpr26
.LBB49_19:
	s_mul_hi_i32 s5, s13, s18
	s_mul_i32 s4, s13, s18
	s_sub_i32 s15, s38, s13
	s_lshl_b64 s[4:5], s[4:5], 2
	v_lshl_add_u32 v15, v41, 1, v17
	s_mov_b64 s[6:7], src_private_base
	s_add_u32 s24, s8, s4
	v_mul_lo_u32 v0, s18, v15
	s_mov_b32 s4, 0
	s_addc_u32 s25, s9, s5
	v_ashrrev_i32_e32 v1, 31, v0
	s_mov_b32 s6, s4
	v_lshlrev_b32_e32 v2, 2, v16
	v_mov_b32_e32 v3, 0
	s_mov_b32 s5, s4
	v_mov_b32_e32 v26, s6
	v_lshl_add_u64 v[4:5], v[0:1], 2, s[24:25]
	v_mov_b32_e32 v25, s5
	v_mov_b32_e32 v24, s4
	v_lshl_add_u64 v[6:7], v[4:5], 0, v[2:3]
	v_mov_b32_e32 v20, s7
	v_cmp_gt_i32_e64 s[8:9], s15, v15
	v_mov_b32_e32 v22, 0
	scratch_store_dword off, v3, off
	scratch_store_dwordx3 off, v[24:26], off offset:4
	v_cndmask_b32_e64 v5, v20, v7, s[8:9]
	v_cndmask_b32_e64 v4, v22, v6, s[8:9]
	flat_load_dwordx4 v[16:19], v[4:5]
	s_lshl_b32 s6, s18, 4
	v_add_u32_e32 v0, s6, v0
	v_ashrrev_i32_e32 v1, 31, v0
	s_movk_i32 s4, 0x110
	v_add_u32_e32 v23, 16, v15
	v_lshl_add_u64 v[4:5], v[0:1], 2, s[24:25]
	v_mad_u32_u24 v21, v15, s4, v2
	v_lshl_add_u64 v[4:5], v[4:5], 0, v[2:3]
	v_cmp_gt_i32_e32 vcc, s15, v23
	scratch_store_dword off, v3, off
	scratch_store_dwordx3 off, v[24:26], off offset:4
	v_cndmask_b32_e32 v29, v20, v5, vcc
	v_cndmask_b32_e32 v28, v22, v4, vcc
	v_add_u32_e32 v0, s6, v0
	v_ashrrev_i32_e32 v1, 31, v0
	s_mov_b64 s[18:19], 0x100
	v_lshl_add_u64 v[6:7], v[6:7], 0, s[18:19]
	v_cndmask_b32_e64 v7, v20, v7, s[8:9]
	v_cndmask_b32_e64 v6, v22, v6, s[8:9]
	v_lshl_add_u64 v[4:5], v[4:5], 0, s[18:19]
	v_cndmask_b32_e32 v5, v20, v5, vcc
	v_cndmask_b32_e32 v4, v22, v4, vcc
	s_cmp_lg_u64 s[36:37], 0
	v_cmp_gt_i32_e32 vcc, s15, v12
	s_waitcnt vmcnt(0) lgkmcnt(0)
	ds_write_b128 v21, v[16:19]
	flat_load_dwordx4 v[28:31], v[28:29]
	v_add_u32_e32 v18, 32, v15
	v_lshl_add_u64 v[16:17], v[0:1], 2, s[24:25]
	v_lshl_add_u64 v[16:17], v[16:17], 0, v[2:3]
	v_cmp_gt_i32_e64 s[4:5], s15, v18
	scratch_store_dword off, v3, off
	scratch_store_dwordx3 off, v[24:26], off offset:4
	v_cndmask_b32_e64 v19, v20, v17, s[4:5]
	v_cndmask_b32_e64 v18, v22, v16, s[4:5]
	v_add_u32_e32 v0, s6, v0
	v_ashrrev_i32_e32 v1, 31, v0
	v_add_u32_e32 v15, 48, v15
	v_lshl_add_u64 v[0:1], v[0:1], 2, s[24:25]
	v_cmp_gt_i32_e64 s[6:7], s15, v15
	v_mul_u32_u24_e32 v15, 0x110, v12
	v_lshl_add_u64 v[16:17], v[16:17], 0, s[18:19]
	v_cndmask_b32_e64 v17, v20, v17, s[4:5]
	v_cndmask_b32_e64 v16, v22, v16, s[4:5]
	s_cselect_b64 s[4:5], -1, 0
	s_waitcnt vmcnt(0) lgkmcnt(0)
	ds_write_b128 v21, v[28:31] offset:4352
	flat_load_dwordx4 v[28:31], v[18:19]
	v_lshl_add_u64 v[18:19], v[0:1], 0, v[2:3]
	v_cndmask_b32_e64 v1, v20, v19, s[6:7]
	v_cndmask_b32_e64 v0, v22, v18, s[6:7]
	scratch_store_dword off, v3, off
	scratch_store_dwordx3 off, v[24:26], off offset:4
	v_mul_lo_u32 v2, v13, s14
	v_cndmask_b32_e64 v13, 0, 1, s[4:5]
	v_add_u32_e32 v2, s13, v2
	v_cmp_ne_u32_e64 s[4:5], 1, v13
	s_waitcnt vmcnt(0) lgkmcnt(0)
	ds_write_b128 v21, v[28:31] offset:8704
	flat_load_dwordx4 v[28:31], v[0:1]
	v_mov_b32_e32 v0, v3
	v_mov_b32_e32 v1, v3
	s_waitcnt vmcnt(0) lgkmcnt(0)
	ds_write_b128 v21, v[28:31] offset:13056
	s_waitcnt lgkmcnt(0)
	s_barrier
	ds_read_b128 v[28:31], v15
	ds_read_b128 v[32:35], v46
	ds_read_b128 v[48:51], v15 offset:8704
	s_waitcnt lgkmcnt(1)
	;;#ASMSTART
	v_dot2_f32_f16 v0, v28, v32, v0
	;;#ASMEND
	s_nop 0
	;;#ASMSTART
	v_dot2_f32_f16 v0, v29, v33, v0
	;;#ASMEND
	s_nop 0
	;;#ASMSTART
	v_dot2_f32_f16 v0, v30, v34, v0
	;;#ASMEND
	s_nop 0
	;;#ASMSTART
	v_dot2_f32_f16 v0, v31, v35, v0
	;;#ASMEND
	s_waitcnt lgkmcnt(0)
	;;#ASMSTART
	v_dot2_f32_f16 v1, v48, v32, v1
	;;#ASMEND
	s_nop 0
	;;#ASMSTART
	v_dot2_f32_f16 v1, v49, v33, v1
	;;#ASMEND
	s_nop 0
	;;#ASMSTART
	v_dot2_f32_f16 v1, v50, v34, v1
	;;#ASMEND
	s_nop 0
	;;#ASMSTART
	v_dot2_f32_f16 v1, v51, v35, v1
	;;#ASMEND
	ds_read_b128 v[28:31], v15 offset:16
	ds_read_b128 v[32:35], v46 offset:16
	ds_read_b128 v[48:51], v15 offset:8720
	s_waitcnt lgkmcnt(1)
	;;#ASMSTART
	v_dot2_f32_f16 v0, v28, v32, v0
	;;#ASMEND
	s_nop 0
	;;#ASMSTART
	v_dot2_f32_f16 v0, v29, v33, v0
	;;#ASMEND
	s_nop 0
	;;#ASMSTART
	v_dot2_f32_f16 v0, v30, v34, v0
	;;#ASMEND
	s_nop 0
	;;#ASMSTART
	v_dot2_f32_f16 v0, v31, v35, v0
	;;#ASMEND
	s_waitcnt lgkmcnt(0)
	;;#ASMSTART
	v_dot2_f32_f16 v1, v48, v32, v1
	;;#ASMEND
	s_nop 0
	;;#ASMSTART
	v_dot2_f32_f16 v1, v49, v33, v1
	;;#ASMEND
	s_nop 0
	;;#ASMSTART
	v_dot2_f32_f16 v1, v50, v34, v1
	;;#ASMEND
	s_nop 0
	;;#ASMSTART
	v_dot2_f32_f16 v1, v51, v35, v1
	;;#ASMEND
	ds_read_b128 v[28:31], v15 offset:32
	ds_read_b128 v[32:35], v46 offset:32
	;; [unrolled: 35-line block ×15, first 2 shown]
	ds_read_b128 v[48:51], v15 offset:8944
	s_waitcnt lgkmcnt(1)
	;;#ASMSTART
	v_dot2_f32_f16 v0, v28, v32, v0
	;;#ASMEND
	s_nop 0
	;;#ASMSTART
	v_dot2_f32_f16 v0, v29, v33, v0
	;;#ASMEND
	s_nop 0
	;; [unrolled: 4-line block ×3, first 2 shown]
	;;#ASMSTART
	v_dot2_f32_f16 v0, v31, v35, v0
	;;#ASMEND
	s_waitcnt lgkmcnt(0)
	;;#ASMSTART
	v_dot2_f32_f16 v1, v48, v32, v1
	;;#ASMEND
	s_nop 0
	;;#ASMSTART
	v_dot2_f32_f16 v1, v49, v33, v1
	;;#ASMEND
	s_nop 0
	;; [unrolled: 4-line block ×3, first 2 shown]
	;;#ASMSTART
	v_dot2_f32_f16 v1, v51, v35, v1
	;;#ASMEND
	s_barrier
	scratch_store_dword off, v3, off
	scratch_store_dwordx3 off, v[24:26], off offset:4
	flat_load_dwordx4 v[28:31], v[6:7]
	s_nop 0
	scratch_store_dword off, v3, off
	scratch_store_dwordx3 off, v[24:26], off offset:4
	s_waitcnt vmcnt(0) lgkmcnt(0)
	ds_write_b128 v21, v[28:31]
	flat_load_dwordx4 v[4:7], v[4:5]
	s_nop 0
	scratch_store_dword off, v3, off
	scratch_store_dwordx3 off, v[24:26], off offset:4
	s_waitcnt vmcnt(0) lgkmcnt(0)
	ds_write_b128 v21, v[4:7] offset:4352
	flat_load_dwordx4 v[4:7], v[16:17]
	v_lshl_add_u64 v[16:17], v[18:19], 0, s[18:19]
	v_cndmask_b32_e64 v17, v20, v17, s[6:7]
	v_cndmask_b32_e64 v16, v22, v16, s[6:7]
	scratch_store_dword off, v3, off
	scratch_store_dwordx3 off, v[24:26], off offset:4
	s_waitcnt vmcnt(0) lgkmcnt(0)
	ds_write_b128 v21, v[4:7] offset:8704
	flat_load_dwordx4 v[4:7], v[16:17]
	s_waitcnt vmcnt(0) lgkmcnt(0)
	ds_write_b128 v21, v[4:7] offset:13056
	s_waitcnt lgkmcnt(0)
	s_barrier
	ds_read_b128 v[4:7], v15
	ds_read_b128 v[16:19], v46 offset:256
	ds_read_b128 v[20:23], v15 offset:8704
	s_waitcnt lgkmcnt(1)
	;;#ASMSTART
	v_dot2_f32_f16 v0, v4, v16, v0
	;;#ASMEND
	s_nop 0
	;;#ASMSTART
	v_dot2_f32_f16 v0, v5, v17, v0
	;;#ASMEND
	s_nop 0
	;;#ASMSTART
	v_dot2_f32_f16 v0, v6, v18, v0
	;;#ASMEND
	s_nop 0
	;;#ASMSTART
	v_dot2_f32_f16 v0, v7, v19, v0
	;;#ASMEND
	s_waitcnt lgkmcnt(0)
	;;#ASMSTART
	v_dot2_f32_f16 v1, v20, v16, v1
	;;#ASMEND
	s_nop 0
	;;#ASMSTART
	v_dot2_f32_f16 v1, v21, v17, v1
	;;#ASMEND
	s_nop 0
	;;#ASMSTART
	v_dot2_f32_f16 v1, v22, v18, v1
	;;#ASMEND
	s_nop 0
	;;#ASMSTART
	v_dot2_f32_f16 v1, v23, v19, v1
	;;#ASMEND
	ds_read_b128 v[4:7], v15 offset:16
	ds_read_b128 v[16:19], v46 offset:272
	ds_read_b128 v[20:23], v15 offset:8720
	s_waitcnt lgkmcnt(1)
	;;#ASMSTART
	v_dot2_f32_f16 v0, v4, v16, v0
	;;#ASMEND
	s_nop 0
	;;#ASMSTART
	v_dot2_f32_f16 v0, v5, v17, v0
	;;#ASMEND
	s_nop 0
	;;#ASMSTART
	v_dot2_f32_f16 v0, v6, v18, v0
	;;#ASMEND
	s_nop 0
	;;#ASMSTART
	v_dot2_f32_f16 v0, v7, v19, v0
	;;#ASMEND
	s_waitcnt lgkmcnt(0)
	;;#ASMSTART
	v_dot2_f32_f16 v1, v20, v16, v1
	;;#ASMEND
	s_nop 0
	;;#ASMSTART
	v_dot2_f32_f16 v1, v21, v17, v1
	;;#ASMEND
	s_nop 0
	;;#ASMSTART
	v_dot2_f32_f16 v1, v22, v18, v1
	;;#ASMEND
	s_nop 0
	;;#ASMSTART
	v_dot2_f32_f16 v1, v23, v19, v1
	;;#ASMEND
	ds_read_b128 v[4:7], v15 offset:32
	;; [unrolled: 35-line block ×15, first 2 shown]
	ds_read_b128 v[16:19], v46 offset:496
	ds_read_b128 v[20:23], v15 offset:8944
	s_waitcnt lgkmcnt(1)
	;;#ASMSTART
	v_dot2_f32_f16 v0, v4, v16, v0
	;;#ASMEND
	s_nop 0
	;;#ASMSTART
	v_dot2_f32_f16 v0, v5, v17, v0
	;;#ASMEND
	v_mov_b32_e32 v5, v10
	;;#ASMSTART
	v_dot2_f32_f16 v0, v6, v18, v0
	;;#ASMEND
	s_nop 0
	;;#ASMSTART
	v_dot2_f32_f16 v0, v7, v19, v0
	;;#ASMEND
	s_waitcnt lgkmcnt(0)
	;;#ASMSTART
	v_dot2_f32_f16 v1, v20, v16, v1
	;;#ASMEND
	s_nop 0
	;;#ASMSTART
	v_dot2_f32_f16 v1, v21, v17, v1
	;;#ASMEND
	s_nop 0
	;; [unrolled: 4-line block ×3, first 2 shown]
	;;#ASMSTART
	v_dot2_f32_f16 v1, v23, v19, v1
	;;#ASMEND
	s_and_saveexec_b64 s[6:7], vcc
	s_cbranch_execz .LBB49_23
; %bb.20:
	s_and_b64 vcc, exec, s[4:5]
	s_cbranch_vccnz .LBB49_22
; %bb.21:
	v_add_u32_e32 v4, v2, v12
	v_ashrrev_i32_e32 v5, 31, v4
	v_lshl_add_u64 v[4:5], v[4:5], 1, s[36:37]
	global_load_ushort v3, v[4:5], off
	s_waitcnt vmcnt(0)
	v_cvt_f32_f16_e32 v3, v3
	v_mul_f32_e32 v3, v45, v3
.LBB49_22:
	v_add_f32_e32 v0, v0, v3
	v_add_f32_e32 v3, 0x40051340, v0
	v_max_f32_e32 v4, v10, v10
	v_max_f32_e32 v5, v4, v3
.LBB49_23:
	s_or_b64 exec, exec, s[6:7]
	v_add_u32_e32 v4, 32, v12
	v_cmp_gt_i32_e32 vcc, s15, v4
	s_and_saveexec_b64 s[6:7], vcc
	s_cbranch_execz .LBB49_28
; %bb.24:
	s_and_b64 vcc, exec, s[4:5]
	s_cbranch_vccnz .LBB49_26
; %bb.25:
	v_ashrrev_i32_e32 v3, 31, v2
	v_mov_b32_e32 v13, 0
	v_lshl_add_u64 v[2:3], v[2:3], 0, v[12:13]
	v_lshl_add_u64 v[2:3], v[2:3], 1, s[36:37]
	global_load_ushort v2, v[2:3], off offset:64
	s_waitcnt vmcnt(0)
	v_cvt_f32_f16_e32 v2, v2
	v_mul_f32_e32 v2, v45, v2
	s_branch .LBB49_27
.LBB49_26:
	v_mov_b32_e32 v2, 0
.LBB49_27:
	v_add_f32_e32 v1, v1, v2
	v_add_f32_e32 v2, 0x40051340, v1
	v_max_f32_e32 v3, v5, v5
	v_max_f32_e32 v5, v3, v2
.LBB49_28:
	s_or_b64 exec, exec, s[6:7]
	v_mbcnt_hi_u32_b32 v24, -1, v47
	v_and_b32_e32 v2, 0x60, v24
	v_xor_b32_e32 v26, 1, v24
	v_add_u32_e32 v25, 32, v2
	v_cmp_lt_i32_e32 vcc, v26, v25
	v_xor_b32_e32 v28, 2, v24
	v_xor_b32_e32 v29, 4, v24
	v_cndmask_b32_e32 v2, v24, v26, vcc
	v_cmp_lt_i32_e32 vcc, v28, v25
	v_xor_b32_e32 v30, 8, v24
	v_xor_b32_e32 v31, 16, v24
	v_cndmask_b32_e32 v3, v24, v28, vcc
	v_cmp_lt_i32_e32 vcc, v29, v25
	v_lshlrev_b32_e32 v3, 2, v3
	v_lshlrev_b32_e32 v2, 2, v2
	v_cndmask_b32_e32 v6, v24, v29, vcc
	v_cmp_lt_i32_e32 vcc, v30, v25
	v_lshlrev_b32_e32 v6, 2, v6
	s_mov_b32 s6, 0x3fb8aa3b
	v_cndmask_b32_e32 v7, v24, v30, vcc
	v_cmp_lt_i32_e32 vcc, v31, v25
	v_lshlrev_b32_e32 v7, 2, v7
	s_mov_b32 s7, 0xc2ce8ed0
	v_cndmask_b32_e32 v13, v24, v31, vcc
	v_lshlrev_b32_e32 v13, 2, v13
	ds_bpermute_b32 v13, v13, v5
	v_max_f32_e32 v5, v5, v5
	s_mov_b32 s9, 0x42b17218
	v_cmp_gt_u32_e32 vcc, s15, v12
	v_lshlrev_b32_e32 v33, 7, v41
	s_waitcnt lgkmcnt(0)
	v_max_f32_e32 v13, v13, v13
	v_max_f32_e32 v5, v5, v13
	ds_bpermute_b32 v7, v7, v5
	s_mov_b32 s8, 0
	s_mov_b32 s10, s8
	s_waitcnt lgkmcnt(0)
	s_barrier
	v_max_f32_e32 v7, v7, v7
	v_max_f32_e32 v5, v5, v7
	ds_bpermute_b32 v6, v6, v5
	s_waitcnt lgkmcnt(0)
	v_mov_b32_e32 v15, 0
	v_mov_b32_e32 v47, 0
	v_add_u32_e32 v34, v11, v14
	v_max_f32_e32 v6, v6, v6
	v_max_f32_e32 v5, v5, v6
	ds_bpermute_b32 v3, v3, v5
	v_add_u32_e32 v45, 8, v41
	v_add_u32_e32 v37, 24, v41
	v_lshl_add_u32 v35, v37, 9, v14
	s_mov_b32 s14, 0x10001
	s_waitcnt lgkmcnt(0)
	v_max_f32_e32 v3, v3, v3
	v_max_f32_e32 v3, v5, v3
	ds_bpermute_b32 v2, v2, v3
	s_waitcnt lgkmcnt(0)
	v_max_f32_e32 v2, v2, v2
	v_max_f32_e32 v32, v3, v2
	v_sub_f32_e32 v0, v0, v32
	v_mul_f32_e32 v3, 0x3fb8aa3b, v0
	v_fma_f32 v5, v0, s6, -v3
	v_rndne_f32_e32 v6, v3
	v_fmac_f32_e32 v5, 0x32a5705f, v0
	v_sub_f32_e32 v3, v3, v6
	v_add_f32_e32 v3, v3, v5
	v_exp_f32_e32 v3, v3
	v_cvt_i32_f32_e32 v5, v6
	v_cmp_ngt_f32_e64 s[4:5], s7, v0
	v_sub_f32_e32 v1, v1, v32
	v_sub_f32_e32 v2, v10, v32
	v_ldexp_f32 v3, v3, v5
	v_cndmask_b32_e64 v3, 0, v3, s[4:5]
	v_cmp_nlt_f32_e64 s[4:5], s9, v0
	v_mov_b32_e32 v0, 0x7f800000
	s_nop 0
	v_cndmask_b32_e64 v3, v0, v3, s[4:5]
	v_cndmask_b32_e32 v3, 0, v3, vcc
	v_cmp_gt_u32_e32 vcc, s15, v4
	v_mul_f32_e32 v4, 0x3fb8aa3b, v1
	v_fma_f32 v6, v1, s6, -v4
	v_rndne_f32_e32 v7, v4
	v_fmac_f32_e32 v6, 0x32a5705f, v1
	v_sub_f32_e32 v4, v4, v7
	v_add_f32_e32 v4, v4, v6
	v_exp_f32_e32 v4, v4
	v_cvt_i32_f32_e32 v6, v7
	v_cmp_ngt_f32_e64 s[4:5], s7, v1
	v_cvt_f16_f32_e32 v5, v3
	v_ldexp_f32 v4, v4, v6
	v_cndmask_b32_e64 v4, 0, v4, s[4:5]
	v_cmp_nlt_f32_e64 s[4:5], s9, v1
	s_nop 1
	v_cndmask_b32_e64 v1, v0, v4, s[4:5]
	v_cndmask_b32_e32 v1, 0, v1, vcc
	v_add_f32_e32 v13, v3, v1
	v_mul_f32_e32 v3, 0x3fb8aa3b, v2
	v_fma_f32 v4, v2, s6, -v3
	v_rndne_f32_e32 v6, v3
	v_fmac_f32_e32 v4, 0x32a5705f, v2
	v_sub_f32_e32 v3, v3, v6
	v_add_f32_e32 v3, v3, v4
	v_exp_f32_e32 v3, v3
	v_cvt_i32_f32_e32 v4, v6
	v_cmp_ngt_f32_e32 vcc, s7, v2
	s_movk_i32 s4, 0x5400
	s_mul_hi_i32 s7, s13, s2
	v_ldexp_f32 v3, v3, v4
	v_cndmask_b32_e32 v3, 0, v3, vcc
	v_cmp_nlt_f32_e32 vcc, s9, v2
	s_mul_i32 s6, s13, s2
	v_cvt_f16_f32_e32 v1, v1
	v_cndmask_b32_e32 v0, v0, v3, vcc
	v_fmac_f32_e32 v13, v9, v0
	v_cvt_f16_f32_e32 v0, v0
	s_lshl_b64 s[6:7], s[6:7], 2
	v_ashrrev_i32_e32 v9, 31, v8
	v_lshlrev_b64 v[22:23], 2, v[8:9]
	v_mul_u32_u24_e32 v51, 0x10001, v0
	v_lshlrev_b32_e32 v0, 1, v12
	v_add3_u32 v0, v33, s4, v0
	s_mov_b64 s[4:5], src_private_base
	s_lshl_b32 s4, s2, 3
	s_add_u32 s6, s11, s6
	s_addc_u32 s7, s12, s7
	ds_write_b16 v0, v5
	ds_write_b16 v0, v1 offset:64
	s_mov_b32 s9, s8
	v_mov_b32_e32 v50, s10
	v_lshl_add_u64 v[0:1], s[6:7], 0, v[22:23]
	v_mov_b32_e32 v49, s9
	v_mov_b32_e32 v48, s8
	v_cmp_gt_i32_e32 vcc, s15, v41
	v_lshl_add_u64 v[0:1], v[0:1], 0, v[14:15]
	v_mov_b32_e32 v46, s5
	scratch_store_dword off, v15, off
	scratch_store_dwordx3 off, v[48:50], off offset:4
	v_cndmask_b32_e32 v1, v46, v1, vcc
	v_cndmask_b32_e32 v0, v47, v0, vcc
	flat_load_dwordx4 v[0:3], v[0:1]
	v_add_u32_e32 v4, s4, v8
	v_ashrrev_i32_e32 v5, 31, v4
	v_lshlrev_b64 v[16:17], 2, v[4:5]
	v_cmp_gt_i32_e32 vcc, s15, v45
	v_add_u32_e32 v6, s4, v4
	v_ashrrev_i32_e32 v7, 31, v6
	v_pk_mul_f16 v61, v43, v51
	v_lshl_add_u32 v43, v45, 9, v14
	v_lshlrev_b64 v[18:19], 2, v[6:7]
	v_pk_mul_f16 v60, v44, v51
	v_add_u32_e32 v44, 16, v41
	v_add_u32_e32 v10, s4, v6
	v_ashrrev_i32_e32 v11, 31, v10
	v_lshl_add_u32 v36, v44, 9, v14
	v_lshlrev_b64 v[20:21], 2, v[10:11]
	s_or_b32 s4, s13, 32
	s_mul_hi_i32 s5, s4, s2
	s_mul_i32 s4, s4, s2
	s_lshl_b64 s[4:5], s[4:5], 2
	s_add_u32 s4, s11, s4
	s_addc_u32 s5, s12, s5
	s_sub_i32 s2, s15, 32
	s_waitcnt vmcnt(0) lgkmcnt(0)
	ds_write_b128 v34, v[0:3]
	v_lshl_add_u64 v[0:1], s[6:7], 0, v[16:17]
	v_lshl_add_u64 v[0:1], v[0:1], 0, v[14:15]
	scratch_store_dword off, v15, off
	scratch_store_dwordx3 off, v[48:50], off offset:4
	v_cndmask_b32_e32 v1, v46, v1, vcc
	v_cndmask_b32_e32 v0, v47, v0, vcc
	flat_load_dwordx4 v[0:3], v[0:1]
	v_cmp_gt_i32_e32 vcc, s15, v44
	s_waitcnt vmcnt(0) lgkmcnt(0)
	ds_write_b128 v43, v[0:3]
	v_lshl_add_u64 v[0:1], s[6:7], 0, v[18:19]
	v_lshl_add_u64 v[0:1], v[0:1], 0, v[14:15]
	scratch_store_dword off, v15, off
	scratch_store_dwordx3 off, v[48:50], off offset:4
	v_cndmask_b32_e32 v1, v46, v1, vcc
	v_cndmask_b32_e32 v0, v47, v0, vcc
	flat_load_dwordx4 v[0:3], v[0:1]
	v_cmp_gt_i32_e32 vcc, s15, v37
	;; [unrolled: 10-line block ×3, first 2 shown]
	s_waitcnt vmcnt(0) lgkmcnt(0)
	ds_write_b128 v35, v[0:3]
	s_waitcnt lgkmcnt(0)
	s_barrier
	ds_read2_b64 v[52:55], v40 offset1:32
	ds_read_b128 v[56:59], v33 offset:21504
	ds_read_b128 v[8:11], v33 offset:21520
	;; [unrolled: 1-line block ×4, first 2 shown]
	s_waitcnt lgkmcnt(3)
	v_mul_u32_u24_sdwa v62, v56, s14 dst_sel:DWORD dst_unused:UNUSED_PAD src0_sel:WORD_0 src1_sel:DWORD
	v_pk_mul_f16 v52, v52, v62
	v_mul_u32_u24_sdwa v56, v56, s14 dst_sel:DWORD dst_unused:UNUSED_PAD src0_sel:WORD_1 src1_sel:DWORD
	v_pk_fma_f16 v42, v42, v51, v52
	v_pk_mul_f16 v52, v53, v62
	s_nop 0
	v_pk_fma_f16 v27, v27, v51, v52
	v_pk_fma_f16 v51, v54, v62, v60
	;; [unrolled: 1-line block ×3, first 2 shown]
	ds_read2_b64 v[52:55], v40 offset0:64 offset1:96
	s_waitcnt lgkmcnt(0)
	v_pk_fma_f16 v42, v52, v56, v42
	v_pk_fma_f16 v27, v53, v56, v27
	;; [unrolled: 1-line block ×4, first 2 shown]
	ds_read2_b64 v[52:55], v40 offset0:128 offset1:160
	v_mul_u32_u24_sdwa v60, v57, s14 dst_sel:DWORD dst_unused:UNUSED_PAD src0_sel:WORD_0 src1_sel:DWORD
	v_mul_u32_u24_sdwa v57, v57, s14 dst_sel:DWORD dst_unused:UNUSED_PAD src0_sel:WORD_1 src1_sel:DWORD
	s_waitcnt lgkmcnt(0)
	v_pk_fma_f16 v42, v52, v60, v42
	v_pk_fma_f16 v27, v53, v60, v27
	;; [unrolled: 1-line block ×4, first 2 shown]
	ds_read2_b64 v[52:55], v40 offset0:192 offset1:224
	s_waitcnt lgkmcnt(0)
	v_pk_fma_f16 v60, v53, v57, v27
	v_add_u32_e32 v27, 0x800, v40
	v_pk_fma_f16 v42, v52, v57, v42
	v_pk_fma_f16 v51, v54, v57, v51
	;; [unrolled: 1-line block ×3, first 2 shown]
	ds_read2_b64 v[52:55], v27 offset1:32
	v_mul_u32_u24_sdwa v57, v58, s14 dst_sel:DWORD dst_unused:UNUSED_PAD src0_sel:WORD_0 src1_sel:DWORD
	s_waitcnt lgkmcnt(0)
	v_pk_fma_f16 v42, v52, v57, v42
	v_pk_fma_f16 v60, v53, v57, v60
	v_pk_fma_f16 v51, v54, v57, v51
	v_pk_fma_f16 v56, v55, v57, v56
	ds_read2_b64 v[52:55], v27 offset0:64 offset1:96
	v_mul_u32_u24_sdwa v57, v58, s14 dst_sel:DWORD dst_unused:UNUSED_PAD src0_sel:WORD_1 src1_sel:DWORD
	s_waitcnt lgkmcnt(0)
	v_pk_fma_f16 v42, v52, v57, v42
	v_pk_fma_f16 v58, v53, v57, v60
	v_pk_fma_f16 v51, v54, v57, v51
	v_pk_fma_f16 v56, v55, v57, v56
	ds_read2_b64 v[52:55], v27 offset0:128 offset1:160
	v_mul_u32_u24_sdwa v57, v59, s14 dst_sel:DWORD dst_unused:UNUSED_PAD src0_sel:WORD_0 src1_sel:DWORD
	s_waitcnt lgkmcnt(0)
	v_pk_fma_f16 v42, v52, v57, v42
	v_pk_fma_f16 v58, v53, v57, v58
	;; [unrolled: 1-line block ×4, first 2 shown]
	ds_read2_b64 v[52:55], v27 offset0:192 offset1:224
	v_mul_u32_u24_sdwa v57, v59, s14 dst_sel:DWORD dst_unused:UNUSED_PAD src0_sel:WORD_1 src1_sel:DWORD
	s_waitcnt lgkmcnt(0)
	v_pk_fma_f16 v59, v52, v57, v42
	v_add_u32_e32 v42, 0x1000, v40
	v_pk_fma_f16 v58, v53, v57, v58
	v_pk_fma_f16 v51, v54, v57, v51
	;; [unrolled: 1-line block ×3, first 2 shown]
	ds_read2_b64 v[52:55], v42 offset1:32
	v_mul_u32_u24_sdwa v57, v8, s14 dst_sel:DWORD dst_unused:UNUSED_PAD src0_sel:WORD_0 src1_sel:DWORD
	v_mul_u32_u24_sdwa v8, v8, s14 dst_sel:DWORD dst_unused:UNUSED_PAD src0_sel:WORD_1 src1_sel:DWORD
	s_waitcnt lgkmcnt(0)
	v_pk_fma_f16 v59, v52, v57, v59
	v_pk_fma_f16 v58, v53, v57, v58
	v_pk_fma_f16 v51, v54, v57, v51
	v_pk_fma_f16 v56, v55, v57, v56
	ds_read2_b64 v[52:55], v42 offset0:64 offset1:96
	s_waitcnt lgkmcnt(0)
	v_pk_fma_f16 v57, v52, v8, v59
	v_pk_fma_f16 v58, v53, v8, v58
	;; [unrolled: 1-line block ×4, first 2 shown]
	ds_read2_b64 v[52:55], v42 offset0:128 offset1:160
	v_mul_u32_u24_sdwa v56, v9, s14 dst_sel:DWORD dst_unused:UNUSED_PAD src0_sel:WORD_0 src1_sel:DWORD
	v_mul_u32_u24_sdwa v9, v9, s14 dst_sel:DWORD dst_unused:UNUSED_PAD src0_sel:WORD_1 src1_sel:DWORD
	s_waitcnt lgkmcnt(0)
	v_pk_fma_f16 v57, v52, v56, v57
	v_pk_fma_f16 v58, v53, v56, v58
	;; [unrolled: 1-line block ×4, first 2 shown]
	ds_read2_b64 v[52:55], v42 offset0:192 offset1:224
	s_waitcnt lgkmcnt(0)
	v_pk_fma_f16 v56, v52, v9, v57
	v_pk_fma_f16 v57, v53, v9, v58
	v_pk_fma_f16 v51, v54, v9, v51
	v_pk_fma_f16 v9, v55, v9, v8
	v_add_u32_e32 v8, 0x1800, v40
	ds_read2_b64 v[52:55], v8 offset1:32
	v_mul_u32_u24_sdwa v58, v10, s14 dst_sel:DWORD dst_unused:UNUSED_PAD src0_sel:WORD_0 src1_sel:DWORD
	v_mul_u32_u24_sdwa v10, v10, s14 dst_sel:DWORD dst_unused:UNUSED_PAD src0_sel:WORD_1 src1_sel:DWORD
	s_waitcnt lgkmcnt(0)
	v_pk_fma_f16 v56, v52, v58, v56
	v_pk_fma_f16 v57, v53, v58, v57
	;; [unrolled: 1-line block ×4, first 2 shown]
	ds_read2_b64 v[52:55], v8 offset0:64 offset1:96
	s_waitcnt lgkmcnt(0)
	v_pk_fma_f16 v56, v52, v10, v56
	v_pk_fma_f16 v57, v53, v10, v57
	;; [unrolled: 1-line block ×4, first 2 shown]
	ds_read2_b64 v[52:55], v8 offset0:128 offset1:160
	v_mul_u32_u24_sdwa v10, v11, s14 dst_sel:DWORD dst_unused:UNUSED_PAD src0_sel:WORD_0 src1_sel:DWORD
	s_waitcnt lgkmcnt(0)
	v_pk_fma_f16 v56, v52, v10, v56
	v_pk_fma_f16 v57, v53, v10, v57
	;; [unrolled: 1-line block ×4, first 2 shown]
	ds_read2_b64 v[52:55], v8 offset0:192 offset1:224
	v_mul_u32_u24_sdwa v10, v11, s14 dst_sel:DWORD dst_unused:UNUSED_PAD src0_sel:WORD_1 src1_sel:DWORD
	s_waitcnt lgkmcnt(0)
	v_pk_fma_f16 v11, v52, v10, v56
	v_pk_fma_f16 v56, v53, v10, v57
	;; [unrolled: 1-line block ×4, first 2 shown]
	v_add_u32_e32 v9, 0x2000, v40
	ds_read2_b64 v[52:55], v9 offset1:32
	v_mul_u32_u24_sdwa v57, v4, s14 dst_sel:DWORD dst_unused:UNUSED_PAD src0_sel:WORD_0 src1_sel:DWORD
	v_mul_u32_u24_sdwa v4, v4, s14 dst_sel:DWORD dst_unused:UNUSED_PAD src0_sel:WORD_1 src1_sel:DWORD
	s_waitcnt lgkmcnt(0)
	v_pk_fma_f16 v11, v52, v57, v11
	v_pk_fma_f16 v56, v53, v57, v56
	;; [unrolled: 1-line block ×4, first 2 shown]
	ds_read2_b64 v[52:55], v9 offset0:64 offset1:96
	s_waitcnt lgkmcnt(0)
	v_pk_fma_f16 v11, v52, v4, v11
	v_pk_fma_f16 v56, v53, v4, v56
	v_pk_fma_f16 v51, v54, v4, v51
	v_pk_fma_f16 v4, v55, v4, v10
	ds_read2_b64 v[52:55], v9 offset0:128 offset1:160
	v_mul_u32_u24_sdwa v10, v5, s14 dst_sel:DWORD dst_unused:UNUSED_PAD src0_sel:WORD_0 src1_sel:DWORD
	v_mul_u32_u24_sdwa v5, v5, s14 dst_sel:DWORD dst_unused:UNUSED_PAD src0_sel:WORD_1 src1_sel:DWORD
	s_waitcnt lgkmcnt(0)
	v_pk_fma_f16 v11, v52, v10, v11
	v_pk_fma_f16 v56, v53, v10, v56
	;; [unrolled: 1-line block ×4, first 2 shown]
	ds_read2_b64 v[52:55], v9 offset0:192 offset1:224
	s_waitcnt lgkmcnt(0)
	v_pk_fma_f16 v10, v52, v5, v11
	v_pk_fma_f16 v11, v53, v5, v56
	;; [unrolled: 1-line block ×4, first 2 shown]
	v_add_u32_e32 v4, 0x2800, v40
	ds_read2_b64 v[52:55], v4 offset1:32
	v_mul_u32_u24_sdwa v56, v6, s14 dst_sel:DWORD dst_unused:UNUSED_PAD src0_sel:WORD_0 src1_sel:DWORD
	v_mul_u32_u24_sdwa v6, v6, s14 dst_sel:DWORD dst_unused:UNUSED_PAD src0_sel:WORD_1 src1_sel:DWORD
	s_waitcnt lgkmcnt(0)
	v_pk_fma_f16 v10, v52, v56, v10
	v_pk_fma_f16 v11, v53, v56, v11
	v_pk_fma_f16 v51, v54, v56, v51
	v_pk_fma_f16 v5, v55, v56, v5
	ds_read2_b64 v[52:55], v4 offset0:64 offset1:96
	s_waitcnt lgkmcnt(0)
	v_pk_fma_f16 v10, v52, v6, v10
	v_pk_fma_f16 v11, v53, v6, v11
	v_pk_fma_f16 v51, v54, v6, v51
	v_pk_fma_f16 v5, v55, v6, v5
	ds_read2_b64 v[52:55], v4 offset0:128 offset1:160
	v_mul_u32_u24_sdwa v6, v7, s14 dst_sel:DWORD dst_unused:UNUSED_PAD src0_sel:WORD_0 src1_sel:DWORD
	s_waitcnt lgkmcnt(0)
	v_pk_fma_f16 v10, v52, v6, v10
	v_pk_fma_f16 v11, v53, v6, v11
	;; [unrolled: 1-line block ×4, first 2 shown]
	ds_read2_b64 v[52:55], v4 offset0:192 offset1:224
	v_mul_u32_u24_sdwa v6, v7, s14 dst_sel:DWORD dst_unused:UNUSED_PAD src0_sel:WORD_1 src1_sel:DWORD
	s_waitcnt lgkmcnt(0)
	v_pk_fma_f16 v7, v52, v6, v10
	v_pk_fma_f16 v10, v53, v6, v11
	;; [unrolled: 1-line block ×4, first 2 shown]
	v_add_u32_e32 v5, 0x3000, v40
	ds_read2_b64 v[52:55], v5 offset1:32
	v_mul_u32_u24_sdwa v51, v0, s14 dst_sel:DWORD dst_unused:UNUSED_PAD src0_sel:WORD_0 src1_sel:DWORD
	v_mul_u32_u24_sdwa v0, v0, s14 dst_sel:DWORD dst_unused:UNUSED_PAD src0_sel:WORD_1 src1_sel:DWORD
	s_waitcnt lgkmcnt(0)
	v_pk_fma_f16 v7, v52, v51, v7
	v_pk_fma_f16 v10, v53, v51, v10
	;; [unrolled: 1-line block ×4, first 2 shown]
	ds_read2_b64 v[52:55], v5 offset0:64 offset1:96
	s_waitcnt lgkmcnt(0)
	v_pk_fma_f16 v7, v52, v0, v7
	v_pk_fma_f16 v10, v53, v0, v10
	v_pk_fma_f16 v11, v54, v0, v11
	v_pk_fma_f16 v0, v55, v0, v6
	ds_read2_b64 v[52:55], v5 offset0:128 offset1:160
	v_mul_u32_u24_sdwa v6, v1, s14 dst_sel:DWORD dst_unused:UNUSED_PAD src0_sel:WORD_0 src1_sel:DWORD
	v_mul_u32_u24_sdwa v1, v1, s14 dst_sel:DWORD dst_unused:UNUSED_PAD src0_sel:WORD_1 src1_sel:DWORD
	s_waitcnt lgkmcnt(0)
	v_pk_fma_f16 v7, v52, v6, v7
	v_pk_fma_f16 v10, v53, v6, v10
	;; [unrolled: 1-line block ×4, first 2 shown]
	ds_read2_b64 v[52:55], v5 offset0:192 offset1:224
	s_waitcnt lgkmcnt(0)
	v_pk_fma_f16 v6, v52, v1, v7
	v_pk_fma_f16 v7, v53, v1, v10
	v_pk_fma_f16 v10, v54, v1, v11
	v_pk_fma_f16 v1, v55, v1, v0
	v_add_u32_e32 v0, 0x3800, v40
	ds_read2_b64 v[52:55], v0 offset1:32
	v_mul_u32_u24_sdwa v11, v2, s14 dst_sel:DWORD dst_unused:UNUSED_PAD src0_sel:WORD_0 src1_sel:DWORD
	v_mul_u32_u24_sdwa v2, v2, s14 dst_sel:DWORD dst_unused:UNUSED_PAD src0_sel:WORD_1 src1_sel:DWORD
	s_waitcnt lgkmcnt(0)
	v_pk_fma_f16 v6, v52, v11, v6
	v_pk_fma_f16 v7, v53, v11, v7
	;; [unrolled: 1-line block ×4, first 2 shown]
	ds_read2_b64 v[52:55], v0 offset0:64 offset1:96
	s_waitcnt lgkmcnt(0)
	v_pk_fma_f16 v6, v52, v2, v6
	v_pk_fma_f16 v7, v53, v2, v7
	;; [unrolled: 1-line block ×4, first 2 shown]
	ds_read2_b64 v[52:55], v0 offset0:128 offset1:160
	v_mul_u32_u24_sdwa v2, v3, s14 dst_sel:DWORD dst_unused:UNUSED_PAD src0_sel:WORD_0 src1_sel:DWORD
	s_waitcnt lgkmcnt(0)
	v_pk_fma_f16 v6, v52, v2, v6
	v_pk_fma_f16 v7, v53, v2, v7
	;; [unrolled: 1-line block ×4, first 2 shown]
	ds_read2_b64 v[52:55], v0 offset0:192 offset1:224
	v_mul_u32_u24_sdwa v2, v3, s14 dst_sel:DWORD dst_unused:UNUSED_PAD src0_sel:WORD_1 src1_sel:DWORD
	s_waitcnt lgkmcnt(0)
	s_barrier
	v_pk_fma_f16 v6, v52, v2, v6
	v_pk_fma_f16 v7, v53, v2, v7
	;; [unrolled: 1-line block ×4, first 2 shown]
	v_lshl_add_u64 v[2:3], s[4:5], 0, v[22:23]
	v_lshl_add_u64 v[2:3], v[2:3], 0, v[14:15]
	scratch_store_dword off, v15, off
	scratch_store_dwordx3 off, v[48:50], off offset:4
	v_cndmask_b32_e32 v3, v46, v3, vcc
	v_cndmask_b32_e32 v2, v47, v2, vcc
	flat_load_dwordx4 v[52:55], v[2:3]
	v_lshl_add_u64 v[2:3], s[4:5], 0, v[16:17]
	v_cmp_gt_i32_e32 vcc, s2, v45
	v_lshl_add_u64 v[2:3], v[2:3], 0, v[14:15]
	s_waitcnt vmcnt(0) lgkmcnt(0)
	ds_write_b128 v34, v[52:55]
	scratch_store_dword off, v15, off
	scratch_store_dwordx3 off, v[48:50], off offset:4
	v_cndmask_b32_e32 v3, v46, v3, vcc
	v_cndmask_b32_e32 v2, v47, v2, vcc
	flat_load_dwordx4 v[52:55], v[2:3]
	v_lshl_add_u64 v[2:3], s[4:5], 0, v[18:19]
	v_cmp_gt_i32_e32 vcc, s2, v44
	v_lshl_add_u64 v[2:3], v[2:3], 0, v[14:15]
	s_waitcnt vmcnt(0) lgkmcnt(0)
	ds_write_b128 v43, v[52:55]
	;; [unrolled: 10-line block ×3, first 2 shown]
	scratch_store_dword off, v15, off
	scratch_store_dwordx3 off, v[48:50], off offset:4
	v_cndmask_b32_e32 v3, v46, v3, vcc
	v_cndmask_b32_e32 v2, v47, v2, vcc
	flat_load_dwordx4 v[14:17], v[2:3]
	s_waitcnt vmcnt(0) lgkmcnt(0)
	ds_write_b128 v35, v[14:17]
	s_waitcnt lgkmcnt(0)
	s_barrier
	ds_read2_b64 v[14:17], v40 offset1:32
	ds_read_b128 v[18:21], v33 offset:21568
	ds_read_b128 v[34:37], v33 offset:21584
	ds_read_b128 v[44:47], v33 offset:21600
	ds_read_b128 v[48:51], v33 offset:21616
	s_waitcnt lgkmcnt(3)
	v_mul_u32_u24_sdwa v2, v18, s14 dst_sel:DWORD dst_unused:UNUSED_PAD src0_sel:WORD_0 src1_sel:DWORD
	v_pk_fma_f16 v3, v14, v2, v6
	v_pk_fma_f16 v6, v15, v2, v7
	v_pk_fma_f16 v7, v16, v2, v10
	v_pk_fma_f16 v1, v17, v2, v1
	ds_read2_b64 v[14:17], v40 offset0:64 offset1:96
	v_mul_u32_u24_sdwa v2, v18, s14 dst_sel:DWORD dst_unused:UNUSED_PAD src0_sel:WORD_1 src1_sel:DWORD
	s_waitcnt lgkmcnt(0)
	v_pk_fma_f16 v3, v14, v2, v3
	v_pk_fma_f16 v6, v15, v2, v6
	v_pk_fma_f16 v7, v16, v2, v7
	v_pk_fma_f16 v1, v17, v2, v1
	ds_read2_b64 v[14:17], v40 offset0:128 offset1:160
	v_mul_u32_u24_sdwa v2, v19, s14 dst_sel:DWORD dst_unused:UNUSED_PAD src0_sel:WORD_0 src1_sel:DWORD
	s_waitcnt lgkmcnt(0)
	v_pk_fma_f16 v3, v14, v2, v3
	v_pk_fma_f16 v6, v15, v2, v6
	v_pk_fma_f16 v7, v16, v2, v7
	v_pk_fma_f16 v1, v17, v2, v1
	ds_read2_b64 v[14:17], v40 offset0:192 offset1:224
	v_mul_u32_u24_sdwa v2, v19, s14 dst_sel:DWORD dst_unused:UNUSED_PAD src0_sel:WORD_1 src1_sel:DWORD
	s_waitcnt lgkmcnt(0)
	v_pk_fma_f16 v3, v14, v2, v3
	v_pk_fma_f16 v6, v15, v2, v6
	v_pk_fma_f16 v7, v16, v2, v7
	v_pk_fma_f16 v1, v17, v2, v1
	ds_read2_b64 v[14:17], v27 offset1:32
	v_mul_u32_u24_sdwa v2, v20, s14 dst_sel:DWORD dst_unused:UNUSED_PAD src0_sel:WORD_0 src1_sel:DWORD
	s_waitcnt lgkmcnt(0)
	v_pk_fma_f16 v3, v14, v2, v3
	v_pk_fma_f16 v6, v15, v2, v6
	v_pk_fma_f16 v7, v16, v2, v7
	v_pk_fma_f16 v1, v17, v2, v1
	ds_read2_b64 v[14:17], v27 offset0:64 offset1:96
	v_mul_u32_u24_sdwa v2, v20, s14 dst_sel:DWORD dst_unused:UNUSED_PAD src0_sel:WORD_1 src1_sel:DWORD
	s_waitcnt lgkmcnt(0)
	v_pk_fma_f16 v3, v14, v2, v3
	v_pk_fma_f16 v6, v15, v2, v6
	v_pk_fma_f16 v7, v16, v2, v7
	v_pk_fma_f16 v1, v17, v2, v1
	ds_read2_b64 v[14:17], v27 offset0:128 offset1:160
	v_mul_u32_u24_sdwa v2, v21, s14 dst_sel:DWORD dst_unused:UNUSED_PAD src0_sel:WORD_0 src1_sel:DWORD
	s_waitcnt lgkmcnt(0)
	v_pk_fma_f16 v3, v14, v2, v3
	v_pk_fma_f16 v6, v15, v2, v6
	v_pk_fma_f16 v7, v16, v2, v7
	v_pk_fma_f16 v1, v17, v2, v1
	ds_read2_b64 v[14:17], v27 offset0:192 offset1:224
	v_mul_u32_u24_sdwa v2, v21, s14 dst_sel:DWORD dst_unused:UNUSED_PAD src0_sel:WORD_1 src1_sel:DWORD
	s_waitcnt lgkmcnt(0)
	v_pk_fma_f16 v3, v14, v2, v3
	v_pk_fma_f16 v6, v15, v2, v6
	v_pk_fma_f16 v7, v16, v2, v7
	v_pk_fma_f16 v1, v17, v2, v1
	ds_read2_b64 v[14:17], v42 offset1:32
	v_mul_u32_u24_sdwa v2, v34, s14 dst_sel:DWORD dst_unused:UNUSED_PAD src0_sel:WORD_0 src1_sel:DWORD
	s_waitcnt lgkmcnt(0)
	;; [unrolled: 28-line block ×4, first 2 shown]
	v_pk_fma_f16 v3, v14, v2, v3
	v_pk_fma_f16 v6, v15, v2, v6
	;; [unrolled: 1-line block ×4, first 2 shown]
	ds_read2_b64 v[14:17], v9 offset0:64 offset1:96
	v_mul_u32_u24_sdwa v2, v44, s14 dst_sel:DWORD dst_unused:UNUSED_PAD src0_sel:WORD_1 src1_sel:DWORD
	s_waitcnt lgkmcnt(0)
	v_pk_fma_f16 v3, v14, v2, v3
	v_pk_fma_f16 v6, v15, v2, v6
	;; [unrolled: 1-line block ×4, first 2 shown]
	ds_read2_b64 v[14:17], v9 offset0:128 offset1:160
	v_mul_u32_u24_sdwa v2, v45, s14 dst_sel:DWORD dst_unused:UNUSED_PAD src0_sel:WORD_0 src1_sel:DWORD
	s_waitcnt lgkmcnt(0)
	v_pk_fma_f16 v10, v15, v2, v6
	v_pk_fma_f16 v11, v16, v2, v7
	ds_read2_b64 v[6:9], v9 offset0:192 offset1:224
	v_pk_fma_f16 v3, v14, v2, v3
	v_pk_fma_f16 v1, v17, v2, v1
	v_mul_u32_u24_sdwa v2, v45, s14 dst_sel:DWORD dst_unused:UNUSED_PAD src0_sel:WORD_1 src1_sel:DWORD
	s_waitcnt lgkmcnt(0)
	v_pk_fma_f16 v3, v6, v2, v3
	v_pk_fma_f16 v10, v7, v2, v10
	;; [unrolled: 1-line block ×4, first 2 shown]
	ds_read2_b64 v[6:9], v4 offset1:32
	v_mul_u32_u24_sdwa v2, v46, s14 dst_sel:DWORD dst_unused:UNUSED_PAD src0_sel:WORD_0 src1_sel:DWORD
	s_waitcnt lgkmcnt(0)
	v_pk_fma_f16 v3, v6, v2, v3
	v_pk_fma_f16 v10, v7, v2, v10
	;; [unrolled: 1-line block ×4, first 2 shown]
	ds_read2_b64 v[6:9], v4 offset0:64 offset1:96
	v_mul_u32_u24_sdwa v2, v46, s14 dst_sel:DWORD dst_unused:UNUSED_PAD src0_sel:WORD_1 src1_sel:DWORD
	s_waitcnt lgkmcnt(0)
	v_pk_fma_f16 v3, v6, v2, v3
	v_pk_fma_f16 v10, v7, v2, v10
	;; [unrolled: 1-line block ×4, first 2 shown]
	ds_read2_b64 v[6:9], v4 offset0:128 offset1:160
	v_mul_u32_u24_sdwa v2, v47, s14 dst_sel:DWORD dst_unused:UNUSED_PAD src0_sel:WORD_0 src1_sel:DWORD
	s_waitcnt lgkmcnt(0)
	v_pk_fma_f16 v3, v6, v2, v3
	v_pk_fma_f16 v10, v7, v2, v10
	;; [unrolled: 1-line block ×4, first 2 shown]
	ds_read2_b64 v[6:9], v4 offset0:192 offset1:224
	v_mul_u32_u24_sdwa v2, v47, s14 dst_sel:DWORD dst_unused:UNUSED_PAD src0_sel:WORD_1 src1_sel:DWORD
	s_waitcnt lgkmcnt(0)
	v_pk_fma_f16 v3, v6, v2, v3
	v_pk_fma_f16 v4, v7, v2, v10
	;; [unrolled: 1-line block ×4, first 2 shown]
	ds_read2_b64 v[6:9], v5 offset1:32
	v_mul_u32_u24_sdwa v2, v48, s14 dst_sel:DWORD dst_unused:UNUSED_PAD src0_sel:WORD_0 src1_sel:DWORD
	s_waitcnt lgkmcnt(0)
	v_pk_fma_f16 v3, v6, v2, v3
	v_pk_fma_f16 v4, v7, v2, v4
	;; [unrolled: 1-line block ×4, first 2 shown]
	ds_read2_b64 v[6:9], v5 offset0:64 offset1:96
	v_mul_u32_u24_sdwa v2, v48, s14 dst_sel:DWORD dst_unused:UNUSED_PAD src0_sel:WORD_1 src1_sel:DWORD
	s_waitcnt lgkmcnt(0)
	v_pk_fma_f16 v3, v6, v2, v3
	v_pk_fma_f16 v4, v7, v2, v4
	;; [unrolled: 1-line block ×4, first 2 shown]
	ds_read2_b64 v[6:9], v5 offset0:128 offset1:160
	v_mul_u32_u24_sdwa v2, v49, s14 dst_sel:DWORD dst_unused:UNUSED_PAD src0_sel:WORD_0 src1_sel:DWORD
	s_waitcnt lgkmcnt(0)
	v_pk_fma_f16 v6, v6, v2, v3
	v_pk_fma_f16 v7, v7, v2, v4
	;; [unrolled: 1-line block ×4, first 2 shown]
	ds_read2_b64 v[2:5], v5 offset0:192 offset1:224
	v_mul_u32_u24_sdwa v9, v49, s14 dst_sel:DWORD dst_unused:UNUSED_PAD src0_sel:WORD_1 src1_sel:DWORD
	v_mov_b32_e32 v10, v32
	s_waitcnt lgkmcnt(0)
	v_pk_fma_f16 v6, v2, v9, v6
	v_pk_fma_f16 v7, v3, v9, v7
	;; [unrolled: 1-line block ×4, first 2 shown]
	ds_read2_b64 v[2:5], v0 offset1:32
	v_mul_u32_u24_sdwa v9, v50, s14 dst_sel:DWORD dst_unused:UNUSED_PAD src0_sel:WORD_0 src1_sel:DWORD
	s_waitcnt lgkmcnt(0)
	v_pk_fma_f16 v6, v2, v9, v6
	v_pk_fma_f16 v7, v3, v9, v7
	;; [unrolled: 1-line block ×4, first 2 shown]
	ds_read2_b64 v[2:5], v0 offset0:64 offset1:96
	v_mul_u32_u24_sdwa v9, v50, s14 dst_sel:DWORD dst_unused:UNUSED_PAD src0_sel:WORD_1 src1_sel:DWORD
	s_waitcnt lgkmcnt(0)
	v_pk_fma_f16 v6, v2, v9, v6
	v_pk_fma_f16 v7, v3, v9, v7
	;; [unrolled: 1-line block ×4, first 2 shown]
	ds_read2_b64 v[2:5], v0 offset0:128 offset1:160
	v_mul_u32_u24_sdwa v9, v51, s14 dst_sel:DWORD dst_unused:UNUSED_PAD src0_sel:WORD_0 src1_sel:DWORD
	s_waitcnt lgkmcnt(0)
	v_pk_fma_f16 v6, v2, v9, v6
	v_pk_fma_f16 v7, v3, v9, v7
	;; [unrolled: 1-line block ×3, first 2 shown]
	ds_read2_b64 v[0:3], v0 offset0:192 offset1:224
	v_pk_fma_f16 v4, v4, v9, v8
	v_mul_u32_u24_sdwa v8, v51, s14 dst_sel:DWORD dst_unused:UNUSED_PAD src0_sel:WORD_1 src1_sel:DWORD
	v_mov_b32_e32 v9, v13
	s_waitcnt lgkmcnt(0)
	v_pk_fma_f16 v42, v0, v8, v6
	v_pk_fma_f16 v27, v1, v8, v7
	;; [unrolled: 1-line block ×4, first 2 shown]
	s_barrier
.LBB49_29:
	v_cmp_lt_i32_e32 vcc, v31, v25
	s_cmp_eq_u64 s[16:17], 0
	s_cselect_b64 s[4:5], -1, 0
	v_cndmask_b32_e32 v0, v24, v31, vcc
	v_lshlrev_b32_e32 v0, 2, v0
	ds_bpermute_b32 v0, v0, v9
	v_cmp_lt_i32_e32 vcc, v30, v25
	s_cmp_lg_u32 s3, 0
	s_cselect_b64 s[6:7], -1, 0
	v_cndmask_b32_e32 v1, v24, v30, vcc
	v_lshlrev_b32_e32 v1, 2, v1
	s_waitcnt lgkmcnt(0)
	v_add_f32_e32 v0, v9, v0
	ds_bpermute_b32 v1, v1, v0
	v_cmp_lt_i32_e32 vcc, v29, v25
	s_or_b64 s[4:5], s[6:7], s[4:5]
	s_waitcnt lgkmcnt(0)
	v_add_f32_e32 v0, v0, v1
	v_cndmask_b32_e32 v2, v24, v29, vcc
	v_lshlrev_b32_e32 v2, 2, v2
	ds_bpermute_b32 v1, v2, v0
	v_cmp_lt_i32_e32 vcc, v28, v25
	s_waitcnt lgkmcnt(0)
	v_add_f32_e32 v0, v0, v1
	v_cndmask_b32_e32 v2, v24, v28, vcc
	v_lshlrev_b32_e32 v2, 2, v2
	ds_bpermute_b32 v1, v2, v0
	v_cmp_lt_i32_e32 vcc, v26, v25
	s_waitcnt lgkmcnt(0)
	v_add_f32_e32 v0, v0, v1
	v_cndmask_b32_e32 v2, v24, v26, vcc
	v_lshlrev_b32_e32 v2, 2, v2
	ds_bpermute_b32 v1, v2, v0
	s_and_b64 vcc, exec, s[4:5]
	s_waitcnt lgkmcnt(0)
	v_add_f32_e32 v11, v0, v1
	s_cbranch_vccnz .LBB49_32
; %bb.30:
	s_lshl_b64 s[4:5], s[34:35], 2
	s_add_u32 s4, s16, s4
	s_addc_u32 s5, s17, s5
	v_mov_b32_e32 v0, 0
	global_load_dword v1, v0, s[4:5]
	v_max_f32_e32 v0, v10, v10
	s_mov_b32 s2, 0x3fb8aa3b
	s_mov_b32 s4, 0xc2ce8ed0
	s_waitcnt vmcnt(0)
	v_max_f32_e32 v2, v1, v1
	v_max_f32_e32 v0, v0, v2
	v_sub_f32_e32 v2, v10, v0
	v_sub_f32_e32 v1, v1, v0
	v_mul_f32_e32 v3, 0x3fb8aa3b, v2
	v_mul_f32_e32 v4, 0x3fb8aa3b, v1
	v_fma_f32 v5, v2, s2, -v3
	v_rndne_f32_e32 v6, v3
	v_fma_f32 v7, v1, s2, -v4
	v_rndne_f32_e32 v8, v4
	v_fmac_f32_e32 v5, 0x32a5705f, v2
	v_sub_f32_e32 v3, v3, v6
	v_fmac_f32_e32 v7, 0x32a5705f, v1
	v_sub_f32_e32 v4, v4, v8
	v_add_f32_e32 v3, v3, v5
	v_cvt_i32_f32_e32 v6, v6
	v_add_f32_e32 v4, v4, v7
	v_exp_f32_e32 v3, v3
	v_cvt_i32_f32_e32 v8, v8
	v_exp_f32_e32 v4, v4
	v_cmp_ngt_f32_e32 vcc, s4, v2
	v_ldexp_f32 v3, v3, v6
	s_mov_b32 s2, 0x42b17218
	v_ldexp_f32 v4, v4, v8
	v_cndmask_b32_e32 v3, 0, v3, vcc
	v_cmp_ngt_f32_e32 vcc, s4, v1
	v_mov_b32_e32 v5, 0x7f800000
	s_nop 0
	v_cndmask_b32_e32 v4, 0, v4, vcc
	v_cmp_nlt_f32_e32 vcc, s2, v2
	s_nop 1
	v_cndmask_b32_e32 v2, v5, v3, vcc
	v_cvt_f16_f32_e32 v3, v2
	v_cmp_nlt_f32_e32 vcc, s2, v1
	s_nop 1
	v_cndmask_b32_e32 v1, v5, v4, vcc
	v_fmac_f32_e32 v1, v11, v2
	v_mul_u32_u24_e32 v2, 0x10001, v3
	v_pk_mul_f16 v42, v42, v2
	v_pk_mul_f16 v27, v27, v2
	;; [unrolled: 1-line block ×4, first 2 shown]
	v_mov_b64_e32 v[10:11], v[0:1]
	v_cmp_gt_i32_e32 vcc, s26, v38
	s_and_saveexec_b64 s[4:5], vcc
	s_cbranch_execnz .LBB49_33
.LBB49_31:
	s_endpgm
.LBB49_32:
	v_mov_b32_e32 v1, v11
	v_cmp_gt_i32_e32 vcc, s26, v38
	s_and_saveexec_b64 s[4:5], vcc
	s_cbranch_execz .LBB49_31
.LBB49_33:
	s_load_dword s2, s[0:1], 0xd4
	v_div_scale_f32 v0, s[0:1], v1, v1, 1.0
	v_rcp_f32_e32 v2, v0
	s_mul_i32 s33, s33, s26
	s_waitcnt lgkmcnt(0)
	s_cmp_lg_u32 s2, 1
	s_cselect_b64 s[0:1], -1, 0
	v_fma_f32 v3, -v0, v2, 1.0
	v_fmac_f32_e32 v2, v3, v2
	v_div_scale_f32 v3, vcc, 1.0, v1, 1.0
	v_mul_f32_e32 v4, v3, v2
	v_fma_f32 v5, -v0, v4, v3
	v_fmac_f32_e32 v4, v5, v2
	v_fma_f32 v0, -v0, v4, v3
	v_div_fmas_f32 v0, v0, v2, v4
	v_div_fixup_f32 v0, v0, v1, 1.0
	v_cndmask_b32_e64 v6, v0, 1.0, s[0:1]
	v_add_u32_e32 v0, s33, v38
	v_mul_lo_u32 v0, v0, s27
	v_add_u32_e32 v0, s34, v0
	v_cvt_f32_f16_sdwa v3, v42 dst_sel:DWORD dst_unused:UNUSED_PAD src0_sel:WORD_1
	v_cvt_f32_f16_e32 v2, v42
	v_cvt_f32_f16_sdwa v5, v27 dst_sel:DWORD dst_unused:UNUSED_PAD src0_sel:WORD_1
	v_cvt_f32_f16_e32 v4, v27
	v_mul_lo_u32 v0, s2, v0
	v_add_u32_e32 v0, s3, v0
	v_lshl_add_u32 v8, v0, 8, v39
	v_mov_b32_e32 v9, 0
	v_cmp_eq_u32_e32 vcc, 0, v12
	v_lshl_add_u64 v[12:13], v[8:9], 2, s[20:21]
	v_pk_mul_f32 v[2:3], v[6:7], v[2:3] op_sel_hi:[0,1]
	v_pk_mul_f32 v[4:5], v[6:7], v[4:5] op_sel_hi:[0,1]
	global_store_dwordx4 v[12:13], v[2:5], off
	v_add_u32_e32 v8, 0x80, v8
	s_and_b64 s[0:1], vcc, s[0:1]
	v_cvt_f32_f16_sdwa v3, v44 dst_sel:DWORD dst_unused:UNUSED_PAD src0_sel:WORD_1
	v_cvt_f32_f16_e32 v2, v44
	v_cvt_f32_f16_sdwa v5, v43 dst_sel:DWORD dst_unused:UNUSED_PAD src0_sel:WORD_1
	v_cvt_f32_f16_e32 v4, v43
	v_lshl_add_u64 v[8:9], v[8:9], 2, s[20:21]
	v_pk_mul_f32 v[2:3], v[6:7], v[2:3] op_sel_hi:[0,1]
	v_pk_mul_f32 v[4:5], v[6:7], v[4:5] op_sel_hi:[0,1]
	global_store_dwordx4 v[8:9], v[2:5], off
	s_and_b64 exec, exec, s[0:1]
	s_cbranch_execz .LBB49_31
; %bb.34:
	v_mov_b32_e32 v2, s22
	v_mov_b32_e32 v3, s23
	v_ashrrev_i32_e32 v1, 31, v0
	v_lshl_add_u64 v[0:1], v[0:1], 3, v[2:3]
	global_store_dwordx2 v[0:1], v[10:11], off
	s_endpgm
	.section	.rodata,"a",@progbits
	.p2align	6, 0x0
	.amdhsa_kernel _ZL15flash_attn_tileILi256ELi256ELi8ELi1ELb0EEvPKcS1_S1_S1_S1_PKiPfP15HIP_vector_typeIfLj2EEffffjfiS5_IjLj3EEiiiiiiiiiiiliiliiiiil
		.amdhsa_group_segment_fixed_size 22528
		.amdhsa_private_segment_fixed_size 32
		.amdhsa_kernarg_size 464
		.amdhsa_user_sgpr_count 2
		.amdhsa_user_sgpr_dispatch_ptr 0
		.amdhsa_user_sgpr_queue_ptr 0
		.amdhsa_user_sgpr_kernarg_segment_ptr 1
		.amdhsa_user_sgpr_dispatch_id 0
		.amdhsa_user_sgpr_kernarg_preload_length 0
		.amdhsa_user_sgpr_kernarg_preload_offset 0
		.amdhsa_user_sgpr_private_segment_size 0
		.amdhsa_uses_dynamic_stack 0
		.amdhsa_enable_private_segment 1
		.amdhsa_system_sgpr_workgroup_id_x 1
		.amdhsa_system_sgpr_workgroup_id_y 1
		.amdhsa_system_sgpr_workgroup_id_z 1
		.amdhsa_system_sgpr_workgroup_info 0
		.amdhsa_system_vgpr_workitem_id 1
		.amdhsa_next_free_vgpr 115
		.amdhsa_next_free_sgpr 75
		.amdhsa_accum_offset 116
		.amdhsa_reserve_vcc 1
		.amdhsa_float_round_mode_32 0
		.amdhsa_float_round_mode_16_64 0
		.amdhsa_float_denorm_mode_32 3
		.amdhsa_float_denorm_mode_16_64 3
		.amdhsa_dx10_clamp 1
		.amdhsa_ieee_mode 1
		.amdhsa_fp16_overflow 0
		.amdhsa_tg_split 0
		.amdhsa_exception_fp_ieee_invalid_op 0
		.amdhsa_exception_fp_denorm_src 0
		.amdhsa_exception_fp_ieee_div_zero 0
		.amdhsa_exception_fp_ieee_overflow 0
		.amdhsa_exception_fp_ieee_underflow 0
		.amdhsa_exception_fp_ieee_inexact 0
		.amdhsa_exception_int_div_zero 0
	.end_amdhsa_kernel
	.section	.text._ZL15flash_attn_tileILi256ELi256ELi8ELi1ELb0EEvPKcS1_S1_S1_S1_PKiPfP15HIP_vector_typeIfLj2EEffffjfiS5_IjLj3EEiiiiiiiiiiiliiliiiiil,"axG",@progbits,_ZL15flash_attn_tileILi256ELi256ELi8ELi1ELb0EEvPKcS1_S1_S1_S1_PKiPfP15HIP_vector_typeIfLj2EEffffjfiS5_IjLj3EEiiiiiiiiiiiliiliiiiil,comdat
.Lfunc_end49:
	.size	_ZL15flash_attn_tileILi256ELi256ELi8ELi1ELb0EEvPKcS1_S1_S1_S1_PKiPfP15HIP_vector_typeIfLj2EEffffjfiS5_IjLj3EEiiiiiiiiiiiliiliiiiil, .Lfunc_end49-_ZL15flash_attn_tileILi256ELi256ELi8ELi1ELb0EEvPKcS1_S1_S1_S1_PKiPfP15HIP_vector_typeIfLj2EEffffjfiS5_IjLj3EEiiiiiiiiiiiliiliiiiil
                                        ; -- End function
	.set _ZL15flash_attn_tileILi256ELi256ELi8ELi1ELb0EEvPKcS1_S1_S1_S1_PKiPfP15HIP_vector_typeIfLj2EEffffjfiS5_IjLj3EEiiiiiiiiiiiliiliiiiil.num_vgpr, 115
	.set _ZL15flash_attn_tileILi256ELi256ELi8ELi1ELb0EEvPKcS1_S1_S1_S1_PKiPfP15HIP_vector_typeIfLj2EEffffjfiS5_IjLj3EEiiiiiiiiiiiliiliiiiil.num_agpr, 0
	.set _ZL15flash_attn_tileILi256ELi256ELi8ELi1ELb0EEvPKcS1_S1_S1_S1_PKiPfP15HIP_vector_typeIfLj2EEffffjfiS5_IjLj3EEiiiiiiiiiiiliiliiiiil.numbered_sgpr, 48
	.set _ZL15flash_attn_tileILi256ELi256ELi8ELi1ELb0EEvPKcS1_S1_S1_S1_PKiPfP15HIP_vector_typeIfLj2EEffffjfiS5_IjLj3EEiiiiiiiiiiiliiliiiiil.num_named_barrier, 0
	.set _ZL15flash_attn_tileILi256ELi256ELi8ELi1ELb0EEvPKcS1_S1_S1_S1_PKiPfP15HIP_vector_typeIfLj2EEffffjfiS5_IjLj3EEiiiiiiiiiiiliiliiiiil.private_seg_size, 32
	.set _ZL15flash_attn_tileILi256ELi256ELi8ELi1ELb0EEvPKcS1_S1_S1_S1_PKiPfP15HIP_vector_typeIfLj2EEffffjfiS5_IjLj3EEiiiiiiiiiiiliiliiiiil.uses_vcc, 1
	.set _ZL15flash_attn_tileILi256ELi256ELi8ELi1ELb0EEvPKcS1_S1_S1_S1_PKiPfP15HIP_vector_typeIfLj2EEffffjfiS5_IjLj3EEiiiiiiiiiiiliiliiiiil.uses_flat_scratch, 0
	.set _ZL15flash_attn_tileILi256ELi256ELi8ELi1ELb0EEvPKcS1_S1_S1_S1_PKiPfP15HIP_vector_typeIfLj2EEffffjfiS5_IjLj3EEiiiiiiiiiiiliiliiiiil.has_dyn_sized_stack, 0
	.set _ZL15flash_attn_tileILi256ELi256ELi8ELi1ELb0EEvPKcS1_S1_S1_S1_PKiPfP15HIP_vector_typeIfLj2EEffffjfiS5_IjLj3EEiiiiiiiiiiiliiliiiiil.has_recursion, 0
	.set _ZL15flash_attn_tileILi256ELi256ELi8ELi1ELb0EEvPKcS1_S1_S1_S1_PKiPfP15HIP_vector_typeIfLj2EEffffjfiS5_IjLj3EEiiiiiiiiiiiliiliiiiil.has_indirect_call, 0
	.section	.AMDGPU.csdata,"",@progbits
; Kernel info:
; codeLenInByte = 25672
; TotalNumSgprs: 54
; NumVgprs: 115
; NumAgprs: 0
; TotalNumVgprs: 115
; ScratchSize: 32
; MemoryBound: 0
; FloatMode: 240
; IeeeMode: 1
; LDSByteSize: 22528 bytes/workgroup (compile time only)
; SGPRBlocks: 10
; VGPRBlocks: 14
; NumSGPRsForWavesPerEU: 81
; NumVGPRsForWavesPerEU: 115
; AccumOffset: 116
; Occupancy: 4
; WaveLimiterHint : 1
; COMPUTE_PGM_RSRC2:SCRATCH_EN: 1
; COMPUTE_PGM_RSRC2:USER_SGPR: 2
; COMPUTE_PGM_RSRC2:TRAP_HANDLER: 0
; COMPUTE_PGM_RSRC2:TGID_X_EN: 1
; COMPUTE_PGM_RSRC2:TGID_Y_EN: 1
; COMPUTE_PGM_RSRC2:TGID_Z_EN: 1
; COMPUTE_PGM_RSRC2:TIDIG_COMP_CNT: 1
; COMPUTE_PGM_RSRC3_GFX90A:ACCUM_OFFSET: 28
; COMPUTE_PGM_RSRC3_GFX90A:TG_SPLIT: 0
	.section	.text._ZL33flash_attn_stream_k_fixup_uniformILi256ELi8ELi1EEvPfPK15HIP_vector_typeIfLj2EEiiiiiiS1_IjLj3EES5_S5_,"axG",@progbits,_ZL33flash_attn_stream_k_fixup_uniformILi256ELi8ELi1EEvPfPK15HIP_vector_typeIfLj2EEiiiiiiS1_IjLj3EES5_S5_,comdat
	.globl	_ZL33flash_attn_stream_k_fixup_uniformILi256ELi8ELi1EEvPfPK15HIP_vector_typeIfLj2EEiiiiiiS1_IjLj3EES5_S5_ ; -- Begin function _ZL33flash_attn_stream_k_fixup_uniformILi256ELi8ELi1EEvPfPK15HIP_vector_typeIfLj2EEiiiiiiS1_IjLj3EES5_S5_
	.p2align	8
	.type	_ZL33flash_attn_stream_k_fixup_uniformILi256ELi8ELi1EEvPfPK15HIP_vector_typeIfLj2EEiiiiiiS1_IjLj3EES5_S5_,@function
_ZL33flash_attn_stream_k_fixup_uniformILi256ELi8ELi1EEvPfPK15HIP_vector_typeIfLj2EEiiiiiiS1_IjLj3EES5_S5_: ; @_ZL33flash_attn_stream_k_fixup_uniformILi256ELi8ELi1EEvPfPK15HIP_vector_typeIfLj2EEiiiiiiS1_IjLj3EES5_S5_
; %bb.0:
	s_load_dwordx8 s[8:15], s[0:1], 0x1c
	s_load_dwordx2 s[6:7], s[0:1], 0x10
	s_load_dwordx4 s[20:23], s[0:1], 0x3c
	s_waitcnt lgkmcnt(0)
	s_mul_hi_u32 s5, s11, s2
	s_add_i32 s5, s2, s5
	s_lshr_b32 s5, s5, s12
	s_mul_i32 s11, s5, s13
	s_sub_i32 s11, s2, s11
	s_mul_hi_u32 s12, s11, s14
	s_add_i32 s12, s11, s12
	s_lshr_b32 s16, s12, s15
	s_mul_i32 s12, s16, s20
	s_sub_i32 s12, s11, s12
	s_mul_hi_u32 s11, s12, s21
	s_add_i32 s11, s12, s11
	s_lshr_b32 s11, s11, s22
	s_mul_i32 s13, s11, s23
	s_sub_i32 s17, s12, s13
	s_lshl_b32 s12, s17, 3
	s_add_i32 s12, s12, s3
	s_cmp_lt_i32 s12, s6
	s_cselect_b64 s[12:13], -1, 0
	s_add_i32 s14, s11, s4
	s_cmp_lt_i32 s14, s9
	s_cselect_b64 s[14:15], -1, 0
	s_and_b64 s[12:13], s[12:13], s[14:15]
	s_andn2_b64 vcc, exec, s[12:13]
	s_cbranch_vccnz .LBB50_6
; %bb.1:
	s_load_dwordx4 s[12:15], s[0:1], 0x0
	s_mul_i32 s0, s5, s6
	s_add_i32 s0, s0, s3
	s_mul_i32 s0, s0, s7
	s_mul_i32 s16, s16, s9
	s_add_i32 s0, s0, s4
	s_add_i32 s0, s0, s16
	s_mul_i32 s1, s7, s17
	s_add_i32 s0, s0, s11
	s_lshl_b32 s1, s1, 11
	s_lshl_b32 s0, s0, 8
	s_add_i32 s1, s1, s0
	v_or_b32_e32 v4, s1, v0
	s_waitcnt lgkmcnt(0)
	v_mov_b32_e32 v2, s12
	v_mov_b32_e32 v3, s13
	v_ashrrev_i32_e32 v5, 31, v4
	v_lshl_add_u64 v[2:3], v[4:5], 2, v[2:3]
	global_load_dword v5, v[2:3], off
	s_mul_i32 s6, s10, s2
	s_add_i32 s7, s6, s10
	s_add_i32 s3, s3, s4
	s_lshl_b32 s0, s7, 3
	s_add_i32 s0, s3, s0
	s_add_i32 s0, s0, -8
	s_ashr_i32 s1, s0, 31
	s_lshl_b64 s[0:1], s[0:1], 3
	s_add_u32 s0, s14, s0
	s_addc_u32 s1, s15, s1
	s_load_dword s9, s[0:1], 0x4
	s_add_i32 s4, s7, -2
	s_cmp_lt_i32 s4, s6
	s_cbranch_scc1 .LBB50_4
; %bb.2:
	s_lshl_b32 s4, s8, 5
	s_ashr_i32 s5, s4, 31
	s_lshl_b64 s[4:5], s[4:5], 2
	s_add_u32 s4, s14, s4
	s_addc_u32 s5, s15, s5
	s_add_i32 s2, s2, 1
	s_mul_i32 s2, s10, s2
	s_load_dword s0, s[0:1], 0x0
	s_lshl_b32 s1, s3, 8
	s_lshl_b32 s10, s2, 11
	s_add_i32 s1, s1, s10
	v_or_b32_e32 v0, s1, v0
	s_lshl_b32 s1, s2, 3
	s_add_i32 s1, s3, s1
	s_lshl_b32 s2, s8, 3
	s_add_i32 s1, s1, s2
	s_add_i32 s7, s7, -1
	v_add_u32_e32 v0, 0xfffff000, v0
	s_add_i32 s2, s1, -16
	s_waitcnt lgkmcnt(0)
	v_mov_b32_e32 v7, s0
	v_mov_b32_e32 v4, s9
	s_mov_b32 s8, 0x3fb8aa3b
	s_mov_b32 s9, 0xc2ce8ed0
	;; [unrolled: 1-line block ×3, first 2 shown]
	v_mov_b32_e32 v6, 0x7f800000
	s_mov_b32 s11, 0xc1a00000
.LBB50_3:                               ; =>This Inner Loop Header: Depth=1
	v_ashrrev_i32_e32 v1, 31, v0
	v_lshl_add_u64 v[8:9], v[0:1], 2, s[4:5]
	global_load_dword v9, v[8:9], off
	s_ashr_i32 s3, s2, 31
	s_lshl_b64 s[0:1], s[2:3], 3
	s_add_u32 s0, s14, s0
	s_addc_u32 s1, s15, s1
	s_load_dwordx2 s[0:1], s[0:1], 0x0
	v_max_f32_e32 v1, v7, v7
	s_add_i32 s7, s7, -1
	s_add_i32 s2, s2, -8
	v_add_u32_e32 v0, 0xfffff800, v0
	s_waitcnt lgkmcnt(0)
	v_max_f32_e64 v10, s0, s0
	v_max_f32_e32 v1, v1, v10
	v_sub_f32_e32 v11, s0, v1
	v_sub_f32_e32 v10, v7, v1
	v_mul_f32_e32 v12, 0x3fb8aa3b, v11
	v_mov_b32_e32 v7, v1
	v_mul_f32_e32 v1, 0x3fb8aa3b, v10
	v_fma_f32 v15, v11, s8, -v12
	v_rndne_f32_e32 v16, v12
	v_fma_f32 v13, v10, s8, -v1
	v_rndne_f32_e32 v14, v1
	v_fmac_f32_e32 v15, 0x32a5705f, v11
	v_sub_f32_e32 v12, v12, v16
	v_fmac_f32_e32 v13, 0x32a5705f, v10
	v_sub_f32_e32 v1, v1, v14
	v_add_f32_e32 v12, v12, v15
	v_cvt_i32_f32_e32 v16, v16
	v_add_f32_e32 v1, v1, v13
	v_exp_f32_e32 v12, v12
	v_cvt_i32_f32_e32 v14, v14
	v_exp_f32_e32 v1, v1
	v_cmp_ngt_f32_e32 vcc, s9, v11
	v_ldexp_f32 v12, v12, v16
	v_mov_b32_e32 v8, s1
	v_ldexp_f32 v1, v1, v14
	v_cmp_ngt_f32_e64 s[0:1], s9, v10
	v_cndmask_b32_e32 v12, 0, v12, vcc
	v_cmp_nlt_f32_e32 vcc, s10, v11
	v_cndmask_b32_e64 v1, 0, v1, s[0:1]
	v_cmp_nlt_f32_e64 s[0:1], s10, v10
	v_cndmask_b32_e32 v12, v6, v12, vcc
	v_cmp_le_f32_e32 vcc, s11, v11
	v_cndmask_b32_e64 v1, v6, v1, s[0:1]
	v_cmp_le_f32_e64 s[0:1], s11, v10
	v_cndmask_b32_e32 v12, 0, v12, vcc
	s_cmp_le_i32 s7, s6
	v_cndmask_b32_e64 v10, 0, v1, s[0:1]
	s_waitcnt vmcnt(0)
	v_pk_mul_f32 v[8:9], v[8:9], v[12:13] op_sel_hi:[1,0]
	s_nop 0
	v_pk_fma_f32 v[4:5], v[4:5], v[10:11], v[8:9] op_sel_hi:[1,0,1]
	s_cbranch_scc0 .LBB50_3
	s_branch .LBB50_5
.LBB50_4:
	s_waitcnt lgkmcnt(0)
	v_mov_b32_e32 v4, s9
.LBB50_5:
	s_waitcnt vmcnt(0)
	v_div_scale_f32 v0, s[0:1], v4, v4, v5
	v_rcp_f32_e32 v1, v0
	v_div_scale_f32 v6, vcc, v5, v4, v5
	v_fma_f32 v7, -v0, v1, 1.0
	v_fmac_f32_e32 v1, v7, v1
	v_mul_f32_e32 v7, v6, v1
	v_fma_f32 v8, -v0, v7, v6
	v_fmac_f32_e32 v7, v8, v1
	v_fma_f32 v0, -v0, v7, v6
	v_div_fmas_f32 v0, v0, v1, v7
	v_div_fixup_f32 v0, v0, v4, v5
	global_store_dword v[2:3], v0, off
.LBB50_6:
	s_endpgm
	.section	.rodata,"a",@progbits
	.p2align	6, 0x0
	.amdhsa_kernel _ZL33flash_attn_stream_k_fixup_uniformILi256ELi8ELi1EEvPfPK15HIP_vector_typeIfLj2EEiiiiiiS1_IjLj3EES5_S5_
		.amdhsa_group_segment_fixed_size 0
		.amdhsa_private_segment_fixed_size 0
		.amdhsa_kernarg_size 76
		.amdhsa_user_sgpr_count 2
		.amdhsa_user_sgpr_dispatch_ptr 0
		.amdhsa_user_sgpr_queue_ptr 0
		.amdhsa_user_sgpr_kernarg_segment_ptr 1
		.amdhsa_user_sgpr_dispatch_id 0
		.amdhsa_user_sgpr_kernarg_preload_length 0
		.amdhsa_user_sgpr_kernarg_preload_offset 0
		.amdhsa_user_sgpr_private_segment_size 0
		.amdhsa_uses_dynamic_stack 0
		.amdhsa_enable_private_segment 0
		.amdhsa_system_sgpr_workgroup_id_x 1
		.amdhsa_system_sgpr_workgroup_id_y 1
		.amdhsa_system_sgpr_workgroup_id_z 1
		.amdhsa_system_sgpr_workgroup_info 0
		.amdhsa_system_vgpr_workitem_id 0
		.amdhsa_next_free_vgpr 17
		.amdhsa_next_free_sgpr 24
		.amdhsa_accum_offset 20
		.amdhsa_reserve_vcc 1
		.amdhsa_float_round_mode_32 0
		.amdhsa_float_round_mode_16_64 0
		.amdhsa_float_denorm_mode_32 3
		.amdhsa_float_denorm_mode_16_64 3
		.amdhsa_dx10_clamp 1
		.amdhsa_ieee_mode 1
		.amdhsa_fp16_overflow 0
		.amdhsa_tg_split 0
		.amdhsa_exception_fp_ieee_invalid_op 0
		.amdhsa_exception_fp_denorm_src 0
		.amdhsa_exception_fp_ieee_div_zero 0
		.amdhsa_exception_fp_ieee_overflow 0
		.amdhsa_exception_fp_ieee_underflow 0
		.amdhsa_exception_fp_ieee_inexact 0
		.amdhsa_exception_int_div_zero 0
	.end_amdhsa_kernel
	.section	.text._ZL33flash_attn_stream_k_fixup_uniformILi256ELi8ELi1EEvPfPK15HIP_vector_typeIfLj2EEiiiiiiS1_IjLj3EES5_S5_,"axG",@progbits,_ZL33flash_attn_stream_k_fixup_uniformILi256ELi8ELi1EEvPfPK15HIP_vector_typeIfLj2EEiiiiiiS1_IjLj3EES5_S5_,comdat
.Lfunc_end50:
	.size	_ZL33flash_attn_stream_k_fixup_uniformILi256ELi8ELi1EEvPfPK15HIP_vector_typeIfLj2EEiiiiiiS1_IjLj3EES5_S5_, .Lfunc_end50-_ZL33flash_attn_stream_k_fixup_uniformILi256ELi8ELi1EEvPfPK15HIP_vector_typeIfLj2EEiiiiiiS1_IjLj3EES5_S5_
                                        ; -- End function
	.set _ZL33flash_attn_stream_k_fixup_uniformILi256ELi8ELi1EEvPfPK15HIP_vector_typeIfLj2EEiiiiiiS1_IjLj3EES5_S5_.num_vgpr, 17
	.set _ZL33flash_attn_stream_k_fixup_uniformILi256ELi8ELi1EEvPfPK15HIP_vector_typeIfLj2EEiiiiiiS1_IjLj3EES5_S5_.num_agpr, 0
	.set _ZL33flash_attn_stream_k_fixup_uniformILi256ELi8ELi1EEvPfPK15HIP_vector_typeIfLj2EEiiiiiiS1_IjLj3EES5_S5_.numbered_sgpr, 24
	.set _ZL33flash_attn_stream_k_fixup_uniformILi256ELi8ELi1EEvPfPK15HIP_vector_typeIfLj2EEiiiiiiS1_IjLj3EES5_S5_.num_named_barrier, 0
	.set _ZL33flash_attn_stream_k_fixup_uniformILi256ELi8ELi1EEvPfPK15HIP_vector_typeIfLj2EEiiiiiiS1_IjLj3EES5_S5_.private_seg_size, 0
	.set _ZL33flash_attn_stream_k_fixup_uniformILi256ELi8ELi1EEvPfPK15HIP_vector_typeIfLj2EEiiiiiiS1_IjLj3EES5_S5_.uses_vcc, 1
	.set _ZL33flash_attn_stream_k_fixup_uniformILi256ELi8ELi1EEvPfPK15HIP_vector_typeIfLj2EEiiiiiiS1_IjLj3EES5_S5_.uses_flat_scratch, 0
	.set _ZL33flash_attn_stream_k_fixup_uniformILi256ELi8ELi1EEvPfPK15HIP_vector_typeIfLj2EEiiiiiiS1_IjLj3EES5_S5_.has_dyn_sized_stack, 0
	.set _ZL33flash_attn_stream_k_fixup_uniformILi256ELi8ELi1EEvPfPK15HIP_vector_typeIfLj2EEiiiiiiS1_IjLj3EES5_S5_.has_recursion, 0
	.set _ZL33flash_attn_stream_k_fixup_uniformILi256ELi8ELi1EEvPfPK15HIP_vector_typeIfLj2EEiiiiiiS1_IjLj3EES5_S5_.has_indirect_call, 0
	.section	.AMDGPU.csdata,"",@progbits
; Kernel info:
; codeLenInByte = 816
; TotalNumSgprs: 30
; NumVgprs: 17
; NumAgprs: 0
; TotalNumVgprs: 17
; ScratchSize: 0
; MemoryBound: 0
; FloatMode: 240
; IeeeMode: 1
; LDSByteSize: 0 bytes/workgroup (compile time only)
; SGPRBlocks: 3
; VGPRBlocks: 2
; NumSGPRsForWavesPerEU: 30
; NumVGPRsForWavesPerEU: 17
; AccumOffset: 20
; Occupancy: 8
; WaveLimiterHint : 0
; COMPUTE_PGM_RSRC2:SCRATCH_EN: 0
; COMPUTE_PGM_RSRC2:USER_SGPR: 2
; COMPUTE_PGM_RSRC2:TRAP_HANDLER: 0
; COMPUTE_PGM_RSRC2:TGID_X_EN: 1
; COMPUTE_PGM_RSRC2:TGID_Y_EN: 1
; COMPUTE_PGM_RSRC2:TGID_Z_EN: 1
; COMPUTE_PGM_RSRC2:TIDIG_COMP_CNT: 0
; COMPUTE_PGM_RSRC3_GFX90A:ACCUM_OFFSET: 4
; COMPUTE_PGM_RSRC3_GFX90A:TG_SPLIT: 0
	.section	.text._ZL33flash_attn_stream_k_fixup_generalILi256ELi8ELi1EEvPfPK15HIP_vector_typeIfLj2EEiiiiS1_IjLj3EES5_S5_S5_,"axG",@progbits,_ZL33flash_attn_stream_k_fixup_generalILi256ELi8ELi1EEvPfPK15HIP_vector_typeIfLj2EEiiiiS1_IjLj3EES5_S5_S5_,comdat
	.globl	_ZL33flash_attn_stream_k_fixup_generalILi256ELi8ELi1EEvPfPK15HIP_vector_typeIfLj2EEiiiiS1_IjLj3EES5_S5_S5_ ; -- Begin function _ZL33flash_attn_stream_k_fixup_generalILi256ELi8ELi1EEvPfPK15HIP_vector_typeIfLj2EEiiiiS1_IjLj3EES5_S5_S5_
	.p2align	8
	.type	_ZL33flash_attn_stream_k_fixup_generalILi256ELi8ELi1EEvPfPK15HIP_vector_typeIfLj2EEiiiiS1_IjLj3EES5_S5_S5_,@function
_ZL33flash_attn_stream_k_fixup_generalILi256ELi8ELi1EEvPfPK15HIP_vector_typeIfLj2EEiiiiS1_IjLj3EES5_S5_S5_: ; @_ZL33flash_attn_stream_k_fixup_generalILi256ELi8ELi1EEvPfPK15HIP_vector_typeIfLj2EEiiiiS1_IjLj3EES5_S5_S5_
; %bb.0:
	s_load_dwordx4 s[8:11], s[0:1], 0x10
	s_load_dword s22, s[0:1], 0x50
	s_mov_b32 s12, 0
	s_waitcnt lgkmcnt(0)
	s_mul_hi_i32 s13, s11, s2
	s_cmp_lg_u64 s[12:13], 0
	s_mul_i32 s5, s11, s2
	s_cbranch_scc0 .LBB51_20
; %bb.1:
	s_add_u32 s6, s22, 0
	s_addc_u32 s7, 0, 0
	s_xor_b64 s[6:7], s[6:7], 0
	v_cvt_f32_u32_e32 v1, s6
	v_cvt_f32_u32_e32 v2, s7
	s_sub_u32 s12, 0, s6
	s_subb_u32 s18, 0, s7
	v_fmamk_f32 v1, v2, 0x4f800000, v1
	v_rcp_f32_e32 v1, v1
	s_nop 0
	v_mul_f32_e32 v1, 0x5f7ffffc, v1
	v_mul_f32_e32 v2, 0x2f800000, v1
	v_trunc_f32_e32 v2, v2
	v_fmamk_f32 v1, v2, 0xcf800000, v1
	v_cvt_u32_f32_e32 v2, v2
	v_cvt_u32_f32_e32 v1, v1
	v_readfirstlane_b32 s19, v2
	v_readfirstlane_b32 s14, v1
	s_mul_i32 s15, s12, s19
	s_mul_hi_u32 s21, s12, s14
	s_mul_i32 s20, s18, s14
	s_add_i32 s15, s21, s15
	s_add_i32 s15, s15, s20
	s_mul_i32 s23, s12, s14
	s_mul_i32 s21, s14, s15
	s_mul_hi_u32 s24, s14, s23
	s_mul_hi_u32 s20, s14, s15
	s_add_u32 s21, s24, s21
	s_addc_u32 s20, 0, s20
	s_mul_hi_u32 s25, s19, s23
	s_mul_i32 s23, s19, s23
	s_add_u32 s21, s21, s23
	s_mul_hi_u32 s24, s19, s15
	s_addc_u32 s20, s20, s25
	s_addc_u32 s21, s24, 0
	s_mul_i32 s15, s19, s15
	s_add_u32 s15, s20, s15
	s_addc_u32 s20, 0, s21
	s_add_u32 s21, s14, s15
	s_cselect_b64 s[14:15], -1, 0
	s_cmp_lg_u64 s[14:15], 0
	s_addc_u32 s19, s19, s20
	s_mul_i32 s14, s12, s19
	s_mul_hi_u32 s15, s12, s21
	s_add_i32 s14, s15, s14
	s_mul_i32 s18, s18, s21
	s_add_i32 s14, s14, s18
	s_mul_i32 s12, s12, s21
	s_mul_hi_u32 s18, s19, s12
	s_mul_i32 s20, s19, s12
	s_mul_i32 s24, s21, s14
	s_mul_hi_u32 s12, s21, s12
	s_mul_hi_u32 s23, s21, s14
	s_add_u32 s12, s12, s24
	s_addc_u32 s23, 0, s23
	s_add_u32 s12, s12, s20
	s_mul_hi_u32 s15, s19, s14
	s_addc_u32 s12, s23, s18
	s_addc_u32 s15, s15, 0
	s_mul_i32 s14, s19, s14
	s_add_u32 s12, s12, s14
	s_addc_u32 s18, 0, s15
	s_add_u32 s20, s21, s12
	s_cselect_b64 s[14:15], -1, 0
	s_cmp_lg_u64 s[14:15], 0
	s_addc_u32 s18, s19, s18
	s_ashr_i32 s14, s13, 31
	s_add_u32 s12, s5, s14
	s_mov_b32 s15, s14
	s_addc_u32 s13, s13, s14
	s_xor_b64 s[12:13], s[12:13], s[14:15]
	s_mul_i32 s21, s12, s18
	s_mul_hi_u32 s23, s12, s20
	s_mul_hi_u32 s19, s12, s18
	s_add_u32 s21, s23, s21
	s_addc_u32 s19, 0, s19
	s_mul_hi_u32 s24, s13, s20
	s_mul_i32 s20, s13, s20
	s_add_u32 s20, s21, s20
	s_mul_hi_u32 s23, s13, s18
	s_addc_u32 s19, s19, s24
	s_addc_u32 s20, s23, 0
	s_mul_i32 s18, s13, s18
	s_add_u32 s23, s19, s18
	s_addc_u32 s24, 0, s20
	s_mul_i32 s18, s6, s24
	s_mul_hi_u32 s19, s6, s23
	s_add_i32 s18, s19, s18
	s_mul_i32 s19, s7, s23
	s_add_i32 s25, s18, s19
	s_sub_i32 s20, s13, s25
	s_mul_i32 s18, s6, s23
	s_sub_u32 s12, s12, s18
	s_cselect_b64 s[18:19], -1, 0
	s_cmp_lg_u64 s[18:19], 0
	s_subb_u32 s26, s20, s7
	s_sub_u32 s27, s12, s6
	s_cselect_b64 s[20:21], -1, 0
	s_cmp_lg_u64 s[20:21], 0
	s_subb_u32 s20, s26, 0
	s_cmp_ge_u32 s20, s7
	s_cselect_b32 s21, -1, 0
	s_cmp_ge_u32 s27, s6
	s_cselect_b32 s26, -1, 0
	s_cmp_eq_u32 s20, s7
	s_cselect_b32 s20, s26, s21
	s_add_u32 s21, s23, 1
	s_addc_u32 s26, s24, 0
	s_add_u32 s27, s23, 2
	s_addc_u32 s28, s24, 0
	s_cmp_lg_u32 s20, 0
	s_cselect_b32 s20, s27, s21
	s_cselect_b32 s21, s28, s26
	s_cmp_lg_u64 s[18:19], 0
	s_subb_u32 s13, s13, s25
	s_cmp_ge_u32 s13, s7
	s_cselect_b32 s18, -1, 0
	s_cmp_ge_u32 s12, s6
	s_cselect_b32 s6, -1, 0
	s_cmp_eq_u32 s13, s7
	s_cselect_b32 s6, s6, s18
	s_cmp_lg_u32 s6, 0
	s_cselect_b32 s7, s21, s24
	s_cselect_b32 s6, s20, s23
	s_xor_b64 s[12:13], s[14:15], 0
	s_xor_b64 s[6:7], s[6:7], s[12:13]
	s_sub_u32 s6, s6, s12
	s_load_dwordx4 s[12:15], s[0:1], 0x44
	s_cbranch_execnz .LBB51_3
.LBB51_2:
	v_cvt_f32_u32_e32 v1, s22
	s_sub_i32 s6, 0, s22
	v_rcp_iflag_f32_e32 v1, v1
	s_nop 0
	v_mul_f32_e32 v1, 0x4f7ffffe, v1
	v_cvt_u32_f32_e32 v1, v1
	s_nop 0
	v_readfirstlane_b32 s7, v1
	s_mul_i32 s6, s6, s7
	s_mul_hi_u32 s6, s7, s6
	s_add_i32 s7, s7, s6
	s_mul_hi_u32 s6, s5, s7
	s_waitcnt lgkmcnt(0)
	s_mul_i32 s15, s6, s22
	s_sub_i32 s5, s5, s15
	s_add_i32 s7, s6, 1
	s_sub_i32 s15, s5, s22
	s_cmp_ge_u32 s5, s22
	s_cselect_b32 s6, s7, s6
	s_cselect_b32 s5, s15, s5
	s_add_i32 s7, s6, 1
	s_cmp_ge_u32 s5, s22
	s_cselect_b32 s6, s7, s6
.LBB51_3:
	s_add_i32 s5, s2, 1
	s_mul_hi_i32 s21, s11, s5
	s_mov_b32 s20, 0
	s_cmp_lg_u64 s[20:21], 0
	s_mul_i32 s5, s11, s5
	s_cbranch_scc0 .LBB51_21
; %bb.4:
	s_add_u32 s16, s22, 0
	s_addc_u32 s17, 0, 0
	s_xor_b64 s[18:19], s[16:17], 0
	v_cvt_f32_u32_e32 v1, s18
	v_cvt_f32_u32_e32 v2, s19
	s_sub_u32 s7, 0, s18
	s_waitcnt lgkmcnt(0)
	s_subb_u32 s15, 0, s19
	v_fmamk_f32 v1, v2, 0x4f800000, v1
	v_rcp_f32_e32 v1, v1
	s_nop 0
	v_mul_f32_e32 v1, 0x5f7ffffc, v1
	v_mul_f32_e32 v2, 0x2f800000, v1
	v_trunc_f32_e32 v2, v2
	v_fmamk_f32 v1, v2, 0xcf800000, v1
	v_cvt_u32_f32_e32 v2, v2
	v_cvt_u32_f32_e32 v1, v1
	v_readfirstlane_b32 s20, v2
	v_readfirstlane_b32 s23, v1
	s_mul_i32 s24, s7, s20
	s_mul_hi_u32 s26, s7, s23
	s_mul_i32 s25, s15, s23
	s_add_i32 s24, s26, s24
	s_add_i32 s24, s24, s25
	s_mul_i32 s27, s7, s23
	s_mul_i32 s26, s23, s24
	s_mul_hi_u32 s28, s23, s27
	s_mul_hi_u32 s25, s23, s24
	s_add_u32 s26, s28, s26
	s_addc_u32 s25, 0, s25
	s_mul_hi_u32 s29, s20, s27
	s_mul_i32 s27, s20, s27
	s_add_u32 s26, s26, s27
	s_mul_hi_u32 s28, s20, s24
	s_addc_u32 s25, s25, s29
	s_addc_u32 s26, s28, 0
	s_mul_i32 s24, s20, s24
	s_add_u32 s24, s25, s24
	s_addc_u32 s26, 0, s26
	s_add_u32 s23, s23, s24
	s_cselect_b64 s[24:25], -1, 0
	s_cmp_lg_u64 s[24:25], 0
	s_addc_u32 s20, s20, s26
	s_mul_i32 s24, s7, s20
	s_mul_hi_u32 s25, s7, s23
	s_add_i32 s24, s25, s24
	s_mul_i32 s15, s15, s23
	s_add_i32 s24, s24, s15
	s_mul_i32 s7, s7, s23
	s_mul_hi_u32 s25, s20, s7
	s_mul_i32 s26, s20, s7
	s_mul_i32 s28, s23, s24
	s_mul_hi_u32 s7, s23, s7
	s_mul_hi_u32 s27, s23, s24
	s_add_u32 s7, s7, s28
	s_addc_u32 s27, 0, s27
	s_add_u32 s7, s7, s26
	s_mul_hi_u32 s15, s20, s24
	s_addc_u32 s7, s27, s25
	s_addc_u32 s15, s15, 0
	s_mul_i32 s24, s20, s24
	s_add_u32 s7, s7, s24
	s_addc_u32 s15, 0, s15
	s_add_u32 s7, s23, s7
	s_cselect_b64 s[24:25], -1, 0
	s_cmp_lg_u64 s[24:25], 0
	s_addc_u32 s15, s20, s15
	s_ashr_i32 s24, s21, 31
	s_add_u32 s20, s5, s24
	s_mov_b32 s25, s24
	s_addc_u32 s21, s21, s24
	s_xor_b64 s[20:21], s[20:21], s[24:25]
	s_mul_i32 s26, s20, s15
	s_mul_hi_u32 s27, s20, s7
	s_mul_hi_u32 s23, s20, s15
	s_add_u32 s26, s27, s26
	s_addc_u32 s23, 0, s23
	s_mul_hi_u32 s28, s21, s7
	s_mul_i32 s7, s21, s7
	s_add_u32 s7, s26, s7
	s_mul_hi_u32 s27, s21, s15
	s_addc_u32 s7, s23, s28
	s_addc_u32 s23, s27, 0
	s_mul_i32 s15, s21, s15
	s_add_u32 s7, s7, s15
	s_addc_u32 s15, 0, s23
	s_mul_i32 s23, s18, s15
	s_mul_hi_u32 s26, s18, s7
	s_add_i32 s23, s26, s23
	s_mul_i32 s26, s19, s7
	s_add_i32 s23, s23, s26
	s_sub_i32 s28, s21, s23
	s_mul_i32 s26, s18, s7
	s_sub_u32 s20, s20, s26
	s_cselect_b64 s[26:27], -1, 0
	s_cmp_lg_u64 s[26:27], 0
	s_subb_u32 s30, s28, s19
	s_sub_u32 s31, s20, s18
	s_cselect_b64 s[28:29], -1, 0
	s_cmp_lg_u64 s[28:29], 0
	s_subb_u32 s28, s30, 0
	s_cmp_ge_u32 s28, s19
	s_cselect_b32 s29, -1, 0
	s_cmp_ge_u32 s31, s18
	s_cselect_b32 s30, -1, 0
	s_cmp_eq_u32 s28, s19
	s_cselect_b32 s28, s30, s29
	s_add_u32 s29, s7, 1
	s_addc_u32 s30, s15, 0
	s_add_u32 s31, s7, 2
	s_addc_u32 s33, s15, 0
	s_cmp_lg_u32 s28, 0
	s_cselect_b32 s28, s31, s29
	s_cselect_b32 s29, s33, s30
	s_cmp_lg_u64 s[26:27], 0
	s_subb_u32 s21, s21, s23
	s_cmp_ge_u32 s21, s19
	s_cselect_b32 s23, -1, 0
	s_cmp_ge_u32 s20, s18
	s_cselect_b32 s18, -1, 0
	s_cmp_eq_u32 s21, s19
	s_cselect_b32 s18, s18, s23
	s_cmp_lg_u32 s18, 0
	s_cselect_b32 s19, s29, s15
	s_cselect_b32 s18, s28, s7
	s_xor_b64 s[20:21], s[24:25], 0
	s_xor_b64 s[18:19], s[18:19], s[20:21]
	s_sub_u32 s18, s18, s20
	s_cbranch_execnz .LBB51_6
.LBB51_5:
	v_cvt_f32_u32_e32 v1, s22
	s_sub_i32 s7, 0, s22
	v_rcp_iflag_f32_e32 v1, v1
	s_nop 0
	v_mul_f32_e32 v1, 0x4f7ffffe, v1
	v_cvt_u32_f32_e32 v1, v1
	s_waitcnt lgkmcnt(0)
	v_readfirstlane_b32 s15, v1
	s_mul_i32 s7, s7, s15
	s_mul_hi_u32 s7, s15, s7
	s_add_i32 s15, s15, s7
	s_mul_hi_u32 s7, s5, s15
	s_mul_i32 s16, s7, s22
	s_sub_i32 s5, s5, s16
	s_add_i32 s15, s7, 1
	s_sub_i32 s16, s5, s22
	s_cmp_ge_u32 s5, s22
	s_cselect_b32 s7, s15, s7
	s_cselect_b32 s5, s16, s5
	s_add_i32 s15, s7, 1
	s_cmp_ge_u32 s5, s22
	s_cselect_b32 s18, s15, s7
.LBB51_6:
	s_cmp_eq_u32 s6, s18
	s_waitcnt lgkmcnt(0)
	s_mul_hi_u32 s5, s6, s12
	s_cselect_b64 s[16:17], -1, 0
	s_add_i32 s5, s5, s6
	s_lshr_b32 s7, s5, s13
	s_mul_i32 s5, s7, s14
	s_cmp_eq_u32 s5, s6
	s_mul_hi_u32 s5, s18, s12
	s_cselect_b64 s[20:21], -1, 0
	s_add_i32 s5, s5, s18
	s_lshr_b32 s5, s5, s13
	s_cmp_eq_u32 s7, s5
	s_mul_i32 s5, s5, s14
	s_cselect_b64 s[24:25], -1, 0
	s_cmp_lg_u32 s5, s18
	s_cselect_b64 s[18:19], -1, 0
	s_and_b64 s[18:19], s[24:25], s[18:19]
	s_or_b64 s[16:17], s[16:17], s[20:21]
	s_or_b64 s[16:17], s[16:17], s[18:19]
	s_and_b64 vcc, exec, s[16:17]
	s_cbranch_vccnz .LBB51_23
; %bb.7:
	s_load_dwordx8 s[24:31], s[0:1], 0x20
	s_load_dword s15, s[0:1], 0x40
	s_waitcnt lgkmcnt(0)
	s_mul_hi_u32 s5, s6, s24
	s_add_i32 s5, s5, s6
	s_lshr_b32 s5, s5, s25
	s_mul_i32 s16, s5, s26
	s_sub_i32 s16, s6, s16
	s_mul_hi_u32 s17, s16, s27
	s_add_i32 s17, s16, s17
	s_lshr_b32 s21, s17, s28
	s_mul_i32 s17, s21, s29
	s_sub_i32 s16, s16, s17
	s_mul_hi_u32 s17, s16, s30
	s_add_i32 s17, s16, s17
	s_lshr_b32 s20, s17, s31
	s_mul_i32 s15, s20, s15
	s_sub_i32 s15, s16, s15
	s_mul_hi_u32 s16, s15, s12
	s_add_i32 s15, s15, s16
	s_lshr_b32 s23, s15, s13
	s_lshl_b32 s15, s23, 3
	s_add_i32 s15, s15, s3
	s_cmp_lt_i32 s15, s8
	s_cselect_b64 s[16:17], -1, 0
	s_add_i32 s15, s20, s4
	s_cmp_lt_i32 s15, s10
	s_cselect_b64 s[18:19], -1, 0
	s_and_b64 s[16:17], s[16:17], s[18:19]
	s_andn2_b64 vcc, exec, s[16:17]
	s_cbranch_vccnz .LBB51_23
; %bb.8:
	s_load_dwordx4 s[16:19], s[0:1], 0x0
	s_mov_b32 s0, 0
	s_lshl_b32 s24, s22, 5
	s_mov_b32 s25, s0
	s_add_i32 s15, s3, s4
	s_waitcnt lgkmcnt(0)
	v_mov_b32_e32 v2, s16
	v_mov_b32_e32 v3, s17
	s_lshl_b64 s[16:17], s[24:25], 2
	s_add_u32 s16, s18, s16
	s_mul_i32 s1, s5, s8
	s_addc_u32 s17, s19, s17
	s_add_i32 s1, s1, s3
	s_mul_i32 s1, s1, s9
	s_mul_i32 s21, s21, s10
	s_add_i32 s1, s1, s4
	s_add_i32 s1, s1, s21
	s_mul_i32 s5, s9, s23
	s_add_i32 s1, s1, s20
	s_lshl_b32 s5, s5, 11
	s_lshl_b32 s1, s1, 8
	s_add_i32 s5, s5, s1
	v_or_b32_e32 v4, s5, v0
	v_ashrrev_i32_e32 v5, 31, v4
	v_lshl_add_u64 v[2:3], v[4:5], 2, v[2:3]
	global_load_dword v1, v[2:3], off
	v_cvt_f32_u32_e32 v4, s22
	s_lshl_b32 s1, s2, 3
	s_add_i32 s4, s1, s15
	s_ashr_i32 s5, s4, 31
	s_lshl_b64 s[4:5], s[4:5], 3
	v_rcp_iflag_f32_e32 v4, v4
	s_add_u32 s4, s18, s4
	s_addc_u32 s5, s19, s5
	s_load_dwordx2 s[4:5], s[4:5], 0x0
	v_mul_f32_e32 v4, 0x4f7ffffe, v4
	v_cvt_u32_f32_e32 v7, v4
	s_add_i32 s24, s2, -1
	v_lshl_or_b32 v6, s15, 8, v0
	s_waitcnt lgkmcnt(0)
	v_mov_b32_e32 v0, s5
	v_mov_b32_e32 v9, s4
	s_mov_b32 s10, 0x3fb8aa3b
	s_mov_b32 s20, 0xc2ce8ed0
	;; [unrolled: 1-line block ×4, first 2 shown]
	v_mov_b32_e32 v8, 0x7f800000
	s_mul_hi_i32 s1, s24, s11
	s_cmp_lg_u64 s[0:1], 0
	s_mul_i32 s8, s24, s11
	s_cbranch_scc0 .LBB51_19
.LBB51_9:
	s_add_u32 s2, s22, 0
	s_addc_u32 s3, 0, 0
	s_xor_b64 s[2:3], s[2:3], 0
	v_cvt_f32_u32_e32 v4, s2
	v_cvt_f32_u32_e32 v5, s3
	s_sub_u32 s9, 0, s2
	s_subb_u32 s25, 0, s3
	v_fmac_f32_e32 v4, 0x4f800000, v5
	v_rcp_f32_e32 v4, v4
	s_nop 0
	v_mul_f32_e32 v4, 0x5f7ffffc, v4
	v_mul_f32_e32 v5, 0x2f800000, v4
	v_trunc_f32_e32 v5, v5
	v_fmac_f32_e32 v4, 0xcf800000, v5
	v_cvt_u32_f32_e32 v5, v5
	v_cvt_u32_f32_e32 v4, v4
	v_readfirstlane_b32 s26, v5
	v_readfirstlane_b32 s4, v4
	s_mul_i32 s5, s9, s26
	s_mul_hi_u32 s28, s9, s4
	s_mul_i32 s27, s25, s4
	s_add_i32 s5, s28, s5
	s_mul_i32 s29, s9, s4
	s_add_i32 s5, s5, s27
	s_mul_i32 s28, s4, s5
	s_mul_hi_u32 s30, s4, s29
	s_mul_hi_u32 s27, s4, s5
	s_add_u32 s28, s30, s28
	s_addc_u32 s27, 0, s27
	s_mul_hi_u32 s31, s26, s29
	s_mul_i32 s29, s26, s29
	s_add_u32 s28, s28, s29
	s_mul_hi_u32 s30, s26, s5
	s_addc_u32 s27, s27, s31
	s_addc_u32 s28, s30, 0
	s_mul_i32 s5, s26, s5
	s_add_u32 s5, s27, s5
	s_addc_u32 s27, 0, s28
	s_add_u32 s28, s4, s5
	s_cselect_b64 s[4:5], -1, 0
	s_cmp_lg_u64 s[4:5], 0
	s_addc_u32 s26, s26, s27
	s_mul_i32 s4, s9, s26
	s_mul_hi_u32 s5, s9, s28
	s_add_i32 s4, s5, s4
	s_mul_i32 s25, s25, s28
	s_add_i32 s4, s4, s25
	s_mul_i32 s9, s9, s28
	s_mul_hi_u32 s25, s26, s9
	s_mul_i32 s27, s26, s9
	s_mul_i32 s30, s28, s4
	s_mul_hi_u32 s9, s28, s9
	s_mul_hi_u32 s29, s28, s4
	s_add_u32 s9, s9, s30
	s_addc_u32 s29, 0, s29
	s_add_u32 s9, s9, s27
	s_mul_hi_u32 s5, s26, s4
	s_addc_u32 s9, s29, s25
	s_addc_u32 s5, s5, 0
	s_mul_i32 s4, s26, s4
	s_add_u32 s4, s9, s4
	s_addc_u32 s9, 0, s5
	s_add_u32 s25, s28, s4
	s_cselect_b64 s[4:5], -1, 0
	s_cmp_lg_u64 s[4:5], 0
	s_addc_u32 s9, s26, s9
	s_ashr_i32 s4, s1, 31
	s_add_u32 s26, s8, s4
	s_mov_b32 s5, s4
	s_addc_u32 s27, s1, s4
	s_xor_b64 s[26:27], s[26:27], s[4:5]
	s_mul_i32 s28, s26, s9
	s_mul_hi_u32 s29, s26, s25
	s_mul_hi_u32 s1, s26, s9
	s_add_u32 s28, s29, s28
	s_addc_u32 s1, 0, s1
	s_mul_hi_u32 s30, s27, s25
	s_mul_i32 s25, s27, s25
	s_add_u32 s25, s28, s25
	s_mul_hi_u32 s29, s27, s9
	s_addc_u32 s1, s1, s30
	s_addc_u32 s25, s29, 0
	s_mul_i32 s9, s27, s9
	s_add_u32 s1, s1, s9
	s_addc_u32 s9, 0, s25
	s_mul_i32 s25, s2, s9
	s_mul_hi_u32 s28, s2, s1
	s_add_i32 s25, s28, s25
	s_mul_i32 s28, s3, s1
	s_add_i32 s25, s25, s28
	s_sub_i32 s30, s27, s25
	s_mul_i32 s28, s2, s1
	s_sub_u32 s26, s26, s28
	s_cselect_b64 s[28:29], -1, 0
	s_cmp_lg_u64 s[28:29], 0
	s_subb_u32 s33, s30, s3
	s_sub_u32 s34, s26, s2
	s_cselect_b64 s[30:31], -1, 0
	s_cmp_lg_u64 s[30:31], 0
	s_subb_u32 s30, s33, 0
	s_cmp_ge_u32 s30, s3
	s_cselect_b32 s31, -1, 0
	s_cmp_ge_u32 s34, s2
	s_cselect_b32 s33, -1, 0
	s_cmp_eq_u32 s30, s3
	s_cselect_b32 s30, s33, s31
	s_add_u32 s31, s1, 1
	s_addc_u32 s33, s9, 0
	s_add_u32 s34, s1, 2
	s_addc_u32 s35, s9, 0
	s_cmp_lg_u32 s30, 0
	s_cselect_b32 s30, s34, s31
	s_cselect_b32 s31, s35, s33
	s_cmp_lg_u64 s[28:29], 0
	s_subb_u32 s25, s27, s25
	s_cmp_ge_u32 s25, s3
	s_cselect_b32 s27, -1, 0
	s_cmp_ge_u32 s26, s2
	s_cselect_b32 s2, -1, 0
	s_cmp_eq_u32 s25, s3
	s_cselect_b32 s2, s2, s27
	s_cmp_lg_u32 s2, 0
	s_cselect_b32 s3, s31, s9
	s_cselect_b32 s2, s30, s1
	s_xor_b64 s[4:5], s[4:5], 0
	s_xor_b64 s[2:3], s[2:3], s[4:5]
	s_sub_u32 s4, s2, s4
	s_cbranch_execnz .LBB51_11
.LBB51_10:
	s_sub_i32 s1, 0, s22
	v_readfirstlane_b32 s2, v7
	s_mul_i32 s1, s1, s2
	s_mul_hi_u32 s1, s2, s1
	s_add_i32 s2, s2, s1
	s_mul_hi_u32 s1, s8, s2
	s_mul_i32 s3, s1, s22
	s_sub_i32 s3, s8, s3
	s_add_i32 s2, s1, 1
	s_sub_i32 s4, s3, s22
	s_cmp_ge_u32 s3, s22
	s_cselect_b32 s1, s2, s1
	s_cselect_b32 s3, s4, s3
	s_add_i32 s2, s1, 1
	s_cmp_ge_u32 s3, s22
	s_cselect_b32 s4, s2, s1
.LBB51_11:
	s_cmp_lg_u32 s6, s4
	s_cbranch_scc0 .LBB51_15
; %bb.12:
	s_add_i32 s1, s24, s22
	s_lshl_b32 s1, s1, 3
	s_add_i32 s2, s1, s15
	s_mov_b32 s3, s0
	s_lshl_b64 s[2:3], s[2:3], 3
	s_add_u32 s8, s18, s2
	s_mul_hi_u32 s1, s4, s12
	s_addc_u32 s9, s19, s3
	s_add_i32 s1, s1, s4
	s_lshr_b32 s1, s1, s13
	s_mul_i32 s2, s1, s14
	s_cmp_eq_u32 s2, s4
	s_cselect_b64 s[2:3], -1, 0
	s_cmp_lt_u32 s1, s7
	s_cselect_b64 s[26:27], -1, 0
	s_or_b64 s[26:27], s[26:27], s[2:3]
	s_mov_b64 s[2:3], -1
	s_and_b64 vcc, exec, s[26:27]
	s_mov_b32 s1, s24
	s_mov_b32 s25, s6
	s_cbranch_vccnz .LBB51_14
; %bb.13:
	s_add_i32 s1, s24, -1
	s_mov_b64 s[2:3], 0
	s_mov_b32 s25, s4
.LBB51_14:
	v_lshl_add_u32 v4, s24, 11, v6
	v_ashrrev_i32_e32 v5, 31, v4
	v_lshl_add_u64 v[4:5], v[4:5], 2, s[16:17]
	global_load_dword v5, v[4:5], off
	s_load_dwordx2 s[4:5], s[8:9], 0x0
	v_max_f32_e32 v4, v9, v9
	s_waitcnt lgkmcnt(0)
	v_max_f32_e64 v10, s4, s4
	v_max_f32_e32 v10, v4, v10
	v_sub_f32_e32 v11, v9, v10
	v_sub_f32_e32 v13, s4, v10
	v_mul_f32_e32 v4, 0x3fb8aa3b, v11
	v_mul_f32_e32 v12, 0x3fb8aa3b, v13
	v_fma_f32 v14, v11, s10, -v4
	v_rndne_f32_e32 v15, v4
	v_fma_f32 v16, v13, s10, -v12
	v_rndne_f32_e32 v17, v12
	v_fmac_f32_e32 v14, 0x32a5705f, v11
	v_sub_f32_e32 v4, v4, v15
	v_fmac_f32_e32 v16, 0x32a5705f, v13
	v_sub_f32_e32 v12, v12, v17
	v_add_f32_e32 v4, v4, v14
	v_cvt_i32_f32_e32 v15, v15
	v_add_f32_e32 v12, v12, v16
	v_exp_f32_e32 v14, v4
	v_cvt_i32_f32_e32 v17, v17
	v_exp_f32_e32 v12, v12
	v_cmp_ngt_f32_e32 vcc, s20, v11
	v_ldexp_f32 v14, v14, v15
	v_mov_b32_e32 v4, s5
	v_ldexp_f32 v12, v12, v17
	v_cndmask_b32_e32 v14, 0, v14, vcc
	v_cmp_ngt_f32_e32 vcc, s20, v13
	s_nop 1
	v_cndmask_b32_e32 v12, 0, v12, vcc
	v_cmp_nlt_f32_e32 vcc, s21, v11
	s_nop 1
	v_cndmask_b32_e32 v14, v8, v14, vcc
	v_cmp_nlt_f32_e32 vcc, s21, v13
	s_nop 1
	v_cndmask_b32_e32 v15, v8, v12, vcc
	v_cmp_le_f32_e32 vcc, s23, v11
	s_nop 1
	v_cndmask_b32_e32 v12, 0, v14, vcc
	v_cmp_le_f32_e32 vcc, s23, v13
	s_nop 1
	v_cndmask_b32_e32 v14, 0, v15, vcc
	s_waitcnt vmcnt(0)
	v_pk_mul_f32 v[4:5], v[4:5], v[14:15] op_sel_hi:[1,0]
	s_nop 0
	v_pk_fma_f32 v[4:5], v[0:1], v[12:13], v[4:5] op_sel_hi:[1,0,1]
	s_cbranch_execz .LBB51_16
	s_branch .LBB51_17
.LBB51_15:
                                        ; implicit-def: $vgpr4_vgpr5
                                        ; implicit-def: $sgpr2_sgpr3
                                        ; implicit-def: $vgpr10
                                        ; implicit-def: $sgpr1
                                        ; implicit-def: $sgpr25
.LBB51_16:
	s_add_i32 s1, s24, -1
	s_mov_b64 s[2:3], 0
	s_mov_b32 s25, s6
	v_mov_b32_e32 v10, v9
	s_waitcnt vmcnt(0)
	v_mov_b64_e32 v[4:5], v[0:1]
.LBB51_17:
	s_andn2_b64 vcc, exec, s[2:3]
	s_cbranch_vccz .LBB51_22
; %bb.18:
	s_mov_b32 s6, s25
	s_mov_b32 s24, s1
	v_mov_b32_e32 v9, v10
	s_waitcnt vmcnt(0)
	v_mov_b64_e32 v[0:1], v[4:5]
	s_mul_hi_i32 s1, s24, s11
	s_cmp_lg_u64 s[0:1], 0
	s_mul_i32 s8, s24, s11
	s_cbranch_scc1 .LBB51_9
.LBB51_19:
                                        ; implicit-def: $sgpr4_sgpr5
	s_branch .LBB51_10
.LBB51_20:
                                        ; implicit-def: $sgpr6_sgpr7
	s_load_dwordx4 s[12:15], s[0:1], 0x44
	s_branch .LBB51_2
.LBB51_21:
                                        ; implicit-def: $sgpr18_sgpr19
	s_branch .LBB51_5
.LBB51_22:
	v_div_scale_f32 v0, s[0:1], v4, v4, v5
	s_waitcnt vmcnt(0)
	v_rcp_f32_e32 v1, v0
	v_div_scale_f32 v6, vcc, v5, v4, v5
	v_fma_f32 v7, -v0, v1, 1.0
	v_fmac_f32_e32 v1, v7, v1
	v_mul_f32_e32 v7, v6, v1
	v_fma_f32 v8, -v0, v7, v6
	v_fmac_f32_e32 v7, v8, v1
	v_fma_f32 v0, -v0, v7, v6
	v_div_fmas_f32 v0, v0, v1, v7
	v_div_fixup_f32 v0, v0, v4, v5
	global_store_dword v[2:3], v0, off
.LBB51_23:
	s_endpgm
	.section	.rodata,"a",@progbits
	.p2align	6, 0x0
	.amdhsa_kernel _ZL33flash_attn_stream_k_fixup_generalILi256ELi8ELi1EEvPfPK15HIP_vector_typeIfLj2EEiiiiS1_IjLj3EES5_S5_S5_
		.amdhsa_group_segment_fixed_size 0
		.amdhsa_private_segment_fixed_size 0
		.amdhsa_kernarg_size 336
		.amdhsa_user_sgpr_count 2
		.amdhsa_user_sgpr_dispatch_ptr 0
		.amdhsa_user_sgpr_queue_ptr 0
		.amdhsa_user_sgpr_kernarg_segment_ptr 1
		.amdhsa_user_sgpr_dispatch_id 0
		.amdhsa_user_sgpr_kernarg_preload_length 0
		.amdhsa_user_sgpr_kernarg_preload_offset 0
		.amdhsa_user_sgpr_private_segment_size 0
		.amdhsa_uses_dynamic_stack 0
		.amdhsa_enable_private_segment 0
		.amdhsa_system_sgpr_workgroup_id_x 1
		.amdhsa_system_sgpr_workgroup_id_y 1
		.amdhsa_system_sgpr_workgroup_id_z 1
		.amdhsa_system_sgpr_workgroup_info 0
		.amdhsa_system_vgpr_workitem_id 0
		.amdhsa_next_free_vgpr 18
		.amdhsa_next_free_sgpr 36
		.amdhsa_accum_offset 20
		.amdhsa_reserve_vcc 1
		.amdhsa_float_round_mode_32 0
		.amdhsa_float_round_mode_16_64 0
		.amdhsa_float_denorm_mode_32 3
		.amdhsa_float_denorm_mode_16_64 3
		.amdhsa_dx10_clamp 1
		.amdhsa_ieee_mode 1
		.amdhsa_fp16_overflow 0
		.amdhsa_tg_split 0
		.amdhsa_exception_fp_ieee_invalid_op 0
		.amdhsa_exception_fp_denorm_src 0
		.amdhsa_exception_fp_ieee_div_zero 0
		.amdhsa_exception_fp_ieee_overflow 0
		.amdhsa_exception_fp_ieee_underflow 0
		.amdhsa_exception_fp_ieee_inexact 0
		.amdhsa_exception_int_div_zero 0
	.end_amdhsa_kernel
	.section	.text._ZL33flash_attn_stream_k_fixup_generalILi256ELi8ELi1EEvPfPK15HIP_vector_typeIfLj2EEiiiiS1_IjLj3EES5_S5_S5_,"axG",@progbits,_ZL33flash_attn_stream_k_fixup_generalILi256ELi8ELi1EEvPfPK15HIP_vector_typeIfLj2EEiiiiS1_IjLj3EES5_S5_S5_,comdat
.Lfunc_end51:
	.size	_ZL33flash_attn_stream_k_fixup_generalILi256ELi8ELi1EEvPfPK15HIP_vector_typeIfLj2EEiiiiS1_IjLj3EES5_S5_S5_, .Lfunc_end51-_ZL33flash_attn_stream_k_fixup_generalILi256ELi8ELi1EEvPfPK15HIP_vector_typeIfLj2EEiiiiS1_IjLj3EES5_S5_S5_
                                        ; -- End function
	.set _ZL33flash_attn_stream_k_fixup_generalILi256ELi8ELi1EEvPfPK15HIP_vector_typeIfLj2EEiiiiS1_IjLj3EES5_S5_S5_.num_vgpr, 18
	.set _ZL33flash_attn_stream_k_fixup_generalILi256ELi8ELi1EEvPfPK15HIP_vector_typeIfLj2EEiiiiS1_IjLj3EES5_S5_S5_.num_agpr, 0
	.set _ZL33flash_attn_stream_k_fixup_generalILi256ELi8ELi1EEvPfPK15HIP_vector_typeIfLj2EEiiiiS1_IjLj3EES5_S5_S5_.numbered_sgpr, 36
	.set _ZL33flash_attn_stream_k_fixup_generalILi256ELi8ELi1EEvPfPK15HIP_vector_typeIfLj2EEiiiiS1_IjLj3EES5_S5_S5_.num_named_barrier, 0
	.set _ZL33flash_attn_stream_k_fixup_generalILi256ELi8ELi1EEvPfPK15HIP_vector_typeIfLj2EEiiiiS1_IjLj3EES5_S5_S5_.private_seg_size, 0
	.set _ZL33flash_attn_stream_k_fixup_generalILi256ELi8ELi1EEvPfPK15HIP_vector_typeIfLj2EEiiiiS1_IjLj3EES5_S5_S5_.uses_vcc, 1
	.set _ZL33flash_attn_stream_k_fixup_generalILi256ELi8ELi1EEvPfPK15HIP_vector_typeIfLj2EEiiiiS1_IjLj3EES5_S5_S5_.uses_flat_scratch, 0
	.set _ZL33flash_attn_stream_k_fixup_generalILi256ELi8ELi1EEvPfPK15HIP_vector_typeIfLj2EEiiiiS1_IjLj3EES5_S5_S5_.has_dyn_sized_stack, 0
	.set _ZL33flash_attn_stream_k_fixup_generalILi256ELi8ELi1EEvPfPK15HIP_vector_typeIfLj2EEiiiiS1_IjLj3EES5_S5_S5_.has_recursion, 0
	.set _ZL33flash_attn_stream_k_fixup_generalILi256ELi8ELi1EEvPfPK15HIP_vector_typeIfLj2EEiiiiS1_IjLj3EES5_S5_S5_.has_indirect_call, 0
	.section	.AMDGPU.csdata,"",@progbits
; Kernel info:
; codeLenInByte = 2932
; TotalNumSgprs: 42
; NumVgprs: 18
; NumAgprs: 0
; TotalNumVgprs: 18
; ScratchSize: 0
; MemoryBound: 0
; FloatMode: 240
; IeeeMode: 1
; LDSByteSize: 0 bytes/workgroup (compile time only)
; SGPRBlocks: 5
; VGPRBlocks: 2
; NumSGPRsForWavesPerEU: 42
; NumVGPRsForWavesPerEU: 18
; AccumOffset: 20
; Occupancy: 8
; WaveLimiterHint : 0
; COMPUTE_PGM_RSRC2:SCRATCH_EN: 0
; COMPUTE_PGM_RSRC2:USER_SGPR: 2
; COMPUTE_PGM_RSRC2:TRAP_HANDLER: 0
; COMPUTE_PGM_RSRC2:TGID_X_EN: 1
; COMPUTE_PGM_RSRC2:TGID_Y_EN: 1
; COMPUTE_PGM_RSRC2:TGID_Z_EN: 1
; COMPUTE_PGM_RSRC2:TIDIG_COMP_CNT: 0
; COMPUTE_PGM_RSRC3_GFX90A:ACCUM_OFFSET: 4
; COMPUTE_PGM_RSRC3_GFX90A:TG_SPLIT: 0
	.section	.text._ZL15flash_attn_tileILi256ELi256ELi4ELi1ELb0EEvPKcS1_S1_S1_S1_PKiPfP15HIP_vector_typeIfLj2EEffffjfiS5_IjLj3EEiiiiiiiiiiiliiliiiiil,"axG",@progbits,_ZL15flash_attn_tileILi256ELi256ELi4ELi1ELb0EEvPKcS1_S1_S1_S1_PKiPfP15HIP_vector_typeIfLj2EEffffjfiS5_IjLj3EEiiiiiiiiiiiliiliiiiil,comdat
	.globl	_ZL15flash_attn_tileILi256ELi256ELi4ELi1ELb0EEvPKcS1_S1_S1_S1_PKiPfP15HIP_vector_typeIfLj2EEffffjfiS5_IjLj3EEiiiiiiiiiiiliiliiiiil ; -- Begin function _ZL15flash_attn_tileILi256ELi256ELi4ELi1ELb0EEvPKcS1_S1_S1_S1_PKiPfP15HIP_vector_typeIfLj2EEffffjfiS5_IjLj3EEiiiiiiiiiiiliiliiiiil
	.p2align	8
	.type	_ZL15flash_attn_tileILi256ELi256ELi4ELi1ELb0EEvPKcS1_S1_S1_S1_PKiPfP15HIP_vector_typeIfLj2EEffffjfiS5_IjLj3EEiiiiiiiiiiiliiliiiiil,@function
_ZL15flash_attn_tileILi256ELi256ELi4ELi1ELb0EEvPKcS1_S1_S1_S1_PKiPfP15HIP_vector_typeIfLj2EEffffjfiS5_IjLj3EEiiiiiiiiiiiliiliiiiil: ; @_ZL15flash_attn_tileILi256ELi256ELi4ELi1ELb0EEvPKcS1_S1_S1_S1_PKiPfP15HIP_vector_typeIfLj2EEffffjfiS5_IjLj3EEiiiiiiiiiiiliiliiiiil
; %bb.0:
	s_load_dwordx4 s[24:27], s[0:1], 0x5c
	s_load_dwordx2 s[38:39], s[0:1], 0x80
	s_load_dwordx2 s[40:41], s[0:1], 0xb8
	s_mov_b64 s[36:37], 0
	s_waitcnt lgkmcnt(0)
	v_cvt_f32_u32_e32 v1, s27
	s_sub_i32 s5, 0, s27
	v_rcp_iflag_f32_e32 v1, v1
	s_nop 0
	v_mul_f32_e32 v1, 0x4f7ffffe, v1
	v_cvt_u32_f32_e32 v1, v1
	s_nop 0
	v_readfirstlane_b32 s6, v1
	s_mul_i32 s5, s5, s6
	s_mul_hi_u32 s5, s6, s5
	s_add_i32 s6, s6, s5
	s_mul_hi_u32 s5, s4, s6
	s_mul_i32 s6, s5, s27
	s_sub_i32 s6, s4, s6
	s_add_i32 s7, s5, 1
	s_sub_i32 s8, s6, s27
	s_cmp_ge_u32 s6, s27
	s_cselect_b32 s5, s7, s5
	s_cselect_b32 s6, s8, s6
	s_add_i32 s7, s5, 1
	s_cmp_ge_u32 s6, s27
	s_cselect_b32 s33, s7, s5
	s_abs_i32 s5, s39
	v_cvt_f32_u32_e32 v1, s5
	s_mul_i32 s8, s33, s27
	s_sub_i32 s9, 0, s5
	s_sub_i32 s34, s4, s8
	v_rcp_iflag_f32_e32 v1, v1
	s_abs_i32 s7, s27
	s_xor_b32 s6, s27, s39
	s_ashr_i32 s6, s6, 31
	v_mul_f32_e32 v1, 0x4f7ffffe, v1
	v_cvt_u32_f32_e32 v1, v1
	s_nop 0
	v_readfirstlane_b32 s4, v1
	s_mul_i32 s9, s9, s4
	s_mul_hi_u32 s8, s4, s9
	s_add_i32 s4, s4, s8
	s_mul_hi_u32 s4, s7, s4
	s_mul_i32 s8, s4, s5
	s_sub_i32 s7, s7, s8
	s_add_i32 s9, s4, 1
	s_sub_i32 s8, s7, s5
	s_cmp_ge_u32 s7, s5
	s_cselect_b32 s4, s9, s4
	s_cselect_b32 s7, s8, s7
	s_add_i32 s8, s4, 1
	s_cmp_ge_u32 s7, s5
	s_cselect_b32 s4, s8, s4
	s_xor_b32 s4, s4, s6
	s_sub_i32 s43, s4, s6
	s_abs_i32 s39, s43
	v_cvt_f32_u32_e32 v1, s39
	s_load_dwordx16 s[8:23], s[0:1], 0x0
	s_sub_i32 s4, 0, s39
	s_abs_i32 s42, s34
	v_rcp_iflag_f32_e32 v1, v1
	s_nop 0
	v_mul_f32_e32 v1, 0x4f7ffffe, v1
	v_cvt_u32_f32_e32 v1, v1
	s_nop 0
	v_readfirstlane_b32 s5, v1
	s_mul_i32 s4, s4, s5
	s_mul_hi_u32 s4, s5, s4
	s_add_i32 s4, s5, s4
	s_waitcnt lgkmcnt(0)
	s_cmp_eq_u64 s[14:15], 0
	s_cbranch_scc1 .LBB52_2
; %bb.1:
	s_abs_i32 s5, s40
	v_cvt_f32_u32_e32 v1, s5
	s_sub_i32 s30, 0, s5
	s_abs_i32 s29, s33
	s_ashr_i32 s28, s33, 31
	v_rcp_iflag_f32_e32 v1, v1
	s_load_dwordx2 s[6:7], s[0:1], 0xc8
	v_mul_f32_e32 v1, 0x4f7ffffe, v1
	v_cvt_u32_f32_e32 v1, v1
	s_nop 0
	v_readfirstlane_b32 s31, v1
	s_mul_i32 s30, s30, s31
	s_mul_hi_u32 s30, s31, s30
	s_add_i32 s31, s31, s30
	s_mul_hi_u32 s30, s29, s31
	s_mul_i32 s30, s30, s5
	s_sub_i32 s29, s29, s30
	s_sub_i32 s30, s29, s5
	s_cmp_ge_u32 s29, s5
	s_cselect_b32 s29, s30, s29
	s_sub_i32 s30, s29, s5
	s_cmp_ge_u32 s29, s5
	s_cselect_b32 s5, s30, s29
	s_xor_b32 s5, s5, s28
	s_sub_i32 s5, s5, s28
	s_ashr_i32 s28, s5, 31
	s_waitcnt lgkmcnt(0)
	s_mul_hi_u32 s29, s6, s5
	s_mul_i32 s28, s6, s28
	s_mul_i32 s7, s7, s5
	s_add_i32 s28, s29, s28
	s_add_i32 s28, s28, s7
	s_mul_i32 s5, s6, s5
	s_add_u32 s36, s14, s5
	s_addc_u32 s37, s15, s28
.LBB52_2:
	s_load_dwordx4 s[28:31], s[0:1], 0x40
	s_mul_hi_u32 s14, s42, s4
	s_load_dword s4, s[0:1], 0x50
	v_mov_b32_e32 v46, 1.0
	s_waitcnt lgkmcnt(0)
	v_cmp_le_f32_e64 s[6:7], s29, 0
	s_and_b64 vcc, exec, s[6:7]
	s_cbranch_vccnz .LBB52_4
; %bb.3:
	v_mov_b32_e32 v1, s4
	v_sub_co_u32_e32 v1, vcc, s34, v1
	v_mov_b32_e32 v2, s31
	v_mov_b32_e32 v3, s30
	s_add_i32 s4, s34, 1
	v_lshlrev_b32_e32 v1, 1, v1
	v_cndmask_b32_e32 v2, v2, v3, vcc
	v_or_b32_e32 v1, 1, v1
	v_mov_b32_e32 v3, s4
	v_cndmask_b32_e32 v1, v1, v3, vcc
	v_cvt_f32_i32_e32 v1, v1
	v_cmp_neq_f32_e32 vcc, 1.0, v2
	s_mov_b32 s4, 0x3f2aaaab
	s_movk_i32 s6, 0x204
	v_cndmask_b32_e32 v1, 1.0, v1, vcc
	v_cmp_neq_f32_e32 vcc, 0, v1
	s_mov_b32 s5, 0x42b17218
	s_mov_b32 s7, 0x3fb8aa3b
	v_cndmask_b32_e32 v18, 1.0, v2, vcc
	v_frexp_mant_f32_e64 v2, |v18|
	v_cmp_gt_f32_e32 vcc, s4, v2
	s_mov_b32 s4, 0x3f317218
	s_brev_b32 s15, -2
	v_cndmask_b32_e64 v3, 1.0, 2.0, vcc
	v_mul_f32_e32 v2, v2, v3
	v_add_f32_e32 v5, 1.0, v2
	v_rcp_f32_e32 v10, v5
	v_add_f32_e32 v3, -1.0, v5
	v_sub_f32_e32 v7, v2, v3
	v_add_f32_e32 v3, -1.0, v2
	v_mul_f32_e32 v11, v3, v10
	v_mul_f32_e32 v4, v5, v11
	v_fma_f32 v6, v11, v5, -v4
	v_fmac_f32_e32 v6, v11, v7
	v_add_f32_e32 v2, v4, v6
	v_sub_f32_e32 v5, v3, v2
	v_pk_add_f32 v[8:9], v[2:3], v[4:5] neg_lo:[0,1] neg_hi:[0,1]
	v_mov_b32_e32 v7, v2
	v_pk_add_f32 v[2:3], v[8:9], v[6:7] neg_lo:[0,1] neg_hi:[0,1]
	v_mov_b32_e32 v6, 0x3e91f4c4
	v_add_f32_e32 v2, v2, v3
	v_add_f32_e32 v2, v5, v2
	v_mul_f32_e32 v3, v10, v2
	v_add_f32_e32 v2, v11, v3
	v_sub_f32_e32 v4, v2, v11
	v_sub_f32_e32 v12, v3, v4
	v_mul_f32_e32 v3, v2, v2
	v_fma_f32 v5, v2, v2, -v3
	v_add_f32_e32 v4, v12, v12
	v_fmac_f32_e32 v5, v2, v4
	v_add_f32_e32 v4, v3, v5
	v_fmac_f32_e32 v6, 0x3e76c4e1, v4
	v_fmaak_f32 v6, v4, v6, 0x3ecccdef
	v_sub_f32_e32 v3, v4, v3
	v_sub_f32_e32 v13, v5, v3
	v_mul_f32_e32 v3, v4, v6
	v_fma_f32 v5, v4, v6, -v3
	v_fmac_f32_e32 v5, v13, v6
	v_add_f32_e32 v6, v3, v5
	v_add_f32_e32 v7, 0x3f2aaaaa, v6
	v_sub_f32_e32 v3, v6, v3
	v_sub_f32_e32 v3, v5, v3
	v_add_f32_e32 v5, 0xbf2aaaaa, v7
	v_add_f32_e32 v3, 0x31739010, v3
	v_sub_f32_e32 v5, v6, v5
	v_pk_mul_f32 v[8:9], v[2:3], v[4:5]
	v_pk_add_f32 v[10:11], v[2:3], v[4:5]
	v_fma_f32 v6, v4, v2, -v8
	v_fmac_f32_e32 v6, v4, v12
	v_mov_b32_e32 v9, v11
	v_fmac_f32_e32 v6, v13, v2
	v_pk_add_f32 v[4:5], v[8:9], v[6:7]
	v_ldexp_f32 v14, v12, 1
	v_sub_f32_e32 v3, v4, v8
	v_sub_f32_e32 v3, v6, v3
	;; [unrolled: 1-line block ×3, first 2 shown]
	v_add_f32_e32 v9, v11, v6
	v_pk_mul_f32 v[6:7], v[4:5], v[4:5] op_sel:[0,1] op_sel_hi:[1,0]
	v_cvt_f64_f32_e64 v[10:11], |v18|
	v_frexp_exp_i32_f64_e32 v7, v[10:11]
	v_subbrev_co_u32_e32 v7, vcc, 0, v7, vcc
	v_cvt_f32_i32_e32 v7, v7
	v_fma_f32 v8, v4, v5, -v6
	v_fmac_f32_e32 v8, v4, v9
	v_fmac_f32_e32 v8, v3, v5
	v_mul_f32_e32 v4, 0x3f317218, v7
	v_fma_f32 v3, v7, s4, -v4
	v_fmamk_f32 v10, v7, 0xb102e308, v3
	v_ldexp_f32 v11, v2, 1
	v_add_f32_e32 v5, v6, v8
	v_pk_add_f32 v[2:3], v[4:5], v[10:11]
	v_mov_b32_e32 v12, v5
	v_mov_b32_e32 v13, v3
	v_mov_b32_e32 v7, v11
	v_pk_add_f32 v[6:7], v[12:13], v[6:7] neg_lo:[0,1] neg_hi:[0,1]
	v_mov_b32_e32 v9, v5
	v_pk_add_f32 v[6:7], v[8:9], v[6:7] neg_lo:[0,1] neg_hi:[0,1]
	v_mov_b32_e32 v11, v2
	v_add_f32_e32 v5, v14, v6
	v_add_f32_e32 v5, v5, v7
	v_pk_add_f32 v[6:7], v[2:3], v[4:5] neg_lo:[0,1] neg_hi:[0,1]
	v_pk_add_f32 v[8:9], v[2:3], v[4:5]
	v_mov_b32_e32 v16, v3
	v_mov_b32_e32 v7, v9
	v_pk_add_f32 v[12:13], v[10:11], v[6:7] neg_lo:[0,1] neg_hi:[0,1]
	v_pk_add_f32 v[6:7], v[10:11], v[6:7]
	v_mov_b32_e32 v4, v5
	v_pk_add_f32 v[10:11], v[6:7], v[2:3] op_sel:[1,0] op_sel_hi:[0,1] neg_lo:[0,1] neg_hi:[0,1]
	v_pk_add_f32 v[14:15], v[8:9], v[10:11] op_sel_hi:[1,0] neg_lo:[0,1] neg_hi:[0,1]
	v_mov_b32_e32 v8, v9
	v_mov_b32_e32 v9, v7
	;; [unrolled: 1-line block ×3, first 2 shown]
	v_pk_add_f32 v[8:9], v[8:9], v[16:17] neg_lo:[0,1] neg_hi:[0,1]
	v_mov_b32_e32 v5, v2
	v_pk_add_f32 v[2:3], v[4:5], v[8:9] neg_lo:[0,1] neg_hi:[0,1]
	v_mov_b32_e32 v14, v12
	v_pk_add_f32 v[4:5], v[14:15], v[2:3]
	v_mov_b32_e32 v13, v7
	v_pk_add_f32 v[8:9], v[4:5], v[4:5] op_sel:[0,1] op_sel_hi:[1,0]
	s_mov_b32 s4, 0x7f800000
	v_pk_add_f32 v[6:7], v[6:7], v[8:9] op_sel:[1,0] op_sel_hi:[0,1]
	v_mov_b32_e32 v5, v6
	v_pk_add_f32 v[10:11], v[4:5], v[12:13] neg_lo:[0,1] neg_hi:[0,1]
	v_mov_b32_e32 v3, v8
	v_sub_f32_e32 v4, v4, v10
	v_pk_add_f32 v[2:3], v[2:3], v[10:11] neg_lo:[0,1] neg_hi:[0,1]
	v_sub_f32_e32 v4, v12, v4
	v_add_f32_e32 v2, v2, v4
	v_add_f32_e32 v2, v2, v3
	;; [unrolled: 1-line block ×3, first 2 shown]
	v_sub_f32_e32 v4, v3, v6
	v_sub_f32_e32 v2, v2, v4
	v_mul_f32_e32 v4, v1, v3
	v_fma_f32 v3, v1, v3, -v4
	v_fmac_f32_e32 v3, v1, v2
	v_add_f32_e32 v2, v4, v3
	v_cmp_class_f32_e64 vcc, v4, s6
	v_sub_f32_e32 v5, v2, v4
	v_sub_f32_e32 v3, v3, v5
	v_cndmask_b32_e32 v2, v2, v4, vcc
	v_mov_b32_e32 v4, 0x37000000
	v_cmp_eq_f32_e32 vcc, s5, v2
	v_cmp_class_f32_e64 s[30:31], v18, s6
	s_nop 0
	v_cndmask_b32_e32 v4, 0, v4, vcc
	v_sub_f32_e32 v5, v2, v4
	v_mul_f32_e32 v6, 0x3fb8aa3b, v5
	v_fma_f32 v7, v5, s7, -v6
	v_rndne_f32_e32 v8, v6
	v_fmamk_f32 v7, v5, 0x32a5705f, v7
	v_sub_f32_e32 v6, v6, v8
	v_add_f32_e32 v6, v6, v7
	v_exp_f32_e32 v6, v6
	v_cvt_i32_f32_e32 v7, v8
	v_cmp_neq_f32_e64 vcc, |v2|, s4
	s_mov_b32 s4, 0xc2ce8ed0
	s_nop 0
	v_cndmask_b32_e32 v2, 0, v3, vcc
	v_ldexp_f32 v3, v6, v7
	v_cmp_ngt_f32_e32 vcc, s4, v5
	v_add_f32_e32 v2, v4, v2
	v_mov_b32_e32 v4, 0x7f800000
	v_cndmask_b32_e32 v3, 0, v3, vcc
	v_cmp_nlt_f32_e32 vcc, s5, v5
	v_mov_b32_e32 v5, 0x7fc00000
	s_nop 0
	v_cndmask_b32_e32 v3, v4, v3, vcc
	v_fma_f32 v2, v3, v2, v3
	v_cmp_class_f32_e64 vcc, v3, s6
	v_cmp_gt_f32_e64 s[6:7], 0, v1
	s_nop 0
	v_cndmask_b32_e32 v2, v2, v3, vcc
	v_trunc_f32_e32 v3, v1
	v_cmp_eq_f32_e32 vcc, v3, v1
	v_mul_f32_e32 v3, 0.5, v1
	v_trunc_f32_e32 v6, v3
	v_cmp_neq_f32_e64 s[4:5], v6, v3
	s_and_b64 s[4:5], vcc, s[4:5]
	s_nop 0
	v_cndmask_b32_e64 v3, 1.0, v18, s[4:5]
	v_bfi_b32 v2, s15, v2, v3
	v_cndmask_b32_e32 v3, v5, v2, vcc
	v_cmp_gt_f32_e32 vcc, 0, v18
	s_nop 1
	v_cndmask_b32_e32 v2, v2, v3, vcc
	v_cmp_eq_f32_e32 vcc, 0, v18
	s_xor_b64 s[6:7], s[6:7], vcc
	v_cndmask_b32_e64 v1, v4, 0, s[6:7]
	v_cndmask_b32_e64 v3, 0, v18, s[4:5]
	v_bfi_b32 v1, s15, v1, v3
	s_or_b64 vcc, vcc, s[30:31]
	v_cndmask_b32_e32 v1, v2, v1, vcc
	v_cmp_o_f32_e32 vcc, v18, v18
	s_nop 1
	v_cndmask_b32_e32 v46, v5, v1, vcc
.LBB52_4:
	s_load_dwordx4 s[44:47], s[0:1], 0x70
	v_lshrrev_b32_e32 v1, 10, v0
	v_bfe_u32 v6, v1, 1, 9
	s_ashr_i32 s35, s34, 31
	s_ashr_i32 s4, s43, 31
	s_waitcnt lgkmcnt(0)
	s_mul_i32 s5, s33, s46
	s_ashr_i32 s7, s5, 31
	v_lshl_add_u32 v40, s2, 2, v6
	s_mul_i32 s6, s34, s45
	s_add_u32 s5, s8, s5
	v_mul_hi_u32 v1, s24, v40
	s_addc_u32 s7, s9, s7
	s_ashr_i32 s8, s6, 31
	v_add_u32_e32 v1, v40, v1
	s_add_u32 s6, s5, s6
	v_lshrrev_b32_e32 v1, s25, v1
	s_addc_u32 s7, s7, s8
	v_mul_lo_u32 v1, v1, s26
	s_ashr_i32 s45, s44, 31
	v_sub_u32_e32 v47, v40, v1
	s_lshr_b64 s[8:9], s[44:45], 2
	v_mad_u64_u32 v[2:3], s[8:9], s8, v47, 0
	v_mov_b32_e32 v4, v3
	s_lshr_b32 s5, s45, 2
	v_mad_u64_u32 v[4:5], s[8:9], s5, v47, v[4:5]
	v_bfe_u32 v43, v0, 10, 10
	v_mov_b32_e32 v3, v4
	v_and_b32_e32 v41, 0x3ff, v0
	v_lshl_add_u64 v[0:1], v[2:3], 2, s[6:7]
	v_lshlrev_b32_e32 v2, 9, v43
	v_mov_b32_e32 v5, 0
	v_and_b32_e32 v4, 0x200, v2
	v_lshl_add_u64 v[0:1], v[0:1], 0, v[4:5]
	v_lshlrev_b32_e32 v4, 4, v41
	v_lshl_add_u64 v[0:1], v[0:1], 0, v[4:5]
	global_load_dwordx4 v[0:3], v[0:1], off
	v_lshlrev_b32_e32 v7, 8, v43
	v_and_b32_e32 v7, 0x100, v7
	v_lshl_or_b32 v6, v6, 9, v7
	v_lshlrev_b32_e32 v45, 3, v41
	v_lshlrev_b32_e32 v42, 2, v41
	v_add_u32_e32 v6, v6, v45
	s_cmp_eq_u64 s[18:19], 0
	s_waitcnt vmcnt(0)
	v_fma_mixlo_f16 v7, s28, v0, 0
	v_mov_b32_e32 v0, v3
	v_pk_mul_f32 v[0:1], s[28:29], v[0:1] op_sel_hi:[0,1]
	v_cvt_pk_f16_f32 v0, v0, v1
	v_fma_mixlo_f16 v2, s28, v2, 0
	v_and_b32_e32 v3, 0xffff, v7
	v_lshlrev_b32_e32 v1, 16, v0
	v_and_b32_e32 v0, 0xffff0000, v0
	v_and_b32_e32 v2, 0xffff, v2
	v_or_b32_e32 v0, v0, v3
	v_or3_b32 v1, v1, v2, 0
	v_or3_b32 v0, 0, 0, v0
	ds_write_b64 v6, v[0:1] offset:17408
	s_waitcnt lgkmcnt(0)
	s_barrier
	s_cbranch_scc1 .LBB52_6
; %bb.5:
	s_load_dword s5, s[0:1], 0xd0
	s_mov_b32 s7, 0
	s_waitcnt lgkmcnt(0)
	s_mul_i32 s5, s5, s33
	s_add_i32 s6, s5, s2
	s_lshl_b64 s[6:7], s[6:7], 2
	s_add_u32 s6, s18, s6
	s_addc_u32 s7, s19, s7
	s_load_dword s38, s[6:7], 0x0
.LBB52_6:
	s_nop 0
	s_load_dwordx2 s[6:7], s[0:1], 0x8c
	s_load_dwordx4 s[44:47], s[0:1], 0x98
	s_ashr_i32 s5, s33, 31
	s_ashr_i32 s25, s41, 1
	s_load_dwordx2 s[8:9], s[0:1], 0xa8
	s_waitcnt lgkmcnt(0)
	s_ashr_i32 s28, s6, 2
	s_mul_hi_u32 s6, s44, s33
	s_mul_i32 s15, s44, s5
	s_add_i32 s6, s6, s15
	s_mul_i32 s15, s45, s33
	s_ashr_i32 s2, s46, 2
	s_add_i32 s6, s6, s15
	s_mul_i32 s15, s44, s33
	s_add_u32 s10, s10, s15
	s_addc_u32 s6, s11, s6
	s_mul_i32 s11, s14, s39
	s_sub_i32 s11, s42, s11
	s_xor_b32 s4, s35, s4
	s_add_i32 s15, s14, 1
	s_sub_i32 s18, s11, s39
	s_cmp_ge_u32 s11, s39
	s_cselect_b32 s14, s15, s14
	s_cselect_b32 s11, s18, s11
	s_add_i32 s15, s14, 1
	s_cmp_ge_u32 s11, s39
	s_cselect_b32 s11, s15, s14
	s_xor_b32 s11, s11, s4
	s_sub_i32 s4, s11, s4
	s_mul_i32 s7, s4, s7
	s_ashr_i32 s11, s7, 31
	s_add_u32 s29, s10, s7
	s_addc_u32 s30, s6, s11
	s_mul_hi_u32 s6, s8, s33
	s_mul_i32 s5, s8, s5
	s_add_i32 s5, s6, s5
	s_mul_i32 s6, s9, s33
	s_add_i32 s5, s5, s6
	s_mul_i32 s6, s8, s33
	s_add_u32 s6, s12, s6
	s_mul_i32 s4, s4, s47
	s_addc_u32 s5, s13, s5
	s_ashr_i32 s7, s4, 31
	s_add_u32 s18, s6, s4
	s_addc_u32 s19, s5, s7
	s_lshl_b32 s24, s3, 6
	s_sub_i32 s31, s38, 64
	v_lshlrev_b32_e32 v51, 6, v43
	s_cmp_ge_i32 s24, s31
	v_lshrrev_b32_e32 v13, 4, v41
	v_and_b32_e32 v12, 60, v42
	v_lshlrev_b32_e32 v48, 5, v43
	v_and_b32_e32 v49, 1, v41
	v_lshlrev_b32_e32 v6, 2, v42
	v_mul_lo_u32 v8, s2, v43
	v_and_b32_e32 v44, 1, v43
	v_mbcnt_lo_u32_b32 v50, -1, 0
	s_cbranch_scc1 .LBB52_14
; %bb.7:
	v_lshl_add_u32 v0, v43, 1, v13
	v_lshlrev_b32_e32 v1, 2, v12
	s_movk_i32 s4, 0x110
	v_mad_u32_u24 v52, v0, s4, v1
	v_mul_lo_u32 v14, s28, v0
	s_lshl_b32 s4, s28, 4
	v_and_b32_e32 v1, 32, v48
	v_add_u32_e32 v16, s4, v14
	v_add_u32_e32 v0, v1, v41
	v_and_b32_e32 v2, 0xff80, v51
	v_mov_b32_e32 v3, 0x4400
	s_movk_i32 s8, 0x3fe
	v_add_u32_e32 v18, s4, v16
	v_mul_u32_u24_e32 v56, 0x110, v0
	v_lshl_add_u32 v57, v2, 2, v3
	s_cmp_lg_u64 s[36:37], 0
	v_mad_u64_u32 v[22:23], s[6:7], v47, s25, v[0:1]
	v_mov_b32_e32 v0, 0x4e00
	v_and_or_b32 v3, v43, s8, v49
	v_add_u32_e32 v5, 0x4c00, v2
	v_add_u32_e32 v20, s4, v18
	s_cselect_b64 s[4:5], -1, 0
	v_lshl_add_u32 v23, v43, 2, v0
	v_lshl_add_u32 v58, v3, 2, v0
	v_lshl_or_b32 v0, v1, 1, v5
	s_lshl_b32 s8, s2, 3
	v_lshl_add_u32 v59, v41, 1, v0
	v_add_u32_e32 v0, s8, v8
	v_add_u32_e32 v2, s8, v0
	;; [unrolled: 1-line block ×3, first 2 shown]
	v_and_b32_e32 v24, 1, v43
	v_mov_b32_e32 v7, 0
	v_lshl_add_u32 v60, v43, 9, v6
	v_ashrrev_i32_e32 v9, 31, v8
	v_ashrrev_i32_e32 v1, 31, v0
	;; [unrolled: 1-line block ×4, first 2 shown]
	v_lshl_or_b32 v64, v24, 1, v5
	s_add_u32 s14, s0, 0xd0
	v_cndmask_b32_e64 v5, 0, 1, s[4:5]
	v_ashrrev_i32_e32 v15, 31, v14
	v_add_u32_e32 v53, 0x1100, v52
	v_ashrrev_i32_e32 v17, 31, v16
	v_add_u32_e32 v54, 0x2200, v52
	;; [unrolled: 2-line block ×3, first 2 shown]
	v_ashrrev_i32_e32 v21, 31, v20
	v_cmp_eq_u32_e64 s[6:7], 0, v41
	v_add_u32_e32 v61, 0x1000, v60
	v_add_u32_e32 v62, 0x2000, v60
	v_add_u32_e32 v63, 0x3000, v60
	v_lshl_add_u32 v65, v24, 9, v45
	s_addc_u32 s15, s1, 0
	v_mov_b32_e32 v67, 0xfeffffff
	v_lshlrev_b32_e32 v24, 2, v12
	v_mov_b32_e32 v25, v7
	v_mbcnt_hi_u32_b32 v66, -1, v50
	s_mov_b32 s39, 0x3fb8aa3b
	s_mov_b32 s40, 0xc2ce8ed0
	;; [unrolled: 1-line block ×3, first 2 shown]
	v_lshlrev_b64 v[26:27], 2, v[8:9]
	v_lshlrev_b64 v[28:29], 2, v[0:1]
	;; [unrolled: 1-line block ×4, first 2 shown]
	v_cmp_ne_u32_e64 s[4:5], 1, v5
	v_mov_b32_e32 v9, 0x7f800000
	v_mov_b32_e32 v0, v7
	;; [unrolled: 1-line block ×6, first 2 shown]
.LBB52_8:                               ; =>This Inner Loop Header: Depth=1
	s_mul_hi_i32 s9, s24, s28
	s_mul_i32 s8, s24, s28
	s_lshl_b64 s[8:9], s[8:9], 2
	s_add_u32 s8, s29, s8
	s_addc_u32 s9, s30, s9
	v_lshl_add_u64 v[10:11], v[14:15], 2, s[8:9]
	v_lshl_add_u64 v[36:37], v[18:19], 2, s[8:9]
	;; [unrolled: 1-line block ×7, first 2 shown]
	global_load_dwordx4 v[68:71], v[10:11], off
	global_load_dwordx4 v[72:75], v[34:35], off
	v_lshl_add_u64 v[38:39], v[38:39], 0, v[24:25]
	global_load_dwordx4 v[76:79], v[36:37], off
	global_load_dwordx4 v[80:83], v[38:39], off
	s_and_b64 vcc, exec, s[4:5]
	s_waitcnt vmcnt(3)
	ds_write_b128 v52, v[68:71]
	s_waitcnt vmcnt(2)
	ds_write_b128 v53, v[72:75]
	;; [unrolled: 2-line block ×4, first 2 shown]
	s_waitcnt lgkmcnt(0)
	s_barrier
	ds_read_b128 v[70:73], v56
	ds_read_b128 v[74:77], v57
	v_mov_b32_e32 v68, 0
	s_waitcnt lgkmcnt(0)
	;;#ASMSTART
	v_dot2_f32_f16 v68, v70, v74, v68
	;;#ASMEND
	s_nop 0
	;;#ASMSTART
	v_dot2_f32_f16 v68, v71, v75, v68
	;;#ASMEND
	s_nop 0
	;;#ASMSTART
	v_dot2_f32_f16 v68, v72, v76, v68
	;;#ASMEND
	s_nop 0
	;;#ASMSTART
	v_dot2_f32_f16 v68, v73, v77, v68
	;;#ASMEND
	ds_read_b128 v[70:73], v56 offset:16
	ds_read_b128 v[74:77], v57 offset:16
	s_waitcnt lgkmcnt(0)
	;;#ASMSTART
	v_dot2_f32_f16 v68, v70, v74, v68
	;;#ASMEND
	s_nop 0
	;;#ASMSTART
	v_dot2_f32_f16 v68, v71, v75, v68
	;;#ASMEND
	s_nop 0
	;;#ASMSTART
	v_dot2_f32_f16 v68, v72, v76, v68
	;;#ASMEND
	s_nop 0
	;;#ASMSTART
	v_dot2_f32_f16 v68, v73, v77, v68
	;;#ASMEND
	ds_read_b128 v[70:73], v56 offset:32
	ds_read_b128 v[74:77], v57 offset:32
	;; [unrolled: 18-line block ×15, first 2 shown]
	s_waitcnt lgkmcnt(0)
	;;#ASMSTART
	v_dot2_f32_f16 v68, v70, v74, v68
	;;#ASMEND
	s_nop 0
	;;#ASMSTART
	v_dot2_f32_f16 v68, v71, v75, v68
	;;#ASMEND
	s_nop 0
	;; [unrolled: 4-line block ×3, first 2 shown]
	;;#ASMSTART
	v_dot2_f32_f16 v68, v73, v77, v68
	;;#ASMEND
	s_barrier
	global_load_dwordx4 v[70:73], v[10:11], off offset:256
	global_load_dwordx4 v[74:77], v[34:35], off offset:256
	;; [unrolled: 1-line block ×4, first 2 shown]
	v_mov_b32_e32 v10, 0
	s_waitcnt vmcnt(3)
	ds_write_b128 v52, v[70:73]
	s_waitcnt vmcnt(2)
	ds_write_b128 v53, v[74:77]
	s_waitcnt vmcnt(1)
	ds_write_b128 v54, v[78:81]
	s_waitcnt vmcnt(0)
	ds_write_b128 v55, v[82:85]
	s_waitcnt lgkmcnt(0)
	s_barrier
	ds_read_b128 v[34:37], v56
	ds_read_b128 v[70:73], v57 offset:256
	s_waitcnt lgkmcnt(0)
	;;#ASMSTART
	v_dot2_f32_f16 v68, v34, v70, v68
	;;#ASMEND
	s_nop 0
	;;#ASMSTART
	v_dot2_f32_f16 v68, v35, v71, v68
	;;#ASMEND
	s_nop 0
	;;#ASMSTART
	v_dot2_f32_f16 v68, v36, v72, v68
	;;#ASMEND
	s_nop 0
	;;#ASMSTART
	v_dot2_f32_f16 v68, v37, v73, v68
	;;#ASMEND
	ds_read_b128 v[34:37], v56 offset:16
	ds_read_b128 v[70:73], v57 offset:272
	s_waitcnt lgkmcnt(0)
	;;#ASMSTART
	v_dot2_f32_f16 v68, v34, v70, v68
	;;#ASMEND
	s_nop 0
	;;#ASMSTART
	v_dot2_f32_f16 v68, v35, v71, v68
	;;#ASMEND
	s_nop 0
	;;#ASMSTART
	v_dot2_f32_f16 v68, v36, v72, v68
	;;#ASMEND
	s_nop 0
	;;#ASMSTART
	v_dot2_f32_f16 v68, v37, v73, v68
	;;#ASMEND
	ds_read_b128 v[34:37], v56 offset:32
	;; [unrolled: 18-line block ×15, first 2 shown]
	ds_read_b128 v[70:73], v57 offset:496
	s_waitcnt lgkmcnt(0)
	;;#ASMSTART
	v_dot2_f32_f16 v68, v34, v70, v68
	;;#ASMEND
	s_nop 0
	;;#ASMSTART
	v_dot2_f32_f16 v68, v35, v71, v68
	;;#ASMEND
	s_nop 0
	;; [unrolled: 4-line block ×3, first 2 shown]
	;;#ASMSTART
	v_dot2_f32_f16 v68, v37, v73, v68
	;;#ASMEND
	s_cbranch_vccnz .LBB52_10
; %bb.9:                                ;   in Loop: Header=BB52_8 Depth=1
	v_add_u32_e32 v10, s24, v22
	v_ashrrev_i32_e32 v11, 31, v10
	v_lshl_add_u64 v[10:11], v[10:11], 1, s[36:37]
	global_load_ushort v10, v[10:11], off
	s_waitcnt vmcnt(0)
	v_cvt_f32_f16_e32 v10, v10
	v_mul_f32_e32 v10, v46, v10
.LBB52_10:                              ;   in Loop: Header=BB52_8 Depth=1
	v_and_b32_e32 v11, 0x60, v66
	v_add_u32_e32 v34, 32, v11
	v_xor_b32_e32 v11, 16, v66
	v_cmp_lt_i32_e32 vcc, v11, v34
	v_max_f32_e32 v36, v67, v67
	s_nop 0
	v_cndmask_b32_e32 v11, v66, v11, vcc
	v_lshlrev_b32_e32 v35, 2, v11
	v_add_f32_e32 v11, v68, v10
	v_add_f32_e32 v10, 0x40051340, v11
	v_max_f32_e32 v10, v36, v10
	ds_bpermute_b32 v35, v35, v10
	v_xor_b32_e32 v36, 8, v66
	v_cmp_lt_i32_e32 vcc, v36, v34
	s_waitcnt lgkmcnt(0)
	v_max_f32_e32 v35, v35, v35
	v_cndmask_b32_e32 v36, v66, v36, vcc
	v_lshlrev_b32_e32 v36, 2, v36
	v_max_f32_e32 v10, v10, v35
	ds_bpermute_b32 v35, v36, v10
	v_xor_b32_e32 v36, 4, v66
	v_cmp_lt_i32_e32 vcc, v36, v34
	s_waitcnt lgkmcnt(0)
	v_max_f32_e32 v35, v35, v35
	v_cndmask_b32_e32 v36, v66, v36, vcc
	v_lshlrev_b32_e32 v36, 2, v36
	;; [unrolled: 8-line block ×3, first 2 shown]
	v_max_f32_e32 v35, v10, v35
	ds_bpermute_b32 v36, v36, v35
	v_xor_b32_e32 v10, 1, v66
	v_cmp_lt_i32_e32 vcc, v10, v34
	s_nop 1
	v_cndmask_b32_e32 v34, v66, v10, vcc
	v_lshlrev_b32_e32 v37, 2, v34
	s_waitcnt lgkmcnt(0)
	v_max_f32_e32 v34, v36, v36
	v_max_f32_e32 v34, v35, v34
	ds_bpermute_b32 v35, v37, v34
	s_and_saveexec_b64 s[8:9], s[6:7]
	s_cbranch_execz .LBB52_12
; %bb.11:                               ;   in Loop: Header=BB52_8 Depth=1
	s_waitcnt lgkmcnt(0)
	v_max_f32_e32 v35, v35, v35
	v_max_f32_e32 v34, v34, v34
	;; [unrolled: 1-line block ×3, first 2 shown]
	ds_write_b32 v23, v34
.LBB52_12:                              ;   in Loop: Header=BB52_8 Depth=1
	s_or_b64 exec, exec, s[8:9]
	s_mul_hi_i32 s9, s24, s2
	s_mul_i32 s8, s24, s2
	s_lshl_b64 s[8:9], s[8:9], 2
	s_add_u32 s8, s18, s8
	s_addc_u32 s9, s19, s9
	s_waitcnt lgkmcnt(0)
	v_lshl_add_u64 v[34:35], s[8:9], 0, v[26:27]
	v_lshl_add_u64 v[38:39], v[34:35], 0, v[6:7]
	;; [unrolled: 1-line block ×3, first 2 shown]
	s_barrier
	v_lshl_add_u64 v[72:73], v[34:35], 0, v[6:7]
	global_load_dwordx4 v[34:37], v[38:39], off
	global_load_dwordx4 v[68:71], v[72:73], off
	v_lshl_add_u64 v[38:39], s[8:9], 0, v[30:31]
	v_lshl_add_u64 v[38:39], v[38:39], 0, v[6:7]
	;; [unrolled: 1-line block ×4, first 2 shown]
	global_load_dwordx4 v[72:75], v[38:39], off
	global_load_dwordx4 v[76:79], v[80:81], off
	ds_read_b32 v38, v58
	v_and_b32_e32 v39, 0x7e, v66
	v_add_u32_e32 v39, 2, v39
	v_cmp_lt_i32_e32 vcc, v10, v39
	v_add_u32_e32 v110, 0x800, v65
	v_add_u32_e32 v111, 0x1000, v65
	v_cndmask_b32_e32 v10, v66, v10, vcc
	v_lshlrev_b32_e32 v10, 2, v10
	s_waitcnt lgkmcnt(0)
	ds_bpermute_b32 v10, v10, v38
	v_max_f32_e32 v38, v38, v38
	v_add_u32_e32 v112, 0x1800, v65
	v_add_u32_e32 v117, 0x2000, v65
	v_add_u32_e32 v118, 0x2800, v65
	s_waitcnt lgkmcnt(0)
	v_max_f32_e32 v10, v10, v10
	v_max_f32_e32 v10, v38, v10
	v_sub_f32_e32 v11, v11, v10
	v_mul_f32_e32 v39, 0x3fb8aa3b, v11
	v_sub_f32_e32 v38, v67, v10
	v_fma_f32 v80, v11, s39, -v39
	v_rndne_f32_e32 v81, v39
	v_mul_f32_e32 v67, 0x3fb8aa3b, v38
	v_fmac_f32_e32 v80, 0x32a5705f, v11
	v_sub_f32_e32 v39, v39, v81
	v_fma_f32 v82, v38, s39, -v67
	v_rndne_f32_e32 v83, v67
	v_add_f32_e32 v39, v39, v80
	v_cvt_i32_f32_e32 v81, v81
	v_fmac_f32_e32 v82, 0x32a5705f, v38
	v_sub_f32_e32 v67, v67, v83
	v_exp_f32_e32 v39, v39
	v_add_f32_e32 v67, v67, v82
	v_cvt_i32_f32_e32 v83, v83
	v_exp_f32_e32 v67, v67
	v_cmp_ngt_f32_e32 vcc, s40, v11
	v_cmp_nlt_f32_e64 s[10:11], s41, v11
	v_ldexp_f32 v11, v39, v81
	v_cndmask_b32_e32 v11, 0, v11, vcc
	v_cmp_ngt_f32_e64 s[8:9], s40, v38
	v_cmp_nlt_f32_e64 s[12:13], s41, v38
	v_ldexp_f32 v38, v67, v83
	v_cndmask_b32_e64 v11, v9, v11, s[10:11]
	v_cndmask_b32_e64 v38, 0, v38, s[8:9]
	v_cvt_f16_f32_e32 v39, v11
	v_cndmask_b32_e64 v67, v9, v38, s[12:13]
	v_cvt_f16_f32_e32 v38, v67
	s_or_b32 s8, s24, 32
	ds_write_b16 v59, v39
	s_mul_hi_i32 s9, s8, s2
	v_mul_u32_u24_e32 v38, 0x10001, v38
	v_pk_mul_f16 v2, v2, v38
	v_pk_mul_f16 v3, v3, v38
	s_mul_i32 s8, s8, s2
	s_lshl_b64 s[8:9], s[8:9], 2
	s_add_u32 s8, s18, s8
	s_addc_u32 s9, s19, s9
	v_add_u32_e32 v119, 0x3000, v65
	v_add_u32_e32 v120, 0x3800, v65
	v_lshl_add_u64 v[92:93], s[8:9], 0, v[28:29]
	v_lshl_add_u64 v[100:101], v[92:93], 0, v[6:7]
	v_fma_f32 v5, v5, v67, v11
	s_waitcnt vmcnt(3)
	ds_write_b128 v60, v[34:37]
	s_waitcnt vmcnt(2)
	ds_write_b128 v61, v[68:71]
	;; [unrolled: 2-line block ×4, first 2 shown]
	s_waitcnt lgkmcnt(0)
	s_barrier
	ds_read2_b64 v[34:37], v65 offset1:32
	ds_read_u16 v39, v64
	ds_read_u16 v72, v64 offset:4
	ds_read_u16 v73, v64 offset:8
	;; [unrolled: 1-line block ×15, first 2 shown]
	ds_read2_b64 v[68:71], v65 offset0:128 offset1:160
	s_waitcnt lgkmcnt(14)
	v_mul_u32_u24_e32 v39, 0x10001, v39
	v_pk_mul_f16 v34, v34, v39
	v_pk_mul_f16 v35, v35, v39
	v_pk_fma_f16 v0, v0, v38, v34
	v_pk_fma_f16 v34, v1, v38, v35
	;; [unrolled: 1-line block ×4, first 2 shown]
	v_mul_u32_u24_e32 v37, 0x10001, v72
	s_waitcnt lgkmcnt(0)
	v_pk_fma_f16 v38, v68, v37, v0
	ds_read2_b64 v[0:3], v110 offset1:32
	v_pk_fma_f16 v39, v69, v37, v34
	v_pk_fma_f16 v68, v70, v37, v35
	;; [unrolled: 1-line block ×3, first 2 shown]
	ds_read2_b64 v[34:37], v110 offset0:128 offset1:160
	v_mul_u32_u24_e32 v70, 0x10001, v73
	s_waitcnt lgkmcnt(1)
	v_pk_fma_f16 v0, v0, v70, v38
	v_pk_fma_f16 v38, v1, v70, v39
	;; [unrolled: 1-line block ×4, first 2 shown]
	v_mul_u32_u24_e32 v69, 0x10001, v74
	s_waitcnt lgkmcnt(0)
	v_pk_fma_f16 v34, v34, v69, v0
	ds_read2_b64 v[0:3], v111 offset1:32
	v_pk_fma_f16 v38, v35, v69, v38
	v_pk_fma_f16 v39, v36, v69, v39
	;; [unrolled: 1-line block ×3, first 2 shown]
	v_mul_u32_u24_e32 v69, 0x10001, v75
	s_waitcnt lgkmcnt(0)
	v_pk_fma_f16 v0, v0, v69, v34
	ds_read2_b64 v[34:37], v111 offset0:128 offset1:160
	v_pk_fma_f16 v38, v1, v69, v38
	v_pk_fma_f16 v39, v2, v69, v39
	;; [unrolled: 1-line block ×3, first 2 shown]
	v_mul_u32_u24_e32 v69, 0x10001, v76
	s_waitcnt lgkmcnt(0)
	v_pk_fma_f16 v34, v34, v69, v0
	ds_read2_b64 v[0:3], v112 offset1:32
	v_pk_fma_f16 v38, v35, v69, v38
	v_pk_fma_f16 v39, v36, v69, v39
	;; [unrolled: 1-line block ×3, first 2 shown]
	v_mul_u32_u24_e32 v69, 0x10001, v77
	s_waitcnt lgkmcnt(0)
	v_pk_fma_f16 v0, v0, v69, v34
	ds_read2_b64 v[34:37], v112 offset0:128 offset1:160
	v_pk_fma_f16 v1, v1, v69, v38
	v_pk_fma_f16 v2, v2, v69, v39
	;; [unrolled: 1-line block ×3, first 2 shown]
	v_mul_u32_u24_e32 v38, 0x10001, v78
	s_waitcnt lgkmcnt(0)
	v_pk_fma_f16 v113, v34, v38, v0
	v_pk_fma_f16 v114, v35, v38, v1
	;; [unrolled: 1-line block ×4, first 2 shown]
	ds_read2_b64 v[0:3], v117 offset1:32
	ds_read2_b64 v[34:37], v117 offset0:128 offset1:160
	v_lshl_add_u64 v[38:39], s[8:9], 0, v[26:27]
	v_lshl_add_u64 v[38:39], v[38:39], 0, v[6:7]
	ds_read2_b64 v[68:71], v118 offset1:32
	ds_read2_b64 v[72:75], v118 offset0:128 offset1:160
	ds_read2_b64 v[76:79], v119 offset1:32
	ds_read2_b64 v[80:83], v119 offset0:128 offset1:160
	;; [unrolled: 2-line block ×3, first 2 shown]
	s_waitcnt lgkmcnt(0)
	s_barrier
	global_load_dwordx4 v[92:95], v[38:39], off
	global_load_dwordx4 v[96:99], v[100:101], off
	v_mul_u32_u24_e32 v38, 0x10001, v102
	v_pk_fma_f16 v102, v0, v38, v113
	v_pk_fma_f16 v113, v1, v38, v114
	v_lshl_add_u64 v[0:1], s[8:9], 0, v[30:31]
	v_pk_fma_f16 v2, v2, v38, v115
	v_pk_fma_f16 v3, v3, v38, v116
	v_lshl_add_u64 v[38:39], v[0:1], 0, v[6:7]
	v_lshl_add_u64 v[0:1], s[8:9], 0, v[32:33]
	;; [unrolled: 1-line block ×3, first 2 shown]
	v_mul_u32_u24_e32 v0, 0x10001, v103
	v_pk_fma_f16 v102, v34, v0, v102
	v_pk_fma_f16 v103, v35, v0, v113
	;; [unrolled: 1-line block ×4, first 2 shown]
	global_load_dwordx4 v[0:3], v[38:39], off
	global_load_dwordx4 v[34:37], v[100:101], off
	v_mul_u32_u24_e32 v11, 0x10001, v104
	v_pk_fma_f16 v38, v68, v11, v102
	v_pk_fma_f16 v39, v69, v11, v103
	v_pk_fma_f16 v67, v70, v11, v113
	v_pk_fma_f16 v11, v71, v11, v114
	v_mul_u32_u24_e32 v68, 0x10001, v105
	v_pk_fma_f16 v38, v72, v68, v38
	v_pk_fma_f16 v39, v73, v68, v39
	v_pk_fma_f16 v67, v74, v68, v67
	v_pk_fma_f16 v11, v75, v68, v11
	v_mul_u32_u24_e32 v68, 0x10001, v106
	v_pk_fma_f16 v38, v76, v68, v38
	v_pk_fma_f16 v39, v77, v68, v39
	v_pk_fma_f16 v67, v78, v68, v67
	v_pk_fma_f16 v11, v79, v68, v11
	v_mul_u32_u24_e32 v68, 0x10001, v107
	v_pk_fma_f16 v38, v80, v68, v38
	v_pk_fma_f16 v39, v81, v68, v39
	v_pk_fma_f16 v67, v82, v68, v67
	v_pk_fma_f16 v11, v83, v68, v11
	v_mul_u32_u24_e32 v68, 0x10001, v108
	v_pk_fma_f16 v38, v84, v68, v38
	v_pk_fma_f16 v39, v85, v68, v39
	v_pk_fma_f16 v67, v86, v68, v67
	v_pk_fma_f16 v11, v87, v68, v11
	v_mul_u32_u24_e32 v68, 0x10001, v109
	v_pk_fma_f16 v38, v88, v68, v38
	v_pk_fma_f16 v39, v89, v68, v39
	v_pk_fma_f16 v67, v90, v68, v67
	v_pk_fma_f16 v11, v91, v68, v11
	s_waitcnt vmcnt(3)
	ds_write_b128 v60, v[92:95]
	s_waitcnt vmcnt(2)
	ds_write_b128 v61, v[96:99]
	;; [unrolled: 2-line block ×4, first 2 shown]
	s_waitcnt lgkmcnt(0)
	s_barrier
	ds_read2_b64 v[0:3], v65 offset1:32
	ds_read_u16 v34, v64 offset:64
	ds_read_u16 v68, v64 offset:68
	;; [unrolled: 1-line block ×16, first 2 shown]
	s_waitcnt lgkmcnt(14)
	v_mul_u32_u24_e32 v83, 0x10001, v34
	ds_read2_b64 v[34:37], v65 offset0:128 offset1:160
	v_pk_fma_f16 v0, v0, v83, v38
	v_pk_fma_f16 v38, v1, v83, v39
	;; [unrolled: 1-line block ×3, first 2 shown]
	v_mul_u32_u24_e32 v67, 0x10001, v68
	v_pk_fma_f16 v11, v3, v83, v11
	s_waitcnt lgkmcnt(0)
	v_pk_fma_f16 v34, v34, v67, v0
	ds_read2_b64 v[0:3], v110 offset1:32
	v_pk_fma_f16 v38, v35, v67, v38
	v_pk_fma_f16 v39, v36, v67, v39
	v_pk_fma_f16 v11, v37, v67, v11
	v_mul_u32_u24_e32 v67, 0x10001, v69
	s_waitcnt lgkmcnt(0)
	v_pk_fma_f16 v0, v0, v67, v34
	ds_read2_b64 v[34:37], v110 offset0:128 offset1:160
	v_pk_fma_f16 v38, v1, v67, v38
	v_pk_fma_f16 v39, v2, v67, v39
	v_pk_fma_f16 v11, v3, v67, v11
	v_mul_u32_u24_e32 v67, 0x10001, v70
	s_waitcnt lgkmcnt(0)
	v_pk_fma_f16 v34, v34, v67, v0
	ds_read2_b64 v[0:3], v111 offset1:32
	v_pk_fma_f16 v38, v35, v67, v38
	v_pk_fma_f16 v39, v36, v67, v39
	v_pk_fma_f16 v11, v37, v67, v11
	v_mul_u32_u24_e32 v67, 0x10001, v71
	s_waitcnt lgkmcnt(0)
	v_pk_fma_f16 v0, v0, v67, v34
	ds_read2_b64 v[34:37], v111 offset0:128 offset1:160
	v_pk_fma_f16 v38, v1, v67, v38
	v_pk_fma_f16 v39, v2, v67, v39
	v_pk_fma_f16 v11, v3, v67, v11
	v_mul_u32_u24_e32 v67, 0x10001, v72
	;; [unrolled: 14-line block ×6, first 2 shown]
	s_waitcnt lgkmcnt(0)
	v_pk_fma_f16 v34, v34, v67, v0
	ds_read2_b64 v[0:3], v120 offset1:32
	v_pk_fma_f16 v35, v35, v67, v38
	v_pk_fma_f16 v36, v36, v67, v39
	;; [unrolled: 1-line block ×3, first 2 shown]
	v_mul_u32_u24_e32 v37, 0x10001, v81
	s_waitcnt lgkmcnt(0)
	v_pk_fma_f16 v34, v0, v37, v34
	v_pk_fma_f16 v35, v1, v37, v35
	v_pk_fma_f16 v36, v2, v37, v36
	v_pk_fma_f16 v11, v3, v37, v11
	ds_read2_b64 v[0:3], v120 offset0:128 offset1:160
	s_waitcnt lgkmcnt(0)
	s_barrier
	s_load_dword s8, s[14:15], 0x4
	v_mul_u32_u24_e32 v37, 0x10001, v82
	v_pk_fma_f16 v0, v0, v37, v34
	v_pk_fma_f16 v1, v1, v37, v35
	;; [unrolled: 1-line block ×3, first 2 shown]
	s_waitcnt lgkmcnt(0)
	s_lshl_b32 s8, s8, 6
	s_add_i32 s24, s8, s24
	s_cmp_lt_i32 s24, s31
	v_pk_fma_f16 v3, v3, v37, v11
	s_cbranch_scc0 .LBB52_15
; %bb.13:                               ;   in Loop: Header=BB52_8 Depth=1
	v_mov_b32_e32 v67, v10
	s_branch .LBB52_8
.LBB52_14:
	v_mov_b32_e32 v3, 0
	v_mov_b32_e32 v10, 0xfeffffff
	;; [unrolled: 1-line block ×5, first 2 shown]
.LBB52_15:
	s_cmp_gt_i32 s38, s24
	s_cbranch_scc1 .LBB52_18
; %bb.16:
	v_mbcnt_hi_u32_b32 v14, -1, v50
	v_and_b32_e32 v7, 0x60, v14
	v_add_u32_e32 v15, 32, v7
	v_xor_b32_e32 v16, 16, v14
	v_xor_b32_e32 v17, 8, v14
	;; [unrolled: 1-line block ×5, first 2 shown]
	v_and_b32_e32 v7, 1, v43
	s_cbranch_execz .LBB52_19
; %bb.17:
	v_mov_b32_e32 v44, v7
	s_branch .LBB52_26
.LBB52_18:
                                        ; implicit-def: $vgpr14
                                        ; implicit-def: $vgpr15
                                        ; implicit-def: $vgpr16
                                        ; implicit-def: $vgpr17
                                        ; implicit-def: $vgpr18
                                        ; implicit-def: $vgpr19
                                        ; implicit-def: $vgpr20
                                        ; implicit-def: $vgpr7
.LBB52_19:
	s_mul_hi_i32 s7, s24, s28
	s_mul_i32 s6, s24, s28
	s_sub_i32 s10, s38, s24
	s_lshl_b64 s[6:7], s[6:7], 2
	v_lshl_add_u32 v7, v43, 1, v13
	s_add_u32 s6, s29, s6
	v_mul_lo_u32 v16, s28, v7
	s_mov_b32 s12, 0
	s_addc_u32 s7, s30, s7
	v_ashrrev_i32_e32 v17, 31, v16
	s_mov_b32 s14, s12
	s_mov_b64 s[4:5], src_private_base
	v_lshlrev_b32_e32 v12, 2, v12
	v_mov_b32_e32 v13, 0
	s_mov_b32 s13, s12
	v_mov_b32_e32 v26, s14
	v_lshl_add_u64 v[14:15], v[16:17], 2, s[6:7]
	v_mov_b32_e32 v25, s13
	v_mov_b32_e32 v24, s12
	v_lshl_add_u64 v[14:15], v[14:15], 0, v[12:13]
	v_mov_b32_e32 v27, s5
	v_cmp_gt_i32_e32 vcc, s10, v7
	v_mov_b32_e32 v36, 0
	scratch_store_dword off, v13, off
	scratch_store_dwordx3 off, v[24:26], off offset:4
	v_cndmask_b32_e32 v19, v27, v15, vcc
	v_cndmask_b32_e32 v18, v36, v14, vcc
	flat_load_dwordx4 v[18:21], v[18:19]
	s_lshl_b32 s11, s28, 4
	v_add_u32_e32 v28, s11, v16
	v_ashrrev_i32_e32 v29, 31, v28
	s_movk_i32 s4, 0x110
	v_add_u32_e32 v9, 16, v7
	v_lshl_add_u64 v[16:17], v[28:29], 2, s[6:7]
	v_mad_u32_u24 v37, v7, s4, v12
	v_lshl_add_u64 v[16:17], v[16:17], 0, v[12:13]
	v_cmp_gt_i32_e64 s[8:9], s10, v9
	scratch_store_dword off, v13, off
	scratch_store_dwordx3 off, v[24:26], off offset:4
	v_cndmask_b32_e64 v23, v27, v17, s[8:9]
	v_cndmask_b32_e64 v22, v36, v16, s[8:9]
	v_add_u32_e32 v32, s11, v28
	v_ashrrev_i32_e32 v33, 31, v32
	v_add_u32_e32 v9, 32, v7
	v_cmp_gt_i32_e64 s[4:5], s10, v9
	v_add_u32_e32 v7, 48, v7
	v_and_b32_e32 v11, 0xff80, v51
	s_mov_b64 s[12:13], 0x100
	v_lshl_add_u64 v[14:15], v[14:15], 0, s[12:13]
	v_cndmask_b32_e32 v15, v27, v15, vcc
	v_cndmask_b32_e32 v14, v36, v14, vcc
	s_waitcnt vmcnt(0) lgkmcnt(0)
	ds_write_b128 v37, v[18:21]
	flat_load_dwordx4 v[20:23], v[22:23]
	v_lshl_add_u64 v[18:19], v[32:33], 2, s[6:7]
	v_lshl_add_u64 v[18:19], v[18:19], 0, v[12:13]
	v_cndmask_b32_e64 v29, v27, v19, s[4:5]
	v_cndmask_b32_e64 v28, v36, v18, s[4:5]
	scratch_store_dword off, v13, off
	scratch_store_dwordx3 off, v[24:26], off offset:4
	v_lshl_add_u64 v[18:19], v[18:19], 0, s[12:13]
	v_cndmask_b32_e64 v19, v27, v19, s[4:5]
	v_cndmask_b32_e64 v18, v36, v18, s[4:5]
	s_waitcnt vmcnt(0) lgkmcnt(0)
	ds_write_b128 v37, v[20:23] offset:4352
	flat_load_dwordx4 v[28:31], v[28:29]
	v_add_u32_e32 v20, s11, v32
	v_ashrrev_i32_e32 v21, 31, v20
	v_lshl_add_u64 v[20:21], v[20:21], 2, s[6:7]
	v_lshl_add_u64 v[20:21], v[20:21], 0, v[12:13]
	v_cmp_gt_i32_e64 s[6:7], s10, v7
	scratch_store_dword off, v13, off
	scratch_store_dwordx3 off, v[24:26], off offset:4
	v_cndmask_b32_e64 v23, v27, v21, s[6:7]
	v_cndmask_b32_e64 v22, v36, v20, s[6:7]
	v_and_b32_e32 v7, 32, v48
	v_add_u32_e32 v9, v7, v41
	v_lshlrev_b32_e32 v12, 2, v11
	v_mov_b32_e32 v11, v13
	v_cmp_gt_i32_e32 vcc, s10, v9
	s_waitcnt vmcnt(0) lgkmcnt(0)
	ds_write_b128 v37, v[28:31] offset:8704
	flat_load_dwordx4 v[28:31], v[22:23]
	v_mul_u32_u24_e32 v22, 0x110, v9
	s_waitcnt vmcnt(0) lgkmcnt(0)
	ds_write_b128 v37, v[28:31] offset:13056
	s_waitcnt lgkmcnt(0)
	s_barrier
	ds_read_b128 v[28:31], v22
	ds_read_b128 v[32:35], v12 offset:17408
	s_waitcnt lgkmcnt(0)
	;;#ASMSTART
	v_dot2_f32_f16 v11, v28, v32, v11
	;;#ASMEND
	s_nop 0
	;;#ASMSTART
	v_dot2_f32_f16 v11, v29, v33, v11
	;;#ASMEND
	s_nop 0
	;;#ASMSTART
	v_dot2_f32_f16 v11, v30, v34, v11
	;;#ASMEND
	s_nop 0
	;;#ASMSTART
	v_dot2_f32_f16 v11, v31, v35, v11
	;;#ASMEND
	ds_read_b128 v[28:31], v22 offset:16
	ds_read_b128 v[32:35], v12 offset:17424
	s_waitcnt lgkmcnt(0)
	;;#ASMSTART
	v_dot2_f32_f16 v11, v28, v32, v11
	;;#ASMEND
	s_nop 0
	;;#ASMSTART
	v_dot2_f32_f16 v11, v29, v33, v11
	;;#ASMEND
	s_nop 0
	;;#ASMSTART
	v_dot2_f32_f16 v11, v30, v34, v11
	;;#ASMEND
	s_nop 0
	;;#ASMSTART
	v_dot2_f32_f16 v11, v31, v35, v11
	;;#ASMEND
	ds_read_b128 v[28:31], v22 offset:32
	;; [unrolled: 18-line block ×15, first 2 shown]
	ds_read_b128 v[32:35], v12 offset:17648
	s_waitcnt lgkmcnt(0)
	;;#ASMSTART
	v_dot2_f32_f16 v11, v28, v32, v11
	;;#ASMEND
	s_nop 0
	;;#ASMSTART
	v_dot2_f32_f16 v11, v29, v33, v11
	;;#ASMEND
	s_nop 0
	;; [unrolled: 4-line block ×3, first 2 shown]
	;;#ASMSTART
	v_dot2_f32_f16 v11, v31, v35, v11
	;;#ASMEND
	s_barrier
	scratch_store_dword off, v13, off
	scratch_store_dwordx3 off, v[24:26], off offset:4
	flat_load_dwordx4 v[28:31], v[14:15]
	v_lshl_add_u64 v[14:15], v[16:17], 0, s[12:13]
	v_cndmask_b32_e64 v15, v27, v15, s[8:9]
	v_cndmask_b32_e64 v14, v36, v14, s[8:9]
	scratch_store_dword off, v13, off
	scratch_store_dwordx3 off, v[24:26], off offset:4
	s_waitcnt vmcnt(0) lgkmcnt(0)
	ds_write_b128 v37, v[28:31]
	flat_load_dwordx4 v[14:17], v[14:15]
	s_nop 0
	scratch_store_dword off, v13, off
	scratch_store_dwordx3 off, v[24:26], off offset:4
	s_waitcnt vmcnt(0) lgkmcnt(0)
	ds_write_b128 v37, v[14:17] offset:4352
	flat_load_dwordx4 v[14:17], v[18:19]
	v_lshl_add_u64 v[18:19], v[20:21], 0, s[12:13]
	v_cndmask_b32_e64 v19, v27, v19, s[6:7]
	v_cndmask_b32_e64 v18, v36, v18, s[6:7]
	scratch_store_dword off, v13, off
	scratch_store_dwordx3 off, v[24:26], off offset:4
	s_waitcnt vmcnt(0) lgkmcnt(0)
	ds_write_b128 v37, v[14:17] offset:8704
	flat_load_dwordx4 v[14:17], v[18:19]
	s_waitcnt vmcnt(0) lgkmcnt(0)
	ds_write_b128 v37, v[14:17] offset:13056
	s_waitcnt lgkmcnt(0)
	s_barrier
	ds_read_b128 v[14:17], v22
	ds_read_b128 v[18:21], v12 offset:17664
	s_waitcnt lgkmcnt(0)
	;;#ASMSTART
	v_dot2_f32_f16 v11, v14, v18, v11
	;;#ASMEND
	s_nop 0
	;;#ASMSTART
	v_dot2_f32_f16 v11, v15, v19, v11
	;;#ASMEND
	s_nop 0
	;;#ASMSTART
	v_dot2_f32_f16 v11, v16, v20, v11
	;;#ASMEND
	s_nop 0
	;;#ASMSTART
	v_dot2_f32_f16 v11, v17, v21, v11
	;;#ASMEND
	ds_read_b128 v[14:17], v22 offset:16
	ds_read_b128 v[18:21], v12 offset:17680
	s_waitcnt lgkmcnt(0)
	;;#ASMSTART
	v_dot2_f32_f16 v11, v14, v18, v11
	;;#ASMEND
	s_nop 0
	;;#ASMSTART
	v_dot2_f32_f16 v11, v15, v19, v11
	;;#ASMEND
	s_nop 0
	;;#ASMSTART
	v_dot2_f32_f16 v11, v16, v20, v11
	;;#ASMEND
	s_nop 0
	;;#ASMSTART
	v_dot2_f32_f16 v11, v17, v21, v11
	;;#ASMEND
	ds_read_b128 v[14:17], v22 offset:32
	;; [unrolled: 18-line block ×15, first 2 shown]
	ds_read_b128 v[18:21], v12 offset:17904
	s_waitcnt lgkmcnt(0)
	;;#ASMSTART
	v_dot2_f32_f16 v11, v14, v18, v11
	;;#ASMEND
	s_nop 0
	;;#ASMSTART
	v_dot2_f32_f16 v11, v15, v19, v11
	;;#ASMEND
	v_mov_b32_e32 v12, v10
	;;#ASMSTART
	v_dot2_f32_f16 v11, v16, v20, v11
	;;#ASMEND
	s_nop 0
	;;#ASMSTART
	v_dot2_f32_f16 v11, v17, v21, v11
	;;#ASMEND
	s_and_saveexec_b64 s[4:5], vcc
	s_cbranch_execz .LBB52_23
; %bb.20:
	s_cmp_eq_u64 s[36:37], 0
	s_cbranch_scc1 .LBB52_22
; %bb.21:
	v_mul_lo_u32 v12, v47, s25
	v_add3_u32 v12, v12, v9, s24
	v_ashrrev_i32_e32 v13, 31, v12
	v_lshl_add_u64 v[12:13], v[12:13], 1, s[36:37]
	global_load_ushort v12, v[12:13], off
	s_waitcnt vmcnt(0)
	v_cvt_f32_f16_e32 v12, v12
	v_mul_f32_e32 v13, v46, v12
.LBB52_22:
	v_add_f32_e32 v11, v11, v13
	v_add_f32_e32 v12, 0x40051340, v11
	v_max_f32_e32 v13, v10, v10
	v_max_f32_e32 v12, v13, v12
.LBB52_23:
	s_or_b64 exec, exec, s[4:5]
	v_mbcnt_hi_u32_b32 v14, -1, v50
	v_and_b32_e32 v13, 0x60, v14
	v_add_u32_e32 v15, 32, v13
	v_xor_b32_e32 v16, 16, v14
	v_cmp_lt_i32_e32 vcc, v16, v15
	v_xor_b32_e32 v17, 8, v14
	s_nop 0
	v_cndmask_b32_e32 v13, v14, v16, vcc
	v_lshlrev_b32_e32 v13, 2, v13
	ds_bpermute_b32 v13, v13, v12
	v_cmp_lt_i32_e32 vcc, v17, v15
	v_max_f32_e32 v12, v12, v12
	s_waitcnt lgkmcnt(0)
	v_max_f32_e32 v13, v13, v13
	v_cndmask_b32_e32 v18, v14, v17, vcc
	v_lshlrev_b32_e32 v18, 2, v18
	v_max_f32_e32 v12, v12, v13
	ds_bpermute_b32 v13, v18, v12
	v_xor_b32_e32 v18, 4, v14
	v_cmp_lt_i32_e32 vcc, v18, v15
	s_waitcnt lgkmcnt(0)
	v_max_f32_e32 v13, v13, v13
	v_cndmask_b32_e32 v19, v14, v18, vcc
	v_lshlrev_b32_e32 v19, 2, v19
	v_max_f32_e32 v12, v12, v13
	ds_bpermute_b32 v13, v19, v12
	v_xor_b32_e32 v19, 2, v14
	v_cmp_lt_i32_e32 vcc, v19, v15
	;; [unrolled: 8-line block ×3, first 2 shown]
	s_waitcnt lgkmcnt(0)
	v_max_f32_e32 v13, v13, v13
	v_cndmask_b32_e32 v21, v14, v20, vcc
	v_lshlrev_b32_e32 v21, 2, v21
	v_max_f32_e32 v12, v12, v13
	ds_bpermute_b32 v13, v21, v12
	v_cmp_eq_u32_e32 vcc, 0, v41
	s_and_saveexec_b64 s[4:5], vcc
	s_cbranch_execz .LBB52_25
; %bb.24:
	s_waitcnt lgkmcnt(0)
	v_max_f32_e32 v13, v13, v13
	v_max_f32_e32 v12, v12, v12
	v_lshlrev_b32_e32 v21, 2, v43
	v_max_f32_e32 v12, v12, v13
	ds_write_b32 v21, v12 offset:20000
.LBB52_25:
	s_or_b64 exec, exec, s[4:5]
	s_movk_i32 s4, 0x3fe
	v_and_or_b32 v12, v43, s4, v49
	v_lshlrev_b32_e32 v12, 2, v12
	s_waitcnt lgkmcnt(0)
	s_barrier
	ds_read_b32 v12, v12 offset:20000
	v_and_b32_e32 v13, 0x7e, v14
	v_add_u32_e32 v13, 2, v13
	v_cmp_lt_i32_e32 vcc, v20, v13
	s_mov_b32 s6, 0x3fb8aa3b
	s_mov_b32 s7, 0xc2ce8ed0
	v_cndmask_b32_e32 v13, v14, v20, vcc
	v_lshlrev_b32_e32 v13, 2, v13
	s_waitcnt lgkmcnt(0)
	ds_bpermute_b32 v13, v13, v12
	v_max_f32_e32 v12, v12, v12
	v_cmp_gt_u32_e32 vcc, s10, v9
	s_mov_b32 s8, 0x42b17218
	s_mov_b32 s12, 0
	s_waitcnt lgkmcnt(0)
	v_max_f32_e32 v13, v13, v13
	v_max_f32_e32 v21, v12, v13
	v_sub_f32_e32 v9, v11, v21
	v_mul_f32_e32 v11, 0x3fb8aa3b, v9
	v_fma_f32 v12, v9, s6, -v11
	v_rndne_f32_e32 v13, v11
	v_fmac_f32_e32 v12, 0x32a5705f, v9
	v_sub_f32_e32 v11, v11, v13
	v_add_f32_e32 v11, v11, v12
	v_exp_f32_e32 v11, v11
	v_cvt_i32_f32_e32 v12, v13
	v_mov_b32_e32 v13, 0x4c00
	v_sub_f32_e32 v10, v10, v21
	v_cmp_ngt_f32_e64 s[4:5], s7, v9
	v_ldexp_f32 v11, v11, v12
	v_and_b32_e32 v12, 0x7fc0, v48
	v_lshl_add_u32 v12, v12, 1, v13
	v_mul_f32_e32 v13, 0x3fb8aa3b, v10
	v_fma_f32 v22, v10, s6, -v13
	v_rndne_f32_e32 v23, v13
	v_fmac_f32_e32 v22, 0x32a5705f, v10
	v_sub_f32_e32 v13, v13, v23
	v_add_f32_e32 v13, v13, v22
	v_exp_f32_e32 v13, v13
	v_cvt_i32_f32_e32 v22, v23
	v_cndmask_b32_e64 v11, 0, v11, s[4:5]
	v_cmp_nlt_f32_e64 s[4:5], s8, v9
	v_mov_b32_e32 v9, 0x7f800000
	v_ldexp_f32 v13, v13, v22
	v_cndmask_b32_e64 v11, v9, v11, s[4:5]
	v_cndmask_b32_e32 v11, 0, v11, vcc
	v_cmp_ngt_f32_e32 vcc, s7, v10
	s_mov_b64 s[4:5], src_private_base
	s_mul_hi_i32 s7, s24, s2
	v_cndmask_b32_e32 v13, 0, v13, vcc
	v_cmp_nlt_f32_e32 vcc, s8, v10
	s_mul_i32 s6, s24, s2
	s_lshl_b32 s4, s2, 3
	v_cndmask_b32_e32 v9, v9, v13, vcc
	v_fma_f32 v5, v5, v9, v11
	v_cvt_f16_f32_e32 v9, v9
	s_lshl_b64 s[6:7], s[6:7], 2
	v_lshl_or_b32 v7, v7, 1, v12
	s_add_u32 s6, s18, s6
	v_mul_u32_u24_e32 v32, 0x10001, v9
	v_pk_mul_f16 v38, v2, v32
	v_cvt_f16_f32_e32 v2, v11
	v_ashrrev_i32_e32 v9, 31, v8
	v_pk_mul_f16 v39, v3, v32
	v_lshl_add_u32 v3, v41, 1, v7
	v_lshl_or_b32 v22, v44, 1, v12
	s_addc_u32 s7, s19, s7
	s_mov_b32 s14, s12
	v_lshlrev_b64 v[12:13], 2, v[8:9]
	ds_write_b16 v3, v2
	v_add_u32_e32 v2, s4, v8
	v_mov_b32_e32 v7, 0
	s_mov_b32 s13, s12
	v_mov_b32_e32 v48, s14
	v_lshl_add_u64 v[8:9], s[6:7], 0, v[12:13]
	v_mov_b32_e32 v47, s13
	v_mov_b32_e32 v46, s12
	v_cmp_gt_i32_e32 vcc, s10, v43
	v_lshl_add_u64 v[8:9], v[8:9], 0, v[6:7]
	v_mov_b32_e32 v33, s5
	v_mov_b32_e32 v35, 0
	scratch_store_dword off, v7, off
	scratch_store_dwordx3 off, v[46:48], off offset:4
	v_cndmask_b32_e32 v9, v33, v9, vcc
	v_cndmask_b32_e32 v8, v35, v8, vcc
	flat_load_dwordx4 v[8:11], v[8:9]
	v_ashrrev_i32_e32 v3, 31, v2
	v_lshl_add_u32 v24, v43, 9, v6
	v_add_u32_e32 v26, s4, v2
	v_lshlrev_b64 v[2:3], 2, v[2:3]
	v_add_u32_e32 v37, 8, v43
	v_cmp_gt_i32_e32 vcc, s10, v37
	v_lshl_add_u32 v34, v37, 9, v6
	v_ashrrev_i32_e32 v27, 31, v26
	v_add_u32_e32 v36, 16, v43
	v_add_u32_e32 v30, s4, v26
	v_ashrrev_i32_e32 v31, 31, v30
	v_add_u32_e32 v29, 24, v43
	v_lshl_add_u32 v28, v36, 9, v6
	v_lshl_add_u32 v23, v29, 9, v6
	;; [unrolled: 1-line block ×3, first 2 shown]
	s_or_b32 s4, s24, 32
	s_mul_hi_i32 s5, s4, s2
	s_mul_i32 s4, s4, s2
	s_lshl_b64 s[4:5], s[4:5], 2
	s_add_u32 s4, s18, s4
	s_addc_u32 s5, s19, s5
	s_sub_i32 s2, s10, 32
	v_lshl_add_u64 v[12:13], s[4:5], 0, v[12:13]
	v_lshl_add_u64 v[12:13], v[12:13], 0, v[6:7]
	s_waitcnt vmcnt(0) lgkmcnt(0)
	ds_write_b128 v24, v[8:11]
	v_lshl_add_u64 v[8:9], s[6:7], 0, v[2:3]
	v_lshl_add_u64 v[8:9], v[8:9], 0, v[6:7]
	scratch_store_dword off, v7, off
	scratch_store_dwordx3 off, v[46:48], off offset:4
	v_cndmask_b32_e32 v9, v33, v9, vcc
	v_cndmask_b32_e32 v8, v35, v8, vcc
	flat_load_dwordx4 v[8:11], v[8:9]
	v_cmp_gt_i32_e32 vcc, s10, v36
	v_lshl_add_u64 v[2:3], s[4:5], 0, v[2:3]
	v_lshl_add_u64 v[2:3], v[2:3], 0, v[6:7]
	s_waitcnt vmcnt(0) lgkmcnt(0)
	ds_write_b128 v34, v[8:11]
	v_lshlrev_b64 v[10:11], 2, v[26:27]
	v_lshl_add_u64 v[8:9], s[6:7], 0, v[10:11]
	v_lshl_add_u64 v[8:9], v[8:9], 0, v[6:7]
	scratch_store_dword off, v7, off
	scratch_store_dwordx3 off, v[46:48], off offset:4
	v_cndmask_b32_e32 v9, v33, v9, vcc
	v_cndmask_b32_e32 v8, v35, v8, vcc
	flat_load_dwordx4 v[50:53], v[8:9]
	v_lshlrev_b64 v[8:9], 2, v[30:31]
	v_lshl_add_u64 v[26:27], s[6:7], 0, v[8:9]
	v_cmp_gt_i32_e32 vcc, s10, v29
	v_lshl_add_u64 v[26:27], v[26:27], 0, v[6:7]
	s_waitcnt vmcnt(0) lgkmcnt(0)
	ds_write_b128 v28, v[50:53]
	scratch_store_dword off, v7, off
	scratch_store_dwordx3 off, v[46:48], off offset:4
	v_cndmask_b32_e32 v27, v33, v27, vcc
	v_cndmask_b32_e32 v26, v35, v26, vcc
	flat_load_dwordx4 v[50:53], v[26:27]
	v_cmp_gt_i32_e32 vcc, s2, v43
	s_waitcnt vmcnt(0) lgkmcnt(0)
	ds_write_b128 v23, v[50:53]
	s_waitcnt lgkmcnt(0)
	s_barrier
	ds_read2_b64 v[50:53], v25 offset1:32
	ds_read_u16 v26, v22
	ds_read_u16 v27, v22 offset:4
	ds_read_u16 v30, v22 offset:8
	ds_read_u16 v31, v22 offset:12
	ds_read_u16 v45, v22 offset:16
	ds_read_u16 v49, v22 offset:20
	ds_read_u16 v54, v22 offset:24
	ds_read_u16 v55, v22 offset:28
	ds_read_u16 v56, v22 offset:32
	ds_read_u16 v57, v22 offset:36
	ds_read_u16 v58, v22 offset:40
	ds_read_u16 v59, v22 offset:44
	ds_read_u16 v60, v22 offset:48
	ds_read_u16 v61, v22 offset:52
	ds_read_u16 v62, v22 offset:56
	ds_read_u16 v63, v22 offset:60
	s_waitcnt lgkmcnt(14)
	v_mul_u32_u24_e32 v26, 0x10001, v26
	v_pk_mul_f16 v50, v50, v26
	v_mul_u32_u24_e32 v27, 0x10001, v27
	v_pk_fma_f16 v0, v0, v32, v50
	v_pk_mul_f16 v50, v51, v26
	v_cndmask_b32_e32 v13, v33, v13, vcc
	v_pk_fma_f16 v1, v1, v32, v50
	v_pk_fma_f16 v32, v52, v26, v38
	;; [unrolled: 1-line block ×3, first 2 shown]
	ds_read2_b64 v[50:53], v25 offset0:128 offset1:160
	s_waitcnt lgkmcnt(8)
	v_mul_u32_u24_e32 v39, 0x10001, v56
	v_cndmask_b32_e32 v12, v35, v12, vcc
	v_cmp_gt_i32_e32 vcc, s2, v37
	s_waitcnt lgkmcnt(0)
	v_pk_fma_f16 v38, v50, v27, v0
	v_add_u32_e32 v0, 0x800, v25
	v_pk_fma_f16 v1, v51, v27, v1
	v_pk_fma_f16 v32, v52, v27, v32
	;; [unrolled: 1-line block ×3, first 2 shown]
	ds_read2_b64 v[50:53], v0 offset1:32
	v_mul_u32_u24_e32 v27, 0x10001, v30
	v_cndmask_b32_e32 v3, v33, v3, vcc
	v_cndmask_b32_e32 v2, v35, v2, vcc
	v_cmp_gt_i32_e32 vcc, s2, v36
	s_waitcnt lgkmcnt(0)
	v_pk_fma_f16 v30, v50, v27, v38
	v_pk_fma_f16 v1, v51, v27, v1
	;; [unrolled: 1-line block ×4, first 2 shown]
	ds_read2_b64 v[50:53], v0 offset0:128 offset1:160
	v_mul_u32_u24_e32 v27, 0x10001, v31
	v_mul_u32_u24_e32 v38, 0x10001, v54
	s_waitcnt lgkmcnt(0)
	v_pk_fma_f16 v31, v51, v27, v1
	v_add_u32_e32 v1, 0x1000, v25
	v_pk_fma_f16 v30, v50, v27, v30
	v_pk_fma_f16 v32, v52, v27, v32
	;; [unrolled: 1-line block ×3, first 2 shown]
	ds_read2_b64 v[50:53], v1 offset1:32
	v_mul_u32_u24_e32 v27, 0x10001, v45
	s_waitcnt lgkmcnt(0)
	v_pk_fma_f16 v30, v50, v27, v30
	v_pk_fma_f16 v31, v51, v27, v31
	v_pk_fma_f16 v32, v52, v27, v32
	v_pk_fma_f16 v26, v53, v27, v26
	ds_read2_b64 v[50:53], v1 offset0:128 offset1:160
	v_mul_u32_u24_e32 v27, 0x10001, v49
	s_waitcnt lgkmcnt(0)
	v_pk_fma_f16 v30, v50, v27, v30
	v_pk_fma_f16 v31, v51, v27, v31
	v_pk_fma_f16 v32, v52, v27, v32
	v_pk_fma_f16 v27, v53, v27, v26
	v_add_u32_e32 v26, 0x1800, v25
	ds_read2_b64 v[50:53], v26 offset1:32
	s_waitcnt lgkmcnt(0)
	v_pk_fma_f16 v30, v50, v38, v30
	v_pk_fma_f16 v31, v51, v38, v31
	;; [unrolled: 1-line block ×4, first 2 shown]
	ds_read2_b64 v[50:53], v26 offset0:128 offset1:160
	v_mul_u32_u24_e32 v38, 0x10001, v55
	s_waitcnt lgkmcnt(0)
	v_pk_fma_f16 v30, v50, v38, v30
	v_pk_fma_f16 v31, v51, v38, v31
	;; [unrolled: 1-line block ×4, first 2 shown]
	v_add_u32_e32 v27, 0x2000, v25
	ds_read2_b64 v[50:53], v27 offset1:32
	s_waitcnt lgkmcnt(0)
	v_pk_fma_f16 v30, v50, v39, v30
	v_pk_fma_f16 v31, v51, v39, v31
	v_pk_fma_f16 v32, v52, v39, v32
	v_pk_fma_f16 v38, v53, v39, v38
	ds_read2_b64 v[50:53], v27 offset0:128 offset1:160
	v_mul_u32_u24_e32 v39, 0x10001, v57
	s_waitcnt lgkmcnt(0)
	v_pk_fma_f16 v45, v50, v39, v30
	v_add_u32_e32 v30, 0x2800, v25
	v_pk_fma_f16 v31, v51, v39, v31
	v_pk_fma_f16 v32, v52, v39, v32
	v_pk_fma_f16 v38, v53, v39, v38
	ds_read2_b64 v[50:53], v30 offset1:32
	v_mul_u32_u24_e32 v39, 0x10001, v58
	s_waitcnt lgkmcnt(0)
	v_pk_fma_f16 v45, v50, v39, v45
	v_pk_fma_f16 v31, v51, v39, v31
	v_pk_fma_f16 v32, v52, v39, v32
	v_pk_fma_f16 v38, v53, v39, v38
	ds_read2_b64 v[50:53], v30 offset0:128 offset1:160
	v_mul_u32_u24_e32 v39, 0x10001, v59
	s_waitcnt lgkmcnt(0)
	v_pk_fma_f16 v49, v51, v39, v31
	v_add_u32_e32 v31, 0x3000, v25
	v_pk_fma_f16 v45, v50, v39, v45
	v_pk_fma_f16 v32, v52, v39, v32
	v_pk_fma_f16 v38, v53, v39, v38
	ds_read2_b64 v[50:53], v31 offset1:32
	v_mul_u32_u24_e32 v39, 0x10001, v60
	s_waitcnt lgkmcnt(0)
	v_pk_fma_f16 v45, v50, v39, v45
	v_pk_fma_f16 v49, v51, v39, v49
	v_pk_fma_f16 v32, v52, v39, v32
	v_pk_fma_f16 v38, v53, v39, v38
	ds_read2_b64 v[50:53], v31 offset0:128 offset1:160
	v_mul_u32_u24_e32 v39, 0x10001, v61
	s_waitcnt lgkmcnt(0)
	v_pk_fma_f16 v54, v52, v39, v32
	v_add_u32_e32 v32, 0x3800, v25
	v_pk_fma_f16 v45, v50, v39, v45
	v_pk_fma_f16 v49, v51, v39, v49
	v_pk_fma_f16 v38, v53, v39, v38
	ds_read2_b64 v[50:53], v32 offset1:32
	v_mul_u32_u24_e32 v39, 0x10001, v62
	s_waitcnt lgkmcnt(0)
	v_pk_fma_f16 v45, v50, v39, v45
	v_pk_fma_f16 v49, v51, v39, v49
	;; [unrolled: 1-line block ×4, first 2 shown]
	ds_read2_b64 v[50:53], v32 offset0:128 offset1:160
	v_mul_u32_u24_e32 v39, 0x10001, v63
	s_waitcnt lgkmcnt(0)
	s_barrier
	scratch_store_dword off, v7, off
	scratch_store_dwordx3 off, v[46:48], off offset:4
	v_pk_fma_f16 v45, v50, v39, v45
	v_pk_fma_f16 v49, v51, v39, v49
	;; [unrolled: 1-line block ×4, first 2 shown]
	flat_load_dwordx4 v[50:53], v[12:13]
	s_waitcnt vmcnt(0) lgkmcnt(0)
	ds_write_b128 v24, v[50:53]
	scratch_store_dword off, v7, off
	scratch_store_dwordx3 off, v[46:48], off offset:4
	flat_load_dwordx4 v[50:53], v[2:3]
	v_lshl_add_u64 v[2:3], s[4:5], 0, v[10:11]
	v_lshl_add_u64 v[2:3], v[2:3], 0, v[6:7]
	v_cndmask_b32_e32 v3, v33, v3, vcc
	v_cndmask_b32_e32 v2, v35, v2, vcc
	v_cmp_gt_i32_e32 vcc, s2, v29
	s_waitcnt vmcnt(0) lgkmcnt(0)
	ds_write_b128 v34, v[50:53]
	scratch_store_dword off, v7, off
	scratch_store_dwordx3 off, v[46:48], off offset:4
	flat_load_dwordx4 v[10:13], v[2:3]
	v_lshl_add_u64 v[2:3], s[4:5], 0, v[8:9]
	v_lshl_add_u64 v[2:3], v[2:3], 0, v[6:7]
	v_cndmask_b32_e32 v3, v33, v3, vcc
	v_cndmask_b32_e32 v2, v35, v2, vcc
	s_waitcnt vmcnt(0) lgkmcnt(0)
	ds_write_b128 v28, v[10:13]
	scratch_store_dword off, v7, off
	scratch_store_dwordx3 off, v[46:48], off offset:4
	flat_load_dwordx4 v[6:9], v[2:3]
	s_waitcnt vmcnt(0) lgkmcnt(0)
	ds_write_b128 v23, v[6:9]
	s_waitcnt lgkmcnt(0)
	s_barrier
	ds_read2_b64 v[6:9], v25 offset1:32
	ds_read_u16 v2, v22 offset:64
	ds_read_u16 v3, v22 offset:68
	;; [unrolled: 1-line block ×16, first 2 shown]
	s_waitcnt lgkmcnt(14)
	v_mul_u32_u24_e32 v2, 0x10001, v2
	v_pk_fma_f16 v39, v6, v2, v45
	v_pk_fma_f16 v45, v7, v2, v49
	v_pk_fma_f16 v46, v8, v2, v54
	v_pk_fma_f16 v2, v9, v2, v38
	ds_read2_b64 v[6:9], v25 offset0:128 offset1:160
	v_mul_u32_u24_e32 v3, 0x10001, v3
	s_waitcnt lgkmcnt(0)
	v_pk_fma_f16 v25, v6, v3, v39
	v_pk_fma_f16 v38, v7, v3, v45
	v_pk_fma_f16 v39, v8, v3, v46
	v_pk_fma_f16 v2, v9, v3, v2
	ds_read2_b64 v[6:9], v0 offset1:32
	v_mul_u32_u24_e32 v3, 0x10001, v10
	s_waitcnt lgkmcnt(0)
	v_pk_fma_f16 v10, v6, v3, v25
	v_pk_fma_f16 v25, v7, v3, v38
	v_pk_fma_f16 v38, v8, v3, v39
	v_pk_fma_f16 v2, v9, v3, v2
	ds_read2_b64 v[6:9], v0 offset0:128 offset1:160
	v_mul_u32_u24_e32 v0, 0x10001, v11
	s_waitcnt lgkmcnt(0)
	v_pk_fma_f16 v3, v6, v0, v10
	v_pk_fma_f16 v10, v7, v0, v25
	v_pk_fma_f16 v11, v8, v0, v38
	v_pk_fma_f16 v0, v9, v0, v2
	ds_read2_b64 v[6:9], v1 offset1:32
	v_mul_u32_u24_e32 v2, 0x10001, v12
	s_waitcnt lgkmcnt(0)
	;; [unrolled: 14-line block ×7, first 2 shown]
	v_pk_fma_f16 v6, v0, v10, v6
	v_pk_fma_f16 v7, v1, v10, v7
	v_pk_fma_f16 v8, v2, v10, v8
	v_pk_fma_f16 v9, v3, v10, v9
	ds_read2_b64 v[0:3], v32 offset0:128 offset1:160
	v_mul_u32_u24_e32 v10, 0x10001, v22
	s_waitcnt lgkmcnt(0)
	s_barrier
	v_pk_fma_f16 v0, v0, v10, v6
	v_pk_fma_f16 v1, v1, v10, v7
	;; [unrolled: 1-line block ×4, first 2 shown]
	v_mov_b32_e32 v10, v21
.LBB52_26:
	v_cmp_lt_i32_e32 vcc, v16, v15
	v_cmp_ne_u32_e64 s[4:5], 0, v44
	s_nop 0
	v_cndmask_b32_e32 v6, v14, v16, vcc
	v_lshlrev_b32_e32 v6, 2, v6
	ds_bpermute_b32 v6, v6, v5
	v_cmp_lt_i32_e32 vcc, v17, v15
	s_waitcnt lgkmcnt(0)
	v_add_f32_e32 v5, v5, v6
	v_cndmask_b32_e32 v7, v14, v17, vcc
	v_lshlrev_b32_e32 v7, 2, v7
	ds_bpermute_b32 v6, v7, v5
	v_cmp_lt_i32_e32 vcc, v18, v15
	s_waitcnt lgkmcnt(0)
	v_add_f32_e32 v5, v5, v6
	;; [unrolled: 6-line block ×4, first 2 shown]
	v_cndmask_b32_e32 v7, v14, v20, vcc
	v_lshlrev_b32_e32 v7, 2, v7
	ds_bpermute_b32 v6, v7, v5
	v_cmp_eq_u32_e32 vcc, 0, v44
	s_waitcnt lgkmcnt(0)
	v_add_f32_e32 v11, v5, v6
	s_and_saveexec_b64 s[6:7], s[4:5]
	s_xor_b64 s[6:7], exec, s[6:7]
	s_cbranch_execnz .LBB52_30
; %bb.27:
	s_andn2_saveexec_b64 s[4:5], s[6:7]
	s_cbranch_execnz .LBB52_33
.LBB52_28:
	s_or_b64 exec, exec, s[4:5]
	s_and_saveexec_b64 s[4:5], vcc
	s_cbranch_execnz .LBB52_34
.LBB52_29:
	s_endpgm
.LBB52_30:
	v_lshl_add_u32 v4, v43, 9, v4
	v_cmp_eq_u32_e64 s[4:5], 0, v41
	ds_write_b128 v4, v[0:3]
	s_and_saveexec_b64 s[8:9], s[4:5]
; %bb.31:
	v_lshlrev_b32_e32 v4, 2, v43
	ds_write_b32 v4, v11 offset:17408
; %bb.32:
	s_or_b64 exec, exec, s[8:9]
                                        ; implicit-def: $vgpr43
                                        ; implicit-def: $vgpr4
	s_andn2_saveexec_b64 s[4:5], s[6:7]
	s_cbranch_execz .LBB52_28
.LBB52_33:
	v_lshl_add_u32 v4, v43, 9, v4
	v_lshlrev_b32_e32 v8, 2, v43
	s_waitcnt lgkmcnt(0)
	s_barrier
	ds_read_b128 v[4:7], v4 offset:512
	ds_read_b32 v8, v8 offset:17412
	s_waitcnt lgkmcnt(1)
	v_pk_add_f16 v0, v4, v0
	v_pk_add_f16 v1, v5, v1
	;; [unrolled: 1-line block ×4, first 2 shown]
	s_waitcnt lgkmcnt(0)
	v_add_f32_e32 v11, v11, v8
	s_or_b64 exec, exec, s[4:5]
	s_and_saveexec_b64 s[4:5], vcc
	s_cbranch_execz .LBB52_29
.LBB52_34:
	s_cmp_eq_u64 s[16:17], 0
	s_cselect_b64 s[4:5], -1, 0
	s_cmp_lg_u32 s3, 0
	s_cselect_b64 s[6:7], -1, 0
	s_or_b64 s[4:5], s[6:7], s[4:5]
	s_and_b64 vcc, exec, s[4:5]
	s_cbranch_vccnz .LBB52_36
; %bb.35:
	s_lshl_b64 s[4:5], s[34:35], 2
	s_add_u32 s4, s16, s4
	s_addc_u32 s5, s17, s5
	v_mov_b32_e32 v4, 0
	global_load_dword v5, v4, s[4:5]
	v_max_f32_e32 v4, v10, v10
	s_mov_b32 s2, 0x3fb8aa3b
	s_mov_b32 s4, 0xc2ce8ed0
	s_waitcnt vmcnt(0)
	v_max_f32_e32 v6, v5, v5
	v_max_f32_e32 v4, v4, v6
	v_sub_f32_e32 v6, v10, v4
	v_sub_f32_e32 v5, v5, v4
	v_mul_f32_e32 v7, 0x3fb8aa3b, v6
	v_mul_f32_e32 v8, 0x3fb8aa3b, v5
	v_fma_f32 v9, v6, s2, -v7
	v_rndne_f32_e32 v10, v7
	v_fma_f32 v12, v5, s2, -v8
	v_rndne_f32_e32 v13, v8
	v_fmac_f32_e32 v9, 0x32a5705f, v6
	v_sub_f32_e32 v7, v7, v10
	v_fmac_f32_e32 v12, 0x32a5705f, v5
	v_sub_f32_e32 v8, v8, v13
	v_add_f32_e32 v7, v7, v9
	v_cvt_i32_f32_e32 v10, v10
	v_add_f32_e32 v8, v8, v12
	v_exp_f32_e32 v7, v7
	v_cvt_i32_f32_e32 v13, v13
	v_exp_f32_e32 v8, v8
	v_cmp_ngt_f32_e32 vcc, s4, v6
	v_ldexp_f32 v7, v7, v10
	s_mov_b32 s2, 0x42b17218
	v_ldexp_f32 v8, v8, v13
	v_cndmask_b32_e32 v7, 0, v7, vcc
	v_cmp_ngt_f32_e32 vcc, s4, v5
	v_mov_b32_e32 v9, 0x7f800000
	s_nop 0
	v_cndmask_b32_e32 v8, 0, v8, vcc
	v_cmp_nlt_f32_e32 vcc, s2, v6
	s_nop 1
	v_cndmask_b32_e32 v6, v9, v7, vcc
	v_cvt_f16_f32_e32 v7, v6
	v_cmp_nlt_f32_e32 vcc, s2, v5
	s_nop 1
	v_cndmask_b32_e32 v5, v9, v8, vcc
	v_fmac_f32_e32 v5, v11, v6
	v_mul_u32_u24_e32 v6, 0x10001, v7
	v_pk_mul_f16 v0, v0, v6
	v_pk_mul_f16 v1, v1, v6
	;; [unrolled: 1-line block ×4, first 2 shown]
	v_mov_b64_e32 v[10:11], v[4:5]
	v_cmp_gt_i32_e32 vcc, s26, v40
	s_and_b64 exec, exec, vcc
	s_cbranch_execz .LBB52_29
	s_branch .LBB52_37
.LBB52_36:
	v_mov_b32_e32 v5, v11
	v_cmp_gt_i32_e32 vcc, s26, v40
	s_and_b64 exec, exec, vcc
	s_cbranch_execz .LBB52_29
.LBB52_37:
	s_load_dword s2, s[0:1], 0xd4
	v_div_scale_f32 v4, s[0:1], v5, v5, 1.0
	v_rcp_f32_e32 v6, v4
	s_mul_i32 s33, s33, s26
	s_waitcnt lgkmcnt(0)
	s_cmp_lg_u32 s2, 1
	s_cselect_b64 s[0:1], -1, 0
	v_fma_f32 v7, -v4, v6, 1.0
	v_fmac_f32_e32 v6, v7, v6
	v_div_scale_f32 v7, vcc, 1.0, v5, 1.0
	v_mul_f32_e32 v8, v7, v6
	v_fma_f32 v9, -v4, v8, v7
	v_fmac_f32_e32 v8, v9, v6
	v_fma_f32 v4, -v4, v8, v7
	v_div_fmas_f32 v4, v4, v6, v8
	v_div_fixup_f32 v4, v4, v5, 1.0
	v_cndmask_b32_e64 v12, v4, 1.0, s[0:1]
	v_add_u32_e32 v4, s33, v40
	v_mul_lo_u32 v4, v4, s27
	v_add_u32_e32 v4, s34, v4
	v_cvt_f32_f16_sdwa v7, v0 dst_sel:DWORD dst_unused:UNUSED_PAD src0_sel:WORD_1
	v_cvt_f32_f16_e32 v6, v0
	v_cvt_f32_f16_sdwa v9, v1 dst_sel:DWORD dst_unused:UNUSED_PAD src0_sel:WORD_1
	v_cvt_f32_f16_e32 v8, v1
	v_mul_lo_u32 v4, s2, v4
	v_add_u32_e32 v4, s3, v4
	v_lshl_add_u32 v14, v4, 8, v42
	v_mov_b32_e32 v15, 0
	v_lshl_add_u64 v[0:1], v[14:15], 2, s[20:21]
	v_pk_mul_f32 v[6:7], v[12:13], v[6:7] op_sel_hi:[0,1]
	v_pk_mul_f32 v[8:9], v[12:13], v[8:9] op_sel_hi:[0,1]
	global_store_dwordx4 v[0:1], v[6:9], off
	v_cvt_f32_f16_sdwa v1, v2 dst_sel:DWORD dst_unused:UNUSED_PAD src0_sel:WORD_1
	v_cvt_f32_f16_e32 v0, v2
	v_cvt_f32_f16_sdwa v7, v3 dst_sel:DWORD dst_unused:UNUSED_PAD src0_sel:WORD_1
	v_cvt_f32_f16_e32 v6, v3
	v_cmp_eq_u32_e32 vcc, 0, v41
	v_add_u32_e32 v14, 0x80, v14
	s_and_b64 s[0:1], vcc, s[0:1]
	v_lshl_add_u64 v[8:9], v[14:15], 2, s[20:21]
	v_pk_mul_f32 v[0:1], v[12:13], v[0:1] op_sel_hi:[0,1]
	v_pk_mul_f32 v[2:3], v[12:13], v[6:7] op_sel_hi:[0,1]
	global_store_dwordx4 v[8:9], v[0:3], off
	s_and_b64 exec, exec, s[0:1]
	s_cbranch_execz .LBB52_29
; %bb.38:
	v_mov_b32_e32 v0, s22
	v_mov_b32_e32 v1, s23
	v_ashrrev_i32_e32 v5, 31, v4
	v_lshl_add_u64 v[0:1], v[4:5], 3, v[0:1]
	global_store_dwordx2 v[0:1], v[10:11], off
	s_endpgm
	.section	.rodata,"a",@progbits
	.p2align	6, 0x0
	.amdhsa_kernel _ZL15flash_attn_tileILi256ELi256ELi4ELi1ELb0EEvPKcS1_S1_S1_S1_PKiPfP15HIP_vector_typeIfLj2EEffffjfiS5_IjLj3EEiiiiiiiiiiiliiliiiiil
		.amdhsa_group_segment_fixed_size 20032
		.amdhsa_private_segment_fixed_size 32
		.amdhsa_kernarg_size 464
		.amdhsa_user_sgpr_count 2
		.amdhsa_user_sgpr_dispatch_ptr 0
		.amdhsa_user_sgpr_queue_ptr 0
		.amdhsa_user_sgpr_kernarg_segment_ptr 1
		.amdhsa_user_sgpr_dispatch_id 0
		.amdhsa_user_sgpr_kernarg_preload_length 0
		.amdhsa_user_sgpr_kernarg_preload_offset 0
		.amdhsa_user_sgpr_private_segment_size 0
		.amdhsa_uses_dynamic_stack 0
		.amdhsa_enable_private_segment 1
		.amdhsa_system_sgpr_workgroup_id_x 1
		.amdhsa_system_sgpr_workgroup_id_y 1
		.amdhsa_system_sgpr_workgroup_id_z 1
		.amdhsa_system_sgpr_workgroup_info 0
		.amdhsa_system_vgpr_workitem_id 1
		.amdhsa_next_free_vgpr 121
		.amdhsa_next_free_sgpr 48
		.amdhsa_accum_offset 124
		.amdhsa_reserve_vcc 1
		.amdhsa_float_round_mode_32 0
		.amdhsa_float_round_mode_16_64 0
		.amdhsa_float_denorm_mode_32 3
		.amdhsa_float_denorm_mode_16_64 3
		.amdhsa_dx10_clamp 1
		.amdhsa_ieee_mode 1
		.amdhsa_fp16_overflow 0
		.amdhsa_tg_split 0
		.amdhsa_exception_fp_ieee_invalid_op 0
		.amdhsa_exception_fp_denorm_src 0
		.amdhsa_exception_fp_ieee_div_zero 0
		.amdhsa_exception_fp_ieee_overflow 0
		.amdhsa_exception_fp_ieee_underflow 0
		.amdhsa_exception_fp_ieee_inexact 0
		.amdhsa_exception_int_div_zero 0
	.end_amdhsa_kernel
	.section	.text._ZL15flash_attn_tileILi256ELi256ELi4ELi1ELb0EEvPKcS1_S1_S1_S1_PKiPfP15HIP_vector_typeIfLj2EEffffjfiS5_IjLj3EEiiiiiiiiiiiliiliiiiil,"axG",@progbits,_ZL15flash_attn_tileILi256ELi256ELi4ELi1ELb0EEvPKcS1_S1_S1_S1_PKiPfP15HIP_vector_typeIfLj2EEffffjfiS5_IjLj3EEiiiiiiiiiiiliiliiiiil,comdat
.Lfunc_end52:
	.size	_ZL15flash_attn_tileILi256ELi256ELi4ELi1ELb0EEvPKcS1_S1_S1_S1_PKiPfP15HIP_vector_typeIfLj2EEffffjfiS5_IjLj3EEiiiiiiiiiiiliiliiiiil, .Lfunc_end52-_ZL15flash_attn_tileILi256ELi256ELi4ELi1ELb0EEvPKcS1_S1_S1_S1_PKiPfP15HIP_vector_typeIfLj2EEffffjfiS5_IjLj3EEiiiiiiiiiiiliiliiiiil
                                        ; -- End function
	.set _ZL15flash_attn_tileILi256ELi256ELi4ELi1ELb0EEvPKcS1_S1_S1_S1_PKiPfP15HIP_vector_typeIfLj2EEffffjfiS5_IjLj3EEiiiiiiiiiiiliiliiiiil.num_vgpr, 121
	.set _ZL15flash_attn_tileILi256ELi256ELi4ELi1ELb0EEvPKcS1_S1_S1_S1_PKiPfP15HIP_vector_typeIfLj2EEffffjfiS5_IjLj3EEiiiiiiiiiiiliiliiiiil.num_agpr, 0
	.set _ZL15flash_attn_tileILi256ELi256ELi4ELi1ELb0EEvPKcS1_S1_S1_S1_PKiPfP15HIP_vector_typeIfLj2EEffffjfiS5_IjLj3EEiiiiiiiiiiiliiliiiiil.numbered_sgpr, 48
	.set _ZL15flash_attn_tileILi256ELi256ELi4ELi1ELb0EEvPKcS1_S1_S1_S1_PKiPfP15HIP_vector_typeIfLj2EEffffjfiS5_IjLj3EEiiiiiiiiiiiliiliiiiil.num_named_barrier, 0
	.set _ZL15flash_attn_tileILi256ELi256ELi4ELi1ELb0EEvPKcS1_S1_S1_S1_PKiPfP15HIP_vector_typeIfLj2EEffffjfiS5_IjLj3EEiiiiiiiiiiiliiliiiiil.private_seg_size, 32
	.set _ZL15flash_attn_tileILi256ELi256ELi4ELi1ELb0EEvPKcS1_S1_S1_S1_PKiPfP15HIP_vector_typeIfLj2EEffffjfiS5_IjLj3EEiiiiiiiiiiiliiliiiiil.uses_vcc, 1
	.set _ZL15flash_attn_tileILi256ELi256ELi4ELi1ELb0EEvPKcS1_S1_S1_S1_PKiPfP15HIP_vector_typeIfLj2EEffffjfiS5_IjLj3EEiiiiiiiiiiiliiliiiiil.uses_flat_scratch, 0
	.set _ZL15flash_attn_tileILi256ELi256ELi4ELi1ELb0EEvPKcS1_S1_S1_S1_PKiPfP15HIP_vector_typeIfLj2EEffffjfiS5_IjLj3EEiiiiiiiiiiiliiliiiiil.has_dyn_sized_stack, 0
	.set _ZL15flash_attn_tileILi256ELi256ELi4ELi1ELb0EEvPKcS1_S1_S1_S1_PKiPfP15HIP_vector_typeIfLj2EEffffjfiS5_IjLj3EEiiiiiiiiiiiliiliiiiil.has_recursion, 0
	.set _ZL15flash_attn_tileILi256ELi256ELi4ELi1ELb0EEvPKcS1_S1_S1_S1_PKiPfP15HIP_vector_typeIfLj2EEffffjfiS5_IjLj3EEiiiiiiiiiiiliiliiiiil.has_indirect_call, 0
	.section	.AMDGPU.csdata,"",@progbits
; Kernel info:
; codeLenInByte = 17244
; TotalNumSgprs: 54
; NumVgprs: 121
; NumAgprs: 0
; TotalNumVgprs: 121
; ScratchSize: 32
; MemoryBound: 0
; FloatMode: 240
; IeeeMode: 1
; LDSByteSize: 20032 bytes/workgroup (compile time only)
; SGPRBlocks: 6
; VGPRBlocks: 15
; NumSGPRsForWavesPerEU: 54
; NumVGPRsForWavesPerEU: 121
; AccumOffset: 124
; Occupancy: 4
; WaveLimiterHint : 1
; COMPUTE_PGM_RSRC2:SCRATCH_EN: 1
; COMPUTE_PGM_RSRC2:USER_SGPR: 2
; COMPUTE_PGM_RSRC2:TRAP_HANDLER: 0
; COMPUTE_PGM_RSRC2:TGID_X_EN: 1
; COMPUTE_PGM_RSRC2:TGID_Y_EN: 1
; COMPUTE_PGM_RSRC2:TGID_Z_EN: 1
; COMPUTE_PGM_RSRC2:TIDIG_COMP_CNT: 1
; COMPUTE_PGM_RSRC3_GFX90A:ACCUM_OFFSET: 30
; COMPUTE_PGM_RSRC3_GFX90A:TG_SPLIT: 0
	.section	.text._ZL33flash_attn_stream_k_fixup_uniformILi256ELi4ELi1EEvPfPK15HIP_vector_typeIfLj2EEiiiiiiS1_IjLj3EES5_S5_,"axG",@progbits,_ZL33flash_attn_stream_k_fixup_uniformILi256ELi4ELi1EEvPfPK15HIP_vector_typeIfLj2EEiiiiiiS1_IjLj3EES5_S5_,comdat
	.globl	_ZL33flash_attn_stream_k_fixup_uniformILi256ELi4ELi1EEvPfPK15HIP_vector_typeIfLj2EEiiiiiiS1_IjLj3EES5_S5_ ; -- Begin function _ZL33flash_attn_stream_k_fixup_uniformILi256ELi4ELi1EEvPfPK15HIP_vector_typeIfLj2EEiiiiiiS1_IjLj3EES5_S5_
	.p2align	8
	.type	_ZL33flash_attn_stream_k_fixup_uniformILi256ELi4ELi1EEvPfPK15HIP_vector_typeIfLj2EEiiiiiiS1_IjLj3EES5_S5_,@function
_ZL33flash_attn_stream_k_fixup_uniformILi256ELi4ELi1EEvPfPK15HIP_vector_typeIfLj2EEiiiiiiS1_IjLj3EES5_S5_: ; @_ZL33flash_attn_stream_k_fixup_uniformILi256ELi4ELi1EEvPfPK15HIP_vector_typeIfLj2EEiiiiiiS1_IjLj3EES5_S5_
; %bb.0:
	s_load_dwordx8 s[8:15], s[0:1], 0x1c
	s_load_dwordx2 s[6:7], s[0:1], 0x10
	s_load_dwordx4 s[20:23], s[0:1], 0x3c
	s_waitcnt lgkmcnt(0)
	s_mul_hi_u32 s5, s11, s2
	s_add_i32 s5, s2, s5
	s_lshr_b32 s5, s5, s12
	s_mul_i32 s11, s5, s13
	s_sub_i32 s11, s2, s11
	s_mul_hi_u32 s12, s11, s14
	s_add_i32 s12, s11, s12
	s_lshr_b32 s16, s12, s15
	s_mul_i32 s12, s16, s20
	s_sub_i32 s12, s11, s12
	;; [unrolled: 5-line block ×3, first 2 shown]
	s_lshl_b32 s12, s17, 2
	s_add_i32 s12, s12, s3
	s_cmp_lt_i32 s12, s6
	s_cselect_b64 s[12:13], -1, 0
	s_add_i32 s14, s11, s4
	s_cmp_lt_i32 s14, s9
	s_cselect_b64 s[14:15], -1, 0
	s_and_b64 s[12:13], s[12:13], s[14:15]
	s_andn2_b64 vcc, exec, s[12:13]
	s_cbranch_vccnz .LBB53_6
; %bb.1:
	s_load_dwordx4 s[12:15], s[0:1], 0x0
	s_mul_i32 s0, s5, s6
	s_add_i32 s0, s0, s3
	s_mul_i32 s0, s0, s7
	s_mul_i32 s16, s16, s9
	s_add_i32 s0, s0, s4
	s_add_i32 s0, s0, s16
	s_mul_i32 s1, s7, s17
	s_add_i32 s0, s0, s11
	s_lshl_b32 s1, s1, 10
	s_lshl_b32 s0, s0, 8
	s_add_i32 s1, s1, s0
	v_or_b32_e32 v4, s1, v0
	s_waitcnt lgkmcnt(0)
	v_mov_b32_e32 v2, s12
	v_mov_b32_e32 v3, s13
	v_ashrrev_i32_e32 v5, 31, v4
	v_lshl_add_u64 v[2:3], v[4:5], 2, v[2:3]
	global_load_dword v5, v[2:3], off
	s_mul_i32 s6, s10, s2
	s_add_i32 s7, s6, s10
	s_add_i32 s3, s3, s4
	s_lshl_b32 s0, s7, 2
	s_add_i32 s0, s3, s0
	s_add_i32 s0, s0, -4
	s_ashr_i32 s1, s0, 31
	s_lshl_b64 s[0:1], s[0:1], 3
	s_add_u32 s0, s14, s0
	s_addc_u32 s1, s15, s1
	s_load_dword s9, s[0:1], 0x4
	s_add_i32 s4, s7, -2
	s_cmp_lt_i32 s4, s6
	s_cbranch_scc1 .LBB53_4
; %bb.2:
	s_lshl_b32 s4, s8, 4
	s_ashr_i32 s5, s4, 31
	s_lshl_b64 s[4:5], s[4:5], 2
	s_add_u32 s4, s14, s4
	s_addc_u32 s5, s15, s5
	s_add_i32 s2, s2, 1
	s_mul_i32 s2, s10, s2
	s_load_dword s0, s[0:1], 0x0
	s_lshl_b32 s1, s3, 8
	s_lshl_b32 s10, s2, 10
	s_add_i32 s1, s1, s10
	v_or_b32_e32 v0, s1, v0
	s_lshl_b32 s1, s2, 2
	s_add_i32 s1, s3, s1
	s_lshl_b32 s2, s8, 2
	s_add_i32 s1, s1, s2
	s_add_i32 s7, s7, -1
	v_add_u32_e32 v0, 0xfffff800, v0
	s_add_i32 s2, s1, -8
	s_waitcnt lgkmcnt(0)
	v_mov_b32_e32 v7, s0
	v_mov_b32_e32 v4, s9
	s_mov_b32 s8, 0x3fb8aa3b
	s_mov_b32 s9, 0xc2ce8ed0
	;; [unrolled: 1-line block ×3, first 2 shown]
	v_mov_b32_e32 v6, 0x7f800000
	s_mov_b32 s11, 0xc1a00000
.LBB53_3:                               ; =>This Inner Loop Header: Depth=1
	v_ashrrev_i32_e32 v1, 31, v0
	v_lshl_add_u64 v[8:9], v[0:1], 2, s[4:5]
	global_load_dword v9, v[8:9], off
	s_ashr_i32 s3, s2, 31
	s_lshl_b64 s[0:1], s[2:3], 3
	s_add_u32 s0, s14, s0
	s_addc_u32 s1, s15, s1
	s_load_dwordx2 s[0:1], s[0:1], 0x0
	v_max_f32_e32 v1, v7, v7
	s_add_i32 s7, s7, -1
	s_add_i32 s2, s2, -4
	v_add_u32_e32 v0, 0xfffffc00, v0
	s_waitcnt lgkmcnt(0)
	v_max_f32_e64 v10, s0, s0
	v_max_f32_e32 v1, v1, v10
	v_sub_f32_e32 v11, s0, v1
	v_sub_f32_e32 v10, v7, v1
	v_mul_f32_e32 v12, 0x3fb8aa3b, v11
	v_mov_b32_e32 v7, v1
	v_mul_f32_e32 v1, 0x3fb8aa3b, v10
	v_fma_f32 v15, v11, s8, -v12
	v_rndne_f32_e32 v16, v12
	v_fma_f32 v13, v10, s8, -v1
	v_rndne_f32_e32 v14, v1
	v_fmac_f32_e32 v15, 0x32a5705f, v11
	v_sub_f32_e32 v12, v12, v16
	v_fmac_f32_e32 v13, 0x32a5705f, v10
	v_sub_f32_e32 v1, v1, v14
	v_add_f32_e32 v12, v12, v15
	v_cvt_i32_f32_e32 v16, v16
	v_add_f32_e32 v1, v1, v13
	v_exp_f32_e32 v12, v12
	v_cvt_i32_f32_e32 v14, v14
	v_exp_f32_e32 v1, v1
	v_cmp_ngt_f32_e32 vcc, s9, v11
	v_ldexp_f32 v12, v12, v16
	v_mov_b32_e32 v8, s1
	v_ldexp_f32 v1, v1, v14
	v_cmp_ngt_f32_e64 s[0:1], s9, v10
	v_cndmask_b32_e32 v12, 0, v12, vcc
	v_cmp_nlt_f32_e32 vcc, s10, v11
	v_cndmask_b32_e64 v1, 0, v1, s[0:1]
	v_cmp_nlt_f32_e64 s[0:1], s10, v10
	v_cndmask_b32_e32 v12, v6, v12, vcc
	v_cmp_le_f32_e32 vcc, s11, v11
	v_cndmask_b32_e64 v1, v6, v1, s[0:1]
	v_cmp_le_f32_e64 s[0:1], s11, v10
	v_cndmask_b32_e32 v12, 0, v12, vcc
	s_cmp_le_i32 s7, s6
	v_cndmask_b32_e64 v10, 0, v1, s[0:1]
	s_waitcnt vmcnt(0)
	v_pk_mul_f32 v[8:9], v[8:9], v[12:13] op_sel_hi:[1,0]
	s_nop 0
	v_pk_fma_f32 v[4:5], v[4:5], v[10:11], v[8:9] op_sel_hi:[1,0,1]
	s_cbranch_scc0 .LBB53_3
	s_branch .LBB53_5
.LBB53_4:
	s_waitcnt lgkmcnt(0)
	v_mov_b32_e32 v4, s9
.LBB53_5:
	s_waitcnt vmcnt(0)
	v_div_scale_f32 v0, s[0:1], v4, v4, v5
	v_rcp_f32_e32 v1, v0
	v_div_scale_f32 v6, vcc, v5, v4, v5
	v_fma_f32 v7, -v0, v1, 1.0
	v_fmac_f32_e32 v1, v7, v1
	v_mul_f32_e32 v7, v6, v1
	v_fma_f32 v8, -v0, v7, v6
	v_fmac_f32_e32 v7, v8, v1
	v_fma_f32 v0, -v0, v7, v6
	v_div_fmas_f32 v0, v0, v1, v7
	v_div_fixup_f32 v0, v0, v4, v5
	global_store_dword v[2:3], v0, off
.LBB53_6:
	s_endpgm
	.section	.rodata,"a",@progbits
	.p2align	6, 0x0
	.amdhsa_kernel _ZL33flash_attn_stream_k_fixup_uniformILi256ELi4ELi1EEvPfPK15HIP_vector_typeIfLj2EEiiiiiiS1_IjLj3EES5_S5_
		.amdhsa_group_segment_fixed_size 0
		.amdhsa_private_segment_fixed_size 0
		.amdhsa_kernarg_size 76
		.amdhsa_user_sgpr_count 2
		.amdhsa_user_sgpr_dispatch_ptr 0
		.amdhsa_user_sgpr_queue_ptr 0
		.amdhsa_user_sgpr_kernarg_segment_ptr 1
		.amdhsa_user_sgpr_dispatch_id 0
		.amdhsa_user_sgpr_kernarg_preload_length 0
		.amdhsa_user_sgpr_kernarg_preload_offset 0
		.amdhsa_user_sgpr_private_segment_size 0
		.amdhsa_uses_dynamic_stack 0
		.amdhsa_enable_private_segment 0
		.amdhsa_system_sgpr_workgroup_id_x 1
		.amdhsa_system_sgpr_workgroup_id_y 1
		.amdhsa_system_sgpr_workgroup_id_z 1
		.amdhsa_system_sgpr_workgroup_info 0
		.amdhsa_system_vgpr_workitem_id 0
		.amdhsa_next_free_vgpr 17
		.amdhsa_next_free_sgpr 24
		.amdhsa_accum_offset 20
		.amdhsa_reserve_vcc 1
		.amdhsa_float_round_mode_32 0
		.amdhsa_float_round_mode_16_64 0
		.amdhsa_float_denorm_mode_32 3
		.amdhsa_float_denorm_mode_16_64 3
		.amdhsa_dx10_clamp 1
		.amdhsa_ieee_mode 1
		.amdhsa_fp16_overflow 0
		.amdhsa_tg_split 0
		.amdhsa_exception_fp_ieee_invalid_op 0
		.amdhsa_exception_fp_denorm_src 0
		.amdhsa_exception_fp_ieee_div_zero 0
		.amdhsa_exception_fp_ieee_overflow 0
		.amdhsa_exception_fp_ieee_underflow 0
		.amdhsa_exception_fp_ieee_inexact 0
		.amdhsa_exception_int_div_zero 0
	.end_amdhsa_kernel
	.section	.text._ZL33flash_attn_stream_k_fixup_uniformILi256ELi4ELi1EEvPfPK15HIP_vector_typeIfLj2EEiiiiiiS1_IjLj3EES5_S5_,"axG",@progbits,_ZL33flash_attn_stream_k_fixup_uniformILi256ELi4ELi1EEvPfPK15HIP_vector_typeIfLj2EEiiiiiiS1_IjLj3EES5_S5_,comdat
.Lfunc_end53:
	.size	_ZL33flash_attn_stream_k_fixup_uniformILi256ELi4ELi1EEvPfPK15HIP_vector_typeIfLj2EEiiiiiiS1_IjLj3EES5_S5_, .Lfunc_end53-_ZL33flash_attn_stream_k_fixup_uniformILi256ELi4ELi1EEvPfPK15HIP_vector_typeIfLj2EEiiiiiiS1_IjLj3EES5_S5_
                                        ; -- End function
	.set _ZL33flash_attn_stream_k_fixup_uniformILi256ELi4ELi1EEvPfPK15HIP_vector_typeIfLj2EEiiiiiiS1_IjLj3EES5_S5_.num_vgpr, 17
	.set _ZL33flash_attn_stream_k_fixup_uniformILi256ELi4ELi1EEvPfPK15HIP_vector_typeIfLj2EEiiiiiiS1_IjLj3EES5_S5_.num_agpr, 0
	.set _ZL33flash_attn_stream_k_fixup_uniformILi256ELi4ELi1EEvPfPK15HIP_vector_typeIfLj2EEiiiiiiS1_IjLj3EES5_S5_.numbered_sgpr, 24
	.set _ZL33flash_attn_stream_k_fixup_uniformILi256ELi4ELi1EEvPfPK15HIP_vector_typeIfLj2EEiiiiiiS1_IjLj3EES5_S5_.num_named_barrier, 0
	.set _ZL33flash_attn_stream_k_fixup_uniformILi256ELi4ELi1EEvPfPK15HIP_vector_typeIfLj2EEiiiiiiS1_IjLj3EES5_S5_.private_seg_size, 0
	.set _ZL33flash_attn_stream_k_fixup_uniformILi256ELi4ELi1EEvPfPK15HIP_vector_typeIfLj2EEiiiiiiS1_IjLj3EES5_S5_.uses_vcc, 1
	.set _ZL33flash_attn_stream_k_fixup_uniformILi256ELi4ELi1EEvPfPK15HIP_vector_typeIfLj2EEiiiiiiS1_IjLj3EES5_S5_.uses_flat_scratch, 0
	.set _ZL33flash_attn_stream_k_fixup_uniformILi256ELi4ELi1EEvPfPK15HIP_vector_typeIfLj2EEiiiiiiS1_IjLj3EES5_S5_.has_dyn_sized_stack, 0
	.set _ZL33flash_attn_stream_k_fixup_uniformILi256ELi4ELi1EEvPfPK15HIP_vector_typeIfLj2EEiiiiiiS1_IjLj3EES5_S5_.has_recursion, 0
	.set _ZL33flash_attn_stream_k_fixup_uniformILi256ELi4ELi1EEvPfPK15HIP_vector_typeIfLj2EEiiiiiiS1_IjLj3EES5_S5_.has_indirect_call, 0
	.section	.AMDGPU.csdata,"",@progbits
; Kernel info:
; codeLenInByte = 816
; TotalNumSgprs: 30
; NumVgprs: 17
; NumAgprs: 0
; TotalNumVgprs: 17
; ScratchSize: 0
; MemoryBound: 0
; FloatMode: 240
; IeeeMode: 1
; LDSByteSize: 0 bytes/workgroup (compile time only)
; SGPRBlocks: 3
; VGPRBlocks: 2
; NumSGPRsForWavesPerEU: 30
; NumVGPRsForWavesPerEU: 17
; AccumOffset: 20
; Occupancy: 8
; WaveLimiterHint : 0
; COMPUTE_PGM_RSRC2:SCRATCH_EN: 0
; COMPUTE_PGM_RSRC2:USER_SGPR: 2
; COMPUTE_PGM_RSRC2:TRAP_HANDLER: 0
; COMPUTE_PGM_RSRC2:TGID_X_EN: 1
; COMPUTE_PGM_RSRC2:TGID_Y_EN: 1
; COMPUTE_PGM_RSRC2:TGID_Z_EN: 1
; COMPUTE_PGM_RSRC2:TIDIG_COMP_CNT: 0
; COMPUTE_PGM_RSRC3_GFX90A:ACCUM_OFFSET: 4
; COMPUTE_PGM_RSRC3_GFX90A:TG_SPLIT: 0
	.section	.text._ZL33flash_attn_stream_k_fixup_generalILi256ELi4ELi1EEvPfPK15HIP_vector_typeIfLj2EEiiiiS1_IjLj3EES5_S5_S5_,"axG",@progbits,_ZL33flash_attn_stream_k_fixup_generalILi256ELi4ELi1EEvPfPK15HIP_vector_typeIfLj2EEiiiiS1_IjLj3EES5_S5_S5_,comdat
	.globl	_ZL33flash_attn_stream_k_fixup_generalILi256ELi4ELi1EEvPfPK15HIP_vector_typeIfLj2EEiiiiS1_IjLj3EES5_S5_S5_ ; -- Begin function _ZL33flash_attn_stream_k_fixup_generalILi256ELi4ELi1EEvPfPK15HIP_vector_typeIfLj2EEiiiiS1_IjLj3EES5_S5_S5_
	.p2align	8
	.type	_ZL33flash_attn_stream_k_fixup_generalILi256ELi4ELi1EEvPfPK15HIP_vector_typeIfLj2EEiiiiS1_IjLj3EES5_S5_S5_,@function
_ZL33flash_attn_stream_k_fixup_generalILi256ELi4ELi1EEvPfPK15HIP_vector_typeIfLj2EEiiiiS1_IjLj3EES5_S5_S5_: ; @_ZL33flash_attn_stream_k_fixup_generalILi256ELi4ELi1EEvPfPK15HIP_vector_typeIfLj2EEiiiiS1_IjLj3EES5_S5_S5_
; %bb.0:
	s_load_dwordx4 s[8:11], s[0:1], 0x10
	s_load_dword s22, s[0:1], 0x50
	s_mov_b32 s12, 0
	s_waitcnt lgkmcnt(0)
	s_mul_hi_i32 s13, s11, s2
	s_cmp_lg_u64 s[12:13], 0
	s_mul_i32 s5, s11, s2
	s_cbranch_scc0 .LBB54_20
; %bb.1:
	s_add_u32 s6, s22, 0
	s_addc_u32 s7, 0, 0
	s_xor_b64 s[6:7], s[6:7], 0
	v_cvt_f32_u32_e32 v1, s6
	v_cvt_f32_u32_e32 v2, s7
	s_sub_u32 s12, 0, s6
	s_subb_u32 s18, 0, s7
	v_fmamk_f32 v1, v2, 0x4f800000, v1
	v_rcp_f32_e32 v1, v1
	s_nop 0
	v_mul_f32_e32 v1, 0x5f7ffffc, v1
	v_mul_f32_e32 v2, 0x2f800000, v1
	v_trunc_f32_e32 v2, v2
	v_fmamk_f32 v1, v2, 0xcf800000, v1
	v_cvt_u32_f32_e32 v2, v2
	v_cvt_u32_f32_e32 v1, v1
	v_readfirstlane_b32 s19, v2
	v_readfirstlane_b32 s14, v1
	s_mul_i32 s15, s12, s19
	s_mul_hi_u32 s21, s12, s14
	s_mul_i32 s20, s18, s14
	s_add_i32 s15, s21, s15
	s_add_i32 s15, s15, s20
	s_mul_i32 s23, s12, s14
	s_mul_i32 s21, s14, s15
	s_mul_hi_u32 s24, s14, s23
	s_mul_hi_u32 s20, s14, s15
	s_add_u32 s21, s24, s21
	s_addc_u32 s20, 0, s20
	s_mul_hi_u32 s25, s19, s23
	s_mul_i32 s23, s19, s23
	s_add_u32 s21, s21, s23
	s_mul_hi_u32 s24, s19, s15
	s_addc_u32 s20, s20, s25
	s_addc_u32 s21, s24, 0
	s_mul_i32 s15, s19, s15
	s_add_u32 s15, s20, s15
	s_addc_u32 s20, 0, s21
	s_add_u32 s21, s14, s15
	s_cselect_b64 s[14:15], -1, 0
	s_cmp_lg_u64 s[14:15], 0
	s_addc_u32 s19, s19, s20
	s_mul_i32 s14, s12, s19
	s_mul_hi_u32 s15, s12, s21
	s_add_i32 s14, s15, s14
	s_mul_i32 s18, s18, s21
	s_add_i32 s14, s14, s18
	s_mul_i32 s12, s12, s21
	s_mul_hi_u32 s18, s19, s12
	s_mul_i32 s20, s19, s12
	s_mul_i32 s24, s21, s14
	s_mul_hi_u32 s12, s21, s12
	s_mul_hi_u32 s23, s21, s14
	s_add_u32 s12, s12, s24
	s_addc_u32 s23, 0, s23
	s_add_u32 s12, s12, s20
	s_mul_hi_u32 s15, s19, s14
	s_addc_u32 s12, s23, s18
	s_addc_u32 s15, s15, 0
	s_mul_i32 s14, s19, s14
	s_add_u32 s12, s12, s14
	s_addc_u32 s18, 0, s15
	s_add_u32 s20, s21, s12
	s_cselect_b64 s[14:15], -1, 0
	s_cmp_lg_u64 s[14:15], 0
	s_addc_u32 s18, s19, s18
	s_ashr_i32 s14, s13, 31
	s_add_u32 s12, s5, s14
	s_mov_b32 s15, s14
	s_addc_u32 s13, s13, s14
	s_xor_b64 s[12:13], s[12:13], s[14:15]
	s_mul_i32 s21, s12, s18
	s_mul_hi_u32 s23, s12, s20
	s_mul_hi_u32 s19, s12, s18
	s_add_u32 s21, s23, s21
	s_addc_u32 s19, 0, s19
	s_mul_hi_u32 s24, s13, s20
	s_mul_i32 s20, s13, s20
	s_add_u32 s20, s21, s20
	s_mul_hi_u32 s23, s13, s18
	s_addc_u32 s19, s19, s24
	s_addc_u32 s20, s23, 0
	s_mul_i32 s18, s13, s18
	s_add_u32 s23, s19, s18
	s_addc_u32 s24, 0, s20
	s_mul_i32 s18, s6, s24
	s_mul_hi_u32 s19, s6, s23
	s_add_i32 s18, s19, s18
	s_mul_i32 s19, s7, s23
	s_add_i32 s25, s18, s19
	s_sub_i32 s20, s13, s25
	s_mul_i32 s18, s6, s23
	s_sub_u32 s12, s12, s18
	s_cselect_b64 s[18:19], -1, 0
	s_cmp_lg_u64 s[18:19], 0
	s_subb_u32 s26, s20, s7
	s_sub_u32 s27, s12, s6
	s_cselect_b64 s[20:21], -1, 0
	s_cmp_lg_u64 s[20:21], 0
	s_subb_u32 s20, s26, 0
	s_cmp_ge_u32 s20, s7
	s_cselect_b32 s21, -1, 0
	s_cmp_ge_u32 s27, s6
	s_cselect_b32 s26, -1, 0
	s_cmp_eq_u32 s20, s7
	s_cselect_b32 s20, s26, s21
	s_add_u32 s21, s23, 1
	s_addc_u32 s26, s24, 0
	s_add_u32 s27, s23, 2
	s_addc_u32 s28, s24, 0
	s_cmp_lg_u32 s20, 0
	s_cselect_b32 s20, s27, s21
	s_cselect_b32 s21, s28, s26
	s_cmp_lg_u64 s[18:19], 0
	s_subb_u32 s13, s13, s25
	s_cmp_ge_u32 s13, s7
	s_cselect_b32 s18, -1, 0
	s_cmp_ge_u32 s12, s6
	s_cselect_b32 s6, -1, 0
	s_cmp_eq_u32 s13, s7
	s_cselect_b32 s6, s6, s18
	s_cmp_lg_u32 s6, 0
	s_cselect_b32 s7, s21, s24
	s_cselect_b32 s6, s20, s23
	s_xor_b64 s[12:13], s[14:15], 0
	s_xor_b64 s[6:7], s[6:7], s[12:13]
	s_sub_u32 s6, s6, s12
	s_load_dwordx4 s[12:15], s[0:1], 0x44
	s_cbranch_execnz .LBB54_3
.LBB54_2:
	v_cvt_f32_u32_e32 v1, s22
	s_sub_i32 s6, 0, s22
	v_rcp_iflag_f32_e32 v1, v1
	s_nop 0
	v_mul_f32_e32 v1, 0x4f7ffffe, v1
	v_cvt_u32_f32_e32 v1, v1
	s_nop 0
	v_readfirstlane_b32 s7, v1
	s_mul_i32 s6, s6, s7
	s_mul_hi_u32 s6, s7, s6
	s_add_i32 s7, s7, s6
	s_mul_hi_u32 s6, s5, s7
	s_waitcnt lgkmcnt(0)
	s_mul_i32 s15, s6, s22
	s_sub_i32 s5, s5, s15
	s_add_i32 s7, s6, 1
	s_sub_i32 s15, s5, s22
	s_cmp_ge_u32 s5, s22
	s_cselect_b32 s6, s7, s6
	s_cselect_b32 s5, s15, s5
	s_add_i32 s7, s6, 1
	s_cmp_ge_u32 s5, s22
	s_cselect_b32 s6, s7, s6
.LBB54_3:
	s_add_i32 s5, s2, 1
	s_mul_hi_i32 s21, s11, s5
	s_mov_b32 s20, 0
	s_cmp_lg_u64 s[20:21], 0
	s_mul_i32 s5, s11, s5
	s_cbranch_scc0 .LBB54_21
; %bb.4:
	s_add_u32 s16, s22, 0
	s_addc_u32 s17, 0, 0
	s_xor_b64 s[18:19], s[16:17], 0
	v_cvt_f32_u32_e32 v1, s18
	v_cvt_f32_u32_e32 v2, s19
	s_sub_u32 s7, 0, s18
	s_waitcnt lgkmcnt(0)
	s_subb_u32 s15, 0, s19
	v_fmamk_f32 v1, v2, 0x4f800000, v1
	v_rcp_f32_e32 v1, v1
	s_nop 0
	v_mul_f32_e32 v1, 0x5f7ffffc, v1
	v_mul_f32_e32 v2, 0x2f800000, v1
	v_trunc_f32_e32 v2, v2
	v_fmamk_f32 v1, v2, 0xcf800000, v1
	v_cvt_u32_f32_e32 v2, v2
	v_cvt_u32_f32_e32 v1, v1
	v_readfirstlane_b32 s20, v2
	v_readfirstlane_b32 s23, v1
	s_mul_i32 s24, s7, s20
	s_mul_hi_u32 s26, s7, s23
	s_mul_i32 s25, s15, s23
	s_add_i32 s24, s26, s24
	s_add_i32 s24, s24, s25
	s_mul_i32 s27, s7, s23
	s_mul_i32 s26, s23, s24
	s_mul_hi_u32 s28, s23, s27
	s_mul_hi_u32 s25, s23, s24
	s_add_u32 s26, s28, s26
	s_addc_u32 s25, 0, s25
	s_mul_hi_u32 s29, s20, s27
	s_mul_i32 s27, s20, s27
	s_add_u32 s26, s26, s27
	s_mul_hi_u32 s28, s20, s24
	s_addc_u32 s25, s25, s29
	s_addc_u32 s26, s28, 0
	s_mul_i32 s24, s20, s24
	s_add_u32 s24, s25, s24
	s_addc_u32 s26, 0, s26
	s_add_u32 s23, s23, s24
	s_cselect_b64 s[24:25], -1, 0
	s_cmp_lg_u64 s[24:25], 0
	s_addc_u32 s20, s20, s26
	s_mul_i32 s24, s7, s20
	s_mul_hi_u32 s25, s7, s23
	s_add_i32 s24, s25, s24
	s_mul_i32 s15, s15, s23
	s_add_i32 s24, s24, s15
	s_mul_i32 s7, s7, s23
	s_mul_hi_u32 s25, s20, s7
	s_mul_i32 s26, s20, s7
	s_mul_i32 s28, s23, s24
	s_mul_hi_u32 s7, s23, s7
	s_mul_hi_u32 s27, s23, s24
	s_add_u32 s7, s7, s28
	s_addc_u32 s27, 0, s27
	s_add_u32 s7, s7, s26
	s_mul_hi_u32 s15, s20, s24
	s_addc_u32 s7, s27, s25
	s_addc_u32 s15, s15, 0
	s_mul_i32 s24, s20, s24
	s_add_u32 s7, s7, s24
	s_addc_u32 s15, 0, s15
	s_add_u32 s7, s23, s7
	s_cselect_b64 s[24:25], -1, 0
	s_cmp_lg_u64 s[24:25], 0
	s_addc_u32 s15, s20, s15
	s_ashr_i32 s24, s21, 31
	s_add_u32 s20, s5, s24
	s_mov_b32 s25, s24
	s_addc_u32 s21, s21, s24
	s_xor_b64 s[20:21], s[20:21], s[24:25]
	s_mul_i32 s26, s20, s15
	s_mul_hi_u32 s27, s20, s7
	s_mul_hi_u32 s23, s20, s15
	s_add_u32 s26, s27, s26
	s_addc_u32 s23, 0, s23
	s_mul_hi_u32 s28, s21, s7
	s_mul_i32 s7, s21, s7
	s_add_u32 s7, s26, s7
	s_mul_hi_u32 s27, s21, s15
	s_addc_u32 s7, s23, s28
	s_addc_u32 s23, s27, 0
	s_mul_i32 s15, s21, s15
	s_add_u32 s7, s7, s15
	s_addc_u32 s15, 0, s23
	s_mul_i32 s23, s18, s15
	s_mul_hi_u32 s26, s18, s7
	s_add_i32 s23, s26, s23
	s_mul_i32 s26, s19, s7
	s_add_i32 s23, s23, s26
	s_sub_i32 s28, s21, s23
	s_mul_i32 s26, s18, s7
	s_sub_u32 s20, s20, s26
	s_cselect_b64 s[26:27], -1, 0
	s_cmp_lg_u64 s[26:27], 0
	s_subb_u32 s30, s28, s19
	s_sub_u32 s31, s20, s18
	s_cselect_b64 s[28:29], -1, 0
	s_cmp_lg_u64 s[28:29], 0
	s_subb_u32 s28, s30, 0
	s_cmp_ge_u32 s28, s19
	s_cselect_b32 s29, -1, 0
	s_cmp_ge_u32 s31, s18
	s_cselect_b32 s30, -1, 0
	s_cmp_eq_u32 s28, s19
	s_cselect_b32 s28, s30, s29
	s_add_u32 s29, s7, 1
	s_addc_u32 s30, s15, 0
	s_add_u32 s31, s7, 2
	s_addc_u32 s33, s15, 0
	s_cmp_lg_u32 s28, 0
	s_cselect_b32 s28, s31, s29
	s_cselect_b32 s29, s33, s30
	s_cmp_lg_u64 s[26:27], 0
	s_subb_u32 s21, s21, s23
	s_cmp_ge_u32 s21, s19
	s_cselect_b32 s23, -1, 0
	s_cmp_ge_u32 s20, s18
	s_cselect_b32 s18, -1, 0
	s_cmp_eq_u32 s21, s19
	s_cselect_b32 s18, s18, s23
	s_cmp_lg_u32 s18, 0
	s_cselect_b32 s19, s29, s15
	s_cselect_b32 s18, s28, s7
	s_xor_b64 s[20:21], s[24:25], 0
	s_xor_b64 s[18:19], s[18:19], s[20:21]
	s_sub_u32 s18, s18, s20
	s_cbranch_execnz .LBB54_6
.LBB54_5:
	v_cvt_f32_u32_e32 v1, s22
	s_sub_i32 s7, 0, s22
	v_rcp_iflag_f32_e32 v1, v1
	s_nop 0
	v_mul_f32_e32 v1, 0x4f7ffffe, v1
	v_cvt_u32_f32_e32 v1, v1
	s_waitcnt lgkmcnt(0)
	v_readfirstlane_b32 s15, v1
	s_mul_i32 s7, s7, s15
	s_mul_hi_u32 s7, s15, s7
	s_add_i32 s15, s15, s7
	s_mul_hi_u32 s7, s5, s15
	s_mul_i32 s16, s7, s22
	s_sub_i32 s5, s5, s16
	s_add_i32 s15, s7, 1
	s_sub_i32 s16, s5, s22
	s_cmp_ge_u32 s5, s22
	s_cselect_b32 s7, s15, s7
	s_cselect_b32 s5, s16, s5
	s_add_i32 s15, s7, 1
	s_cmp_ge_u32 s5, s22
	s_cselect_b32 s18, s15, s7
.LBB54_6:
	s_cmp_eq_u32 s6, s18
	s_waitcnt lgkmcnt(0)
	s_mul_hi_u32 s5, s6, s12
	s_cselect_b64 s[16:17], -1, 0
	s_add_i32 s5, s5, s6
	s_lshr_b32 s7, s5, s13
	s_mul_i32 s5, s7, s14
	s_cmp_eq_u32 s5, s6
	s_mul_hi_u32 s5, s18, s12
	s_cselect_b64 s[20:21], -1, 0
	s_add_i32 s5, s5, s18
	s_lshr_b32 s5, s5, s13
	s_cmp_eq_u32 s7, s5
	s_mul_i32 s5, s5, s14
	s_cselect_b64 s[24:25], -1, 0
	s_cmp_lg_u32 s5, s18
	s_cselect_b64 s[18:19], -1, 0
	s_and_b64 s[18:19], s[24:25], s[18:19]
	s_or_b64 s[16:17], s[16:17], s[20:21]
	s_or_b64 s[16:17], s[16:17], s[18:19]
	s_and_b64 vcc, exec, s[16:17]
	s_cbranch_vccnz .LBB54_23
; %bb.7:
	s_load_dwordx8 s[24:31], s[0:1], 0x20
	s_load_dword s15, s[0:1], 0x40
	s_waitcnt lgkmcnt(0)
	s_mul_hi_u32 s5, s6, s24
	s_add_i32 s5, s5, s6
	s_lshr_b32 s5, s5, s25
	s_mul_i32 s16, s5, s26
	s_sub_i32 s16, s6, s16
	s_mul_hi_u32 s17, s16, s27
	s_add_i32 s17, s16, s17
	s_lshr_b32 s21, s17, s28
	s_mul_i32 s17, s21, s29
	s_sub_i32 s16, s16, s17
	;; [unrolled: 5-line block ×3, first 2 shown]
	s_mul_hi_u32 s16, s15, s12
	s_add_i32 s15, s15, s16
	s_lshr_b32 s23, s15, s13
	s_lshl_b32 s15, s23, 2
	s_add_i32 s15, s15, s3
	s_cmp_lt_i32 s15, s8
	s_cselect_b64 s[16:17], -1, 0
	s_add_i32 s15, s20, s4
	s_cmp_lt_i32 s15, s10
	s_cselect_b64 s[18:19], -1, 0
	s_and_b64 s[16:17], s[16:17], s[18:19]
	s_andn2_b64 vcc, exec, s[16:17]
	s_cbranch_vccnz .LBB54_23
; %bb.8:
	s_load_dwordx4 s[16:19], s[0:1], 0x0
	s_mov_b32 s0, 0
	s_lshl_b32 s24, s22, 4
	s_mov_b32 s25, s0
	s_add_i32 s15, s3, s4
	s_waitcnt lgkmcnt(0)
	v_mov_b32_e32 v2, s16
	v_mov_b32_e32 v3, s17
	s_lshl_b64 s[16:17], s[24:25], 2
	s_add_u32 s16, s18, s16
	s_mul_i32 s1, s5, s8
	s_addc_u32 s17, s19, s17
	s_add_i32 s1, s1, s3
	s_mul_i32 s1, s1, s9
	s_mul_i32 s21, s21, s10
	s_add_i32 s1, s1, s4
	s_add_i32 s1, s1, s21
	s_mul_i32 s5, s9, s23
	s_add_i32 s1, s1, s20
	s_lshl_b32 s5, s5, 10
	s_lshl_b32 s1, s1, 8
	s_add_i32 s5, s5, s1
	v_or_b32_e32 v4, s5, v0
	v_ashrrev_i32_e32 v5, 31, v4
	v_lshl_add_u64 v[2:3], v[4:5], 2, v[2:3]
	global_load_dword v1, v[2:3], off
	v_cvt_f32_u32_e32 v4, s22
	s_lshl_b32 s1, s2, 2
	s_add_i32 s4, s1, s15
	s_ashr_i32 s5, s4, 31
	s_lshl_b64 s[4:5], s[4:5], 3
	v_rcp_iflag_f32_e32 v4, v4
	s_add_u32 s4, s18, s4
	s_addc_u32 s5, s19, s5
	s_load_dwordx2 s[4:5], s[4:5], 0x0
	v_mul_f32_e32 v4, 0x4f7ffffe, v4
	v_cvt_u32_f32_e32 v7, v4
	s_add_i32 s24, s2, -1
	v_lshl_or_b32 v6, s15, 8, v0
	s_waitcnt lgkmcnt(0)
	v_mov_b32_e32 v0, s5
	v_mov_b32_e32 v9, s4
	s_mov_b32 s10, 0x3fb8aa3b
	s_mov_b32 s20, 0xc2ce8ed0
	;; [unrolled: 1-line block ×4, first 2 shown]
	v_mov_b32_e32 v8, 0x7f800000
	s_mul_hi_i32 s1, s24, s11
	s_cmp_lg_u64 s[0:1], 0
	s_mul_i32 s8, s24, s11
	s_cbranch_scc0 .LBB54_19
.LBB54_9:
	s_add_u32 s2, s22, 0
	s_addc_u32 s3, 0, 0
	s_xor_b64 s[2:3], s[2:3], 0
	v_cvt_f32_u32_e32 v4, s2
	v_cvt_f32_u32_e32 v5, s3
	s_sub_u32 s9, 0, s2
	s_subb_u32 s25, 0, s3
	v_fmac_f32_e32 v4, 0x4f800000, v5
	v_rcp_f32_e32 v4, v4
	s_nop 0
	v_mul_f32_e32 v4, 0x5f7ffffc, v4
	v_mul_f32_e32 v5, 0x2f800000, v4
	v_trunc_f32_e32 v5, v5
	v_fmac_f32_e32 v4, 0xcf800000, v5
	v_cvt_u32_f32_e32 v5, v5
	v_cvt_u32_f32_e32 v4, v4
	v_readfirstlane_b32 s26, v5
	v_readfirstlane_b32 s4, v4
	s_mul_i32 s5, s9, s26
	s_mul_hi_u32 s28, s9, s4
	s_mul_i32 s27, s25, s4
	s_add_i32 s5, s28, s5
	s_mul_i32 s29, s9, s4
	s_add_i32 s5, s5, s27
	s_mul_i32 s28, s4, s5
	s_mul_hi_u32 s30, s4, s29
	s_mul_hi_u32 s27, s4, s5
	s_add_u32 s28, s30, s28
	s_addc_u32 s27, 0, s27
	s_mul_hi_u32 s31, s26, s29
	s_mul_i32 s29, s26, s29
	s_add_u32 s28, s28, s29
	s_mul_hi_u32 s30, s26, s5
	s_addc_u32 s27, s27, s31
	s_addc_u32 s28, s30, 0
	s_mul_i32 s5, s26, s5
	s_add_u32 s5, s27, s5
	s_addc_u32 s27, 0, s28
	s_add_u32 s28, s4, s5
	s_cselect_b64 s[4:5], -1, 0
	s_cmp_lg_u64 s[4:5], 0
	s_addc_u32 s26, s26, s27
	s_mul_i32 s4, s9, s26
	s_mul_hi_u32 s5, s9, s28
	s_add_i32 s4, s5, s4
	s_mul_i32 s25, s25, s28
	s_add_i32 s4, s4, s25
	s_mul_i32 s9, s9, s28
	s_mul_hi_u32 s25, s26, s9
	s_mul_i32 s27, s26, s9
	s_mul_i32 s30, s28, s4
	s_mul_hi_u32 s9, s28, s9
	s_mul_hi_u32 s29, s28, s4
	s_add_u32 s9, s9, s30
	s_addc_u32 s29, 0, s29
	s_add_u32 s9, s9, s27
	s_mul_hi_u32 s5, s26, s4
	s_addc_u32 s9, s29, s25
	s_addc_u32 s5, s5, 0
	s_mul_i32 s4, s26, s4
	s_add_u32 s4, s9, s4
	s_addc_u32 s9, 0, s5
	s_add_u32 s25, s28, s4
	s_cselect_b64 s[4:5], -1, 0
	s_cmp_lg_u64 s[4:5], 0
	s_addc_u32 s9, s26, s9
	s_ashr_i32 s4, s1, 31
	s_add_u32 s26, s8, s4
	s_mov_b32 s5, s4
	s_addc_u32 s27, s1, s4
	s_xor_b64 s[26:27], s[26:27], s[4:5]
	s_mul_i32 s28, s26, s9
	s_mul_hi_u32 s29, s26, s25
	s_mul_hi_u32 s1, s26, s9
	s_add_u32 s28, s29, s28
	s_addc_u32 s1, 0, s1
	s_mul_hi_u32 s30, s27, s25
	s_mul_i32 s25, s27, s25
	s_add_u32 s25, s28, s25
	s_mul_hi_u32 s29, s27, s9
	s_addc_u32 s1, s1, s30
	s_addc_u32 s25, s29, 0
	s_mul_i32 s9, s27, s9
	s_add_u32 s1, s1, s9
	s_addc_u32 s9, 0, s25
	s_mul_i32 s25, s2, s9
	s_mul_hi_u32 s28, s2, s1
	s_add_i32 s25, s28, s25
	s_mul_i32 s28, s3, s1
	s_add_i32 s25, s25, s28
	s_sub_i32 s30, s27, s25
	s_mul_i32 s28, s2, s1
	s_sub_u32 s26, s26, s28
	s_cselect_b64 s[28:29], -1, 0
	s_cmp_lg_u64 s[28:29], 0
	s_subb_u32 s33, s30, s3
	s_sub_u32 s34, s26, s2
	s_cselect_b64 s[30:31], -1, 0
	s_cmp_lg_u64 s[30:31], 0
	s_subb_u32 s30, s33, 0
	s_cmp_ge_u32 s30, s3
	s_cselect_b32 s31, -1, 0
	s_cmp_ge_u32 s34, s2
	s_cselect_b32 s33, -1, 0
	s_cmp_eq_u32 s30, s3
	s_cselect_b32 s30, s33, s31
	s_add_u32 s31, s1, 1
	s_addc_u32 s33, s9, 0
	s_add_u32 s34, s1, 2
	s_addc_u32 s35, s9, 0
	s_cmp_lg_u32 s30, 0
	s_cselect_b32 s30, s34, s31
	s_cselect_b32 s31, s35, s33
	s_cmp_lg_u64 s[28:29], 0
	s_subb_u32 s25, s27, s25
	s_cmp_ge_u32 s25, s3
	s_cselect_b32 s27, -1, 0
	s_cmp_ge_u32 s26, s2
	s_cselect_b32 s2, -1, 0
	s_cmp_eq_u32 s25, s3
	s_cselect_b32 s2, s2, s27
	s_cmp_lg_u32 s2, 0
	s_cselect_b32 s3, s31, s9
	s_cselect_b32 s2, s30, s1
	s_xor_b64 s[4:5], s[4:5], 0
	s_xor_b64 s[2:3], s[2:3], s[4:5]
	s_sub_u32 s4, s2, s4
	s_cbranch_execnz .LBB54_11
.LBB54_10:
	s_sub_i32 s1, 0, s22
	v_readfirstlane_b32 s2, v7
	s_mul_i32 s1, s1, s2
	s_mul_hi_u32 s1, s2, s1
	s_add_i32 s2, s2, s1
	s_mul_hi_u32 s1, s8, s2
	s_mul_i32 s3, s1, s22
	s_sub_i32 s3, s8, s3
	s_add_i32 s2, s1, 1
	s_sub_i32 s4, s3, s22
	s_cmp_ge_u32 s3, s22
	s_cselect_b32 s1, s2, s1
	s_cselect_b32 s3, s4, s3
	s_add_i32 s2, s1, 1
	s_cmp_ge_u32 s3, s22
	s_cselect_b32 s4, s2, s1
.LBB54_11:
	s_cmp_lg_u32 s6, s4
	s_cbranch_scc0 .LBB54_15
; %bb.12:
	s_add_i32 s1, s24, s22
	s_lshl_b32 s1, s1, 2
	s_add_i32 s2, s1, s15
	s_mov_b32 s3, s0
	s_lshl_b64 s[2:3], s[2:3], 3
	s_add_u32 s8, s18, s2
	s_mul_hi_u32 s1, s4, s12
	s_addc_u32 s9, s19, s3
	s_add_i32 s1, s1, s4
	s_lshr_b32 s1, s1, s13
	s_mul_i32 s2, s1, s14
	s_cmp_eq_u32 s2, s4
	s_cselect_b64 s[2:3], -1, 0
	s_cmp_lt_u32 s1, s7
	s_cselect_b64 s[26:27], -1, 0
	s_or_b64 s[26:27], s[26:27], s[2:3]
	s_mov_b64 s[2:3], -1
	s_and_b64 vcc, exec, s[26:27]
	s_mov_b32 s1, s24
	s_mov_b32 s25, s6
	s_cbranch_vccnz .LBB54_14
; %bb.13:
	s_add_i32 s1, s24, -1
	s_mov_b64 s[2:3], 0
	s_mov_b32 s25, s4
.LBB54_14:
	v_lshl_add_u32 v4, s24, 10, v6
	v_ashrrev_i32_e32 v5, 31, v4
	v_lshl_add_u64 v[4:5], v[4:5], 2, s[16:17]
	global_load_dword v5, v[4:5], off
	s_load_dwordx2 s[4:5], s[8:9], 0x0
	v_max_f32_e32 v4, v9, v9
	s_waitcnt lgkmcnt(0)
	v_max_f32_e64 v10, s4, s4
	v_max_f32_e32 v10, v4, v10
	v_sub_f32_e32 v11, v9, v10
	v_sub_f32_e32 v13, s4, v10
	v_mul_f32_e32 v4, 0x3fb8aa3b, v11
	v_mul_f32_e32 v12, 0x3fb8aa3b, v13
	v_fma_f32 v14, v11, s10, -v4
	v_rndne_f32_e32 v15, v4
	v_fma_f32 v16, v13, s10, -v12
	v_rndne_f32_e32 v17, v12
	v_fmac_f32_e32 v14, 0x32a5705f, v11
	v_sub_f32_e32 v4, v4, v15
	v_fmac_f32_e32 v16, 0x32a5705f, v13
	v_sub_f32_e32 v12, v12, v17
	v_add_f32_e32 v4, v4, v14
	v_cvt_i32_f32_e32 v15, v15
	v_add_f32_e32 v12, v12, v16
	v_exp_f32_e32 v14, v4
	v_cvt_i32_f32_e32 v17, v17
	v_exp_f32_e32 v12, v12
	v_cmp_ngt_f32_e32 vcc, s20, v11
	v_ldexp_f32 v14, v14, v15
	v_mov_b32_e32 v4, s5
	v_ldexp_f32 v12, v12, v17
	v_cndmask_b32_e32 v14, 0, v14, vcc
	v_cmp_ngt_f32_e32 vcc, s20, v13
	s_nop 1
	v_cndmask_b32_e32 v12, 0, v12, vcc
	v_cmp_nlt_f32_e32 vcc, s21, v11
	s_nop 1
	v_cndmask_b32_e32 v14, v8, v14, vcc
	v_cmp_nlt_f32_e32 vcc, s21, v13
	s_nop 1
	v_cndmask_b32_e32 v15, v8, v12, vcc
	v_cmp_le_f32_e32 vcc, s23, v11
	s_nop 1
	v_cndmask_b32_e32 v12, 0, v14, vcc
	v_cmp_le_f32_e32 vcc, s23, v13
	s_nop 1
	v_cndmask_b32_e32 v14, 0, v15, vcc
	s_waitcnt vmcnt(0)
	v_pk_mul_f32 v[4:5], v[4:5], v[14:15] op_sel_hi:[1,0]
	s_nop 0
	v_pk_fma_f32 v[4:5], v[0:1], v[12:13], v[4:5] op_sel_hi:[1,0,1]
	s_cbranch_execz .LBB54_16
	s_branch .LBB54_17
.LBB54_15:
                                        ; implicit-def: $vgpr4_vgpr5
                                        ; implicit-def: $sgpr2_sgpr3
                                        ; implicit-def: $vgpr10
                                        ; implicit-def: $sgpr1
                                        ; implicit-def: $sgpr25
.LBB54_16:
	s_add_i32 s1, s24, -1
	s_mov_b64 s[2:3], 0
	s_mov_b32 s25, s6
	v_mov_b32_e32 v10, v9
	s_waitcnt vmcnt(0)
	v_mov_b64_e32 v[4:5], v[0:1]
.LBB54_17:
	s_andn2_b64 vcc, exec, s[2:3]
	s_cbranch_vccz .LBB54_22
; %bb.18:
	s_mov_b32 s6, s25
	s_mov_b32 s24, s1
	v_mov_b32_e32 v9, v10
	s_waitcnt vmcnt(0)
	v_mov_b64_e32 v[0:1], v[4:5]
	s_mul_hi_i32 s1, s24, s11
	s_cmp_lg_u64 s[0:1], 0
	s_mul_i32 s8, s24, s11
	s_cbranch_scc1 .LBB54_9
.LBB54_19:
                                        ; implicit-def: $sgpr4_sgpr5
	s_branch .LBB54_10
.LBB54_20:
                                        ; implicit-def: $sgpr6_sgpr7
	s_load_dwordx4 s[12:15], s[0:1], 0x44
	s_branch .LBB54_2
.LBB54_21:
                                        ; implicit-def: $sgpr18_sgpr19
	s_branch .LBB54_5
.LBB54_22:
	v_div_scale_f32 v0, s[0:1], v4, v4, v5
	s_waitcnt vmcnt(0)
	v_rcp_f32_e32 v1, v0
	v_div_scale_f32 v6, vcc, v5, v4, v5
	v_fma_f32 v7, -v0, v1, 1.0
	v_fmac_f32_e32 v1, v7, v1
	v_mul_f32_e32 v7, v6, v1
	v_fma_f32 v8, -v0, v7, v6
	v_fmac_f32_e32 v7, v8, v1
	v_fma_f32 v0, -v0, v7, v6
	v_div_fmas_f32 v0, v0, v1, v7
	v_div_fixup_f32 v0, v0, v4, v5
	global_store_dword v[2:3], v0, off
.LBB54_23:
	s_endpgm
	.section	.rodata,"a",@progbits
	.p2align	6, 0x0
	.amdhsa_kernel _ZL33flash_attn_stream_k_fixup_generalILi256ELi4ELi1EEvPfPK15HIP_vector_typeIfLj2EEiiiiS1_IjLj3EES5_S5_S5_
		.amdhsa_group_segment_fixed_size 0
		.amdhsa_private_segment_fixed_size 0
		.amdhsa_kernarg_size 336
		.amdhsa_user_sgpr_count 2
		.amdhsa_user_sgpr_dispatch_ptr 0
		.amdhsa_user_sgpr_queue_ptr 0
		.amdhsa_user_sgpr_kernarg_segment_ptr 1
		.amdhsa_user_sgpr_dispatch_id 0
		.amdhsa_user_sgpr_kernarg_preload_length 0
		.amdhsa_user_sgpr_kernarg_preload_offset 0
		.amdhsa_user_sgpr_private_segment_size 0
		.amdhsa_uses_dynamic_stack 0
		.amdhsa_enable_private_segment 0
		.amdhsa_system_sgpr_workgroup_id_x 1
		.amdhsa_system_sgpr_workgroup_id_y 1
		.amdhsa_system_sgpr_workgroup_id_z 1
		.amdhsa_system_sgpr_workgroup_info 0
		.amdhsa_system_vgpr_workitem_id 0
		.amdhsa_next_free_vgpr 18
		.amdhsa_next_free_sgpr 36
		.amdhsa_accum_offset 20
		.amdhsa_reserve_vcc 1
		.amdhsa_float_round_mode_32 0
		.amdhsa_float_round_mode_16_64 0
		.amdhsa_float_denorm_mode_32 3
		.amdhsa_float_denorm_mode_16_64 3
		.amdhsa_dx10_clamp 1
		.amdhsa_ieee_mode 1
		.amdhsa_fp16_overflow 0
		.amdhsa_tg_split 0
		.amdhsa_exception_fp_ieee_invalid_op 0
		.amdhsa_exception_fp_denorm_src 0
		.amdhsa_exception_fp_ieee_div_zero 0
		.amdhsa_exception_fp_ieee_overflow 0
		.amdhsa_exception_fp_ieee_underflow 0
		.amdhsa_exception_fp_ieee_inexact 0
		.amdhsa_exception_int_div_zero 0
	.end_amdhsa_kernel
	.section	.text._ZL33flash_attn_stream_k_fixup_generalILi256ELi4ELi1EEvPfPK15HIP_vector_typeIfLj2EEiiiiS1_IjLj3EES5_S5_S5_,"axG",@progbits,_ZL33flash_attn_stream_k_fixup_generalILi256ELi4ELi1EEvPfPK15HIP_vector_typeIfLj2EEiiiiS1_IjLj3EES5_S5_S5_,comdat
.Lfunc_end54:
	.size	_ZL33flash_attn_stream_k_fixup_generalILi256ELi4ELi1EEvPfPK15HIP_vector_typeIfLj2EEiiiiS1_IjLj3EES5_S5_S5_, .Lfunc_end54-_ZL33flash_attn_stream_k_fixup_generalILi256ELi4ELi1EEvPfPK15HIP_vector_typeIfLj2EEiiiiS1_IjLj3EES5_S5_S5_
                                        ; -- End function
	.set _ZL33flash_attn_stream_k_fixup_generalILi256ELi4ELi1EEvPfPK15HIP_vector_typeIfLj2EEiiiiS1_IjLj3EES5_S5_S5_.num_vgpr, 18
	.set _ZL33flash_attn_stream_k_fixup_generalILi256ELi4ELi1EEvPfPK15HIP_vector_typeIfLj2EEiiiiS1_IjLj3EES5_S5_S5_.num_agpr, 0
	.set _ZL33flash_attn_stream_k_fixup_generalILi256ELi4ELi1EEvPfPK15HIP_vector_typeIfLj2EEiiiiS1_IjLj3EES5_S5_S5_.numbered_sgpr, 36
	.set _ZL33flash_attn_stream_k_fixup_generalILi256ELi4ELi1EEvPfPK15HIP_vector_typeIfLj2EEiiiiS1_IjLj3EES5_S5_S5_.num_named_barrier, 0
	.set _ZL33flash_attn_stream_k_fixup_generalILi256ELi4ELi1EEvPfPK15HIP_vector_typeIfLj2EEiiiiS1_IjLj3EES5_S5_S5_.private_seg_size, 0
	.set _ZL33flash_attn_stream_k_fixup_generalILi256ELi4ELi1EEvPfPK15HIP_vector_typeIfLj2EEiiiiS1_IjLj3EES5_S5_S5_.uses_vcc, 1
	.set _ZL33flash_attn_stream_k_fixup_generalILi256ELi4ELi1EEvPfPK15HIP_vector_typeIfLj2EEiiiiS1_IjLj3EES5_S5_S5_.uses_flat_scratch, 0
	.set _ZL33flash_attn_stream_k_fixup_generalILi256ELi4ELi1EEvPfPK15HIP_vector_typeIfLj2EEiiiiS1_IjLj3EES5_S5_S5_.has_dyn_sized_stack, 0
	.set _ZL33flash_attn_stream_k_fixup_generalILi256ELi4ELi1EEvPfPK15HIP_vector_typeIfLj2EEiiiiS1_IjLj3EES5_S5_S5_.has_recursion, 0
	.set _ZL33flash_attn_stream_k_fixup_generalILi256ELi4ELi1EEvPfPK15HIP_vector_typeIfLj2EEiiiiS1_IjLj3EES5_S5_S5_.has_indirect_call, 0
	.section	.AMDGPU.csdata,"",@progbits
; Kernel info:
; codeLenInByte = 2932
; TotalNumSgprs: 42
; NumVgprs: 18
; NumAgprs: 0
; TotalNumVgprs: 18
; ScratchSize: 0
; MemoryBound: 0
; FloatMode: 240
; IeeeMode: 1
; LDSByteSize: 0 bytes/workgroup (compile time only)
; SGPRBlocks: 5
; VGPRBlocks: 2
; NumSGPRsForWavesPerEU: 42
; NumVGPRsForWavesPerEU: 18
; AccumOffset: 20
; Occupancy: 8
; WaveLimiterHint : 0
; COMPUTE_PGM_RSRC2:SCRATCH_EN: 0
; COMPUTE_PGM_RSRC2:USER_SGPR: 2
; COMPUTE_PGM_RSRC2:TRAP_HANDLER: 0
; COMPUTE_PGM_RSRC2:TGID_X_EN: 1
; COMPUTE_PGM_RSRC2:TGID_Y_EN: 1
; COMPUTE_PGM_RSRC2:TGID_Z_EN: 1
; COMPUTE_PGM_RSRC2:TIDIG_COMP_CNT: 0
; COMPUTE_PGM_RSRC3_GFX90A:ACCUM_OFFSET: 4
; COMPUTE_PGM_RSRC3_GFX90A:TG_SPLIT: 0
	.section	.text._ZL15flash_attn_tileILi256ELi256ELi2ELi1ELb0EEvPKcS1_S1_S1_S1_PKiPfP15HIP_vector_typeIfLj2EEffffjfiS5_IjLj3EEiiiiiiiiiiiliiliiiiil,"axG",@progbits,_ZL15flash_attn_tileILi256ELi256ELi2ELi1ELb0EEvPKcS1_S1_S1_S1_PKiPfP15HIP_vector_typeIfLj2EEffffjfiS5_IjLj3EEiiiiiiiiiiiliiliiiiil,comdat
	.globl	_ZL15flash_attn_tileILi256ELi256ELi2ELi1ELb0EEvPKcS1_S1_S1_S1_PKiPfP15HIP_vector_typeIfLj2EEffffjfiS5_IjLj3EEiiiiiiiiiiiliiliiiiil ; -- Begin function _ZL15flash_attn_tileILi256ELi256ELi2ELi1ELb0EEvPKcS1_S1_S1_S1_PKiPfP15HIP_vector_typeIfLj2EEffffjfiS5_IjLj3EEiiiiiiiiiiiliiliiiiil
	.p2align	8
	.type	_ZL15flash_attn_tileILi256ELi256ELi2ELi1ELb0EEvPKcS1_S1_S1_S1_PKiPfP15HIP_vector_typeIfLj2EEffffjfiS5_IjLj3EEiiiiiiiiiiiliiliiiiil,@function
_ZL15flash_attn_tileILi256ELi256ELi2ELi1ELb0EEvPKcS1_S1_S1_S1_PKiPfP15HIP_vector_typeIfLj2EEffffjfiS5_IjLj3EEiiiiiiiiiiiliiliiiiil: ; @_ZL15flash_attn_tileILi256ELi256ELi2ELi1ELb0EEvPKcS1_S1_S1_S1_PKiPfP15HIP_vector_typeIfLj2EEffffjfiS5_IjLj3EEiiiiiiiiiiiliiliiiiil
; %bb.0:
	s_load_dwordx4 s[24:27], s[0:1], 0x5c
	s_load_dwordx2 s[38:39], s[0:1], 0x80
	s_load_dwordx2 s[40:41], s[0:1], 0xb8
	s_mov_b64 s[36:37], 0
	s_waitcnt lgkmcnt(0)
	v_cvt_f32_u32_e32 v1, s27
	s_sub_i32 s5, 0, s27
	v_rcp_iflag_f32_e32 v1, v1
	s_nop 0
	v_mul_f32_e32 v1, 0x4f7ffffe, v1
	v_cvt_u32_f32_e32 v1, v1
	s_nop 0
	v_readfirstlane_b32 s6, v1
	s_mul_i32 s5, s5, s6
	s_mul_hi_u32 s5, s6, s5
	s_add_i32 s6, s6, s5
	s_mul_hi_u32 s5, s4, s6
	s_mul_i32 s6, s5, s27
	s_sub_i32 s6, s4, s6
	s_add_i32 s7, s5, 1
	s_sub_i32 s8, s6, s27
	s_cmp_ge_u32 s6, s27
	s_cselect_b32 s5, s7, s5
	s_cselect_b32 s6, s8, s6
	s_add_i32 s7, s5, 1
	s_cmp_ge_u32 s6, s27
	s_cselect_b32 s33, s7, s5
	s_abs_i32 s5, s39
	v_cvt_f32_u32_e32 v1, s5
	s_mul_i32 s8, s33, s27
	s_sub_i32 s9, 0, s5
	s_sub_i32 s34, s4, s8
	v_rcp_iflag_f32_e32 v1, v1
	s_abs_i32 s7, s27
	s_xor_b32 s6, s27, s39
	s_ashr_i32 s6, s6, 31
	v_mul_f32_e32 v1, 0x4f7ffffe, v1
	v_cvt_u32_f32_e32 v1, v1
	s_nop 0
	v_readfirstlane_b32 s4, v1
	s_mul_i32 s9, s9, s4
	s_mul_hi_u32 s8, s4, s9
	s_add_i32 s4, s4, s8
	s_mul_hi_u32 s4, s7, s4
	s_mul_i32 s8, s4, s5
	s_sub_i32 s7, s7, s8
	s_add_i32 s9, s4, 1
	s_sub_i32 s8, s7, s5
	s_cmp_ge_u32 s7, s5
	s_cselect_b32 s4, s9, s4
	s_cselect_b32 s7, s8, s7
	s_add_i32 s8, s4, 1
	s_cmp_ge_u32 s7, s5
	s_cselect_b32 s4, s8, s4
	s_xor_b32 s4, s4, s6
	s_sub_i32 s42, s4, s6
	s_abs_i32 s39, s42
	v_cvt_f32_u32_e32 v1, s39
	s_load_dwordx16 s[8:23], s[0:1], 0x0
	s_sub_i32 s5, 0, s39
	v_rcp_iflag_f32_e32 v1, v1
	s_waitcnt lgkmcnt(0)
	s_cmp_eq_u64 s[14:15], 0
	v_mul_f32_e32 v1, 0x4f7ffffe, v1
	v_cvt_u32_f32_e32 v1, v1
	s_nop 0
	v_readfirstlane_b32 s4, v1
	s_mul_i32 s5, s5, s4
	s_mul_hi_u32 s5, s4, s5
	s_cbranch_scc1 .LBB55_2
; %bb.1:
	s_abs_i32 s28, s40
	v_cvt_f32_u32_e32 v1, s28
	s_sub_i32 s31, 0, s28
	s_abs_i32 s30, s33
	s_ashr_i32 s29, s33, 31
	v_rcp_iflag_f32_e32 v1, v1
	s_load_dwordx2 s[6:7], s[0:1], 0xc8
	v_mul_f32_e32 v1, 0x4f7ffffe, v1
	v_cvt_u32_f32_e32 v1, v1
	s_nop 0
	v_readfirstlane_b32 s35, v1
	s_mul_i32 s31, s31, s35
	s_mul_hi_u32 s31, s35, s31
	s_add_i32 s35, s35, s31
	s_mul_hi_u32 s31, s30, s35
	s_mul_i32 s31, s31, s28
	s_sub_i32 s30, s30, s31
	s_sub_i32 s31, s30, s28
	s_cmp_ge_u32 s30, s28
	s_cselect_b32 s30, s31, s30
	s_sub_i32 s31, s30, s28
	s_cmp_ge_u32 s30, s28
	s_cselect_b32 s28, s31, s30
	s_xor_b32 s28, s28, s29
	s_sub_i32 s28, s28, s29
	s_ashr_i32 s29, s28, 31
	s_waitcnt lgkmcnt(0)
	s_mul_hi_u32 s30, s6, s28
	s_mul_i32 s29, s6, s29
	s_mul_i32 s7, s7, s28
	s_add_i32 s29, s30, s29
	s_add_i32 s29, s29, s7
	s_mul_i32 s6, s6, s28
	s_add_u32 s36, s14, s6
	s_addc_u32 s37, s15, s29
.LBB55_2:
	s_load_dwordx4 s[28:31], s[0:1], 0x40
	s_add_i32 s15, s4, s5
	s_load_dword s4, s[0:1], 0x50
	s_abs_i32 s14, s34
	v_mov_b32_e32 v64, 1.0
	s_waitcnt lgkmcnt(0)
	v_cmp_le_f32_e64 s[6:7], s29, 0
	s_and_b64 vcc, exec, s[6:7]
	s_cbranch_vccnz .LBB55_4
; %bb.3:
	v_mov_b32_e32 v1, s4
	v_sub_co_u32_e32 v1, vcc, s34, v1
	v_mov_b32_e32 v2, s31
	v_mov_b32_e32 v3, s30
	s_add_i32 s4, s34, 1
	v_lshlrev_b32_e32 v1, 1, v1
	v_cndmask_b32_e32 v2, v2, v3, vcc
	v_or_b32_e32 v1, 1, v1
	v_mov_b32_e32 v3, s4
	v_cndmask_b32_e32 v1, v1, v3, vcc
	v_cvt_f32_i32_e32 v1, v1
	v_cmp_neq_f32_e32 vcc, 1.0, v2
	s_mov_b32 s4, 0x3f2aaaab
	s_movk_i32 s6, 0x204
	v_cndmask_b32_e32 v1, 1.0, v1, vcc
	v_cmp_neq_f32_e32 vcc, 0, v1
	s_mov_b32 s5, 0x42b17218
	s_mov_b32 s7, 0x3fb8aa3b
	v_cndmask_b32_e32 v18, 1.0, v2, vcc
	v_frexp_mant_f32_e64 v2, |v18|
	v_cmp_gt_f32_e32 vcc, s4, v2
	s_mov_b32 s4, 0x3f317218
	s_brev_b32 s35, -2
	v_cndmask_b32_e64 v3, 1.0, 2.0, vcc
	v_mul_f32_e32 v2, v2, v3
	v_add_f32_e32 v5, 1.0, v2
	v_rcp_f32_e32 v10, v5
	v_add_f32_e32 v3, -1.0, v5
	v_sub_f32_e32 v7, v2, v3
	v_add_f32_e32 v3, -1.0, v2
	v_mul_f32_e32 v11, v3, v10
	v_mul_f32_e32 v4, v5, v11
	v_fma_f32 v6, v11, v5, -v4
	v_fmac_f32_e32 v6, v11, v7
	v_add_f32_e32 v2, v4, v6
	v_sub_f32_e32 v5, v3, v2
	v_pk_add_f32 v[8:9], v[2:3], v[4:5] neg_lo:[0,1] neg_hi:[0,1]
	v_mov_b32_e32 v7, v2
	v_pk_add_f32 v[2:3], v[8:9], v[6:7] neg_lo:[0,1] neg_hi:[0,1]
	v_mov_b32_e32 v6, 0x3e91f4c4
	v_add_f32_e32 v2, v2, v3
	v_add_f32_e32 v2, v5, v2
	v_mul_f32_e32 v3, v10, v2
	v_add_f32_e32 v2, v11, v3
	v_sub_f32_e32 v4, v2, v11
	v_sub_f32_e32 v12, v3, v4
	v_mul_f32_e32 v3, v2, v2
	v_fma_f32 v5, v2, v2, -v3
	v_add_f32_e32 v4, v12, v12
	v_fmac_f32_e32 v5, v2, v4
	v_add_f32_e32 v4, v3, v5
	v_fmac_f32_e32 v6, 0x3e76c4e1, v4
	v_fmaak_f32 v6, v4, v6, 0x3ecccdef
	v_sub_f32_e32 v3, v4, v3
	v_sub_f32_e32 v13, v5, v3
	v_mul_f32_e32 v3, v4, v6
	v_fma_f32 v5, v4, v6, -v3
	v_fmac_f32_e32 v5, v13, v6
	v_add_f32_e32 v6, v3, v5
	v_add_f32_e32 v7, 0x3f2aaaaa, v6
	v_sub_f32_e32 v3, v6, v3
	v_sub_f32_e32 v3, v5, v3
	v_add_f32_e32 v5, 0xbf2aaaaa, v7
	v_add_f32_e32 v3, 0x31739010, v3
	v_sub_f32_e32 v5, v6, v5
	v_pk_mul_f32 v[8:9], v[2:3], v[4:5]
	v_pk_add_f32 v[10:11], v[2:3], v[4:5]
	v_fma_f32 v6, v4, v2, -v8
	v_fmac_f32_e32 v6, v4, v12
	v_mov_b32_e32 v9, v11
	v_fmac_f32_e32 v6, v13, v2
	v_pk_add_f32 v[4:5], v[8:9], v[6:7]
	v_ldexp_f32 v14, v12, 1
	v_sub_f32_e32 v3, v4, v8
	v_sub_f32_e32 v3, v6, v3
	;; [unrolled: 1-line block ×3, first 2 shown]
	v_add_f32_e32 v9, v11, v6
	v_pk_mul_f32 v[6:7], v[4:5], v[4:5] op_sel:[0,1] op_sel_hi:[1,0]
	v_cvt_f64_f32_e64 v[10:11], |v18|
	v_frexp_exp_i32_f64_e32 v7, v[10:11]
	v_subbrev_co_u32_e32 v7, vcc, 0, v7, vcc
	v_cvt_f32_i32_e32 v7, v7
	v_fma_f32 v8, v4, v5, -v6
	v_fmac_f32_e32 v8, v4, v9
	v_fmac_f32_e32 v8, v3, v5
	v_mul_f32_e32 v4, 0x3f317218, v7
	v_fma_f32 v3, v7, s4, -v4
	v_fmamk_f32 v10, v7, 0xb102e308, v3
	v_ldexp_f32 v11, v2, 1
	v_add_f32_e32 v5, v6, v8
	v_pk_add_f32 v[2:3], v[4:5], v[10:11]
	v_mov_b32_e32 v12, v5
	v_mov_b32_e32 v13, v3
	;; [unrolled: 1-line block ×3, first 2 shown]
	v_pk_add_f32 v[6:7], v[12:13], v[6:7] neg_lo:[0,1] neg_hi:[0,1]
	v_mov_b32_e32 v9, v5
	v_pk_add_f32 v[6:7], v[8:9], v[6:7] neg_lo:[0,1] neg_hi:[0,1]
	v_mov_b32_e32 v11, v2
	v_add_f32_e32 v5, v14, v6
	v_add_f32_e32 v5, v5, v7
	v_pk_add_f32 v[6:7], v[2:3], v[4:5] neg_lo:[0,1] neg_hi:[0,1]
	v_pk_add_f32 v[8:9], v[2:3], v[4:5]
	v_mov_b32_e32 v16, v3
	v_mov_b32_e32 v7, v9
	v_pk_add_f32 v[12:13], v[10:11], v[6:7] neg_lo:[0,1] neg_hi:[0,1]
	v_pk_add_f32 v[6:7], v[10:11], v[6:7]
	v_mov_b32_e32 v4, v5
	v_pk_add_f32 v[10:11], v[6:7], v[2:3] op_sel:[1,0] op_sel_hi:[0,1] neg_lo:[0,1] neg_hi:[0,1]
	v_pk_add_f32 v[14:15], v[8:9], v[10:11] op_sel_hi:[1,0] neg_lo:[0,1] neg_hi:[0,1]
	v_mov_b32_e32 v8, v9
	v_mov_b32_e32 v9, v7
	;; [unrolled: 1-line block ×3, first 2 shown]
	v_pk_add_f32 v[8:9], v[8:9], v[16:17] neg_lo:[0,1] neg_hi:[0,1]
	v_mov_b32_e32 v5, v2
	v_pk_add_f32 v[2:3], v[4:5], v[8:9] neg_lo:[0,1] neg_hi:[0,1]
	v_mov_b32_e32 v14, v12
	v_pk_add_f32 v[4:5], v[14:15], v[2:3]
	v_mov_b32_e32 v13, v7
	v_pk_add_f32 v[8:9], v[4:5], v[4:5] op_sel:[0,1] op_sel_hi:[1,0]
	s_mov_b32 s4, 0x7f800000
	v_pk_add_f32 v[6:7], v[6:7], v[8:9] op_sel:[1,0] op_sel_hi:[0,1]
	v_mov_b32_e32 v5, v6
	v_pk_add_f32 v[10:11], v[4:5], v[12:13] neg_lo:[0,1] neg_hi:[0,1]
	v_mov_b32_e32 v3, v8
	v_sub_f32_e32 v4, v4, v10
	v_pk_add_f32 v[2:3], v[2:3], v[10:11] neg_lo:[0,1] neg_hi:[0,1]
	v_sub_f32_e32 v4, v12, v4
	v_add_f32_e32 v2, v2, v4
	v_add_f32_e32 v2, v2, v3
	;; [unrolled: 1-line block ×3, first 2 shown]
	v_sub_f32_e32 v4, v3, v6
	v_sub_f32_e32 v2, v2, v4
	v_mul_f32_e32 v4, v1, v3
	v_fma_f32 v3, v1, v3, -v4
	v_fmac_f32_e32 v3, v1, v2
	v_add_f32_e32 v2, v4, v3
	v_cmp_class_f32_e64 vcc, v4, s6
	v_sub_f32_e32 v5, v2, v4
	v_sub_f32_e32 v3, v3, v5
	v_cndmask_b32_e32 v2, v2, v4, vcc
	v_mov_b32_e32 v4, 0x37000000
	v_cmp_eq_f32_e32 vcc, s5, v2
	v_cmp_class_f32_e64 s[30:31], v18, s6
	s_nop 0
	v_cndmask_b32_e32 v4, 0, v4, vcc
	v_sub_f32_e32 v5, v2, v4
	v_mul_f32_e32 v6, 0x3fb8aa3b, v5
	v_fma_f32 v7, v5, s7, -v6
	v_rndne_f32_e32 v8, v6
	v_fmamk_f32 v7, v5, 0x32a5705f, v7
	v_sub_f32_e32 v6, v6, v8
	v_add_f32_e32 v6, v6, v7
	v_exp_f32_e32 v6, v6
	v_cvt_i32_f32_e32 v7, v8
	v_cmp_neq_f32_e64 vcc, |v2|, s4
	s_mov_b32 s4, 0xc2ce8ed0
	s_nop 0
	v_cndmask_b32_e32 v2, 0, v3, vcc
	v_ldexp_f32 v3, v6, v7
	v_cmp_ngt_f32_e32 vcc, s4, v5
	v_add_f32_e32 v2, v4, v2
	v_mov_b32_e32 v4, 0x7f800000
	v_cndmask_b32_e32 v3, 0, v3, vcc
	v_cmp_nlt_f32_e32 vcc, s5, v5
	v_mov_b32_e32 v5, 0x7fc00000
	s_nop 0
	v_cndmask_b32_e32 v3, v4, v3, vcc
	v_fma_f32 v2, v3, v2, v3
	v_cmp_class_f32_e64 vcc, v3, s6
	v_cmp_gt_f32_e64 s[6:7], 0, v1
	s_nop 0
	v_cndmask_b32_e32 v2, v2, v3, vcc
	v_trunc_f32_e32 v3, v1
	v_cmp_eq_f32_e32 vcc, v3, v1
	v_mul_f32_e32 v3, 0.5, v1
	v_trunc_f32_e32 v6, v3
	v_cmp_neq_f32_e64 s[4:5], v6, v3
	s_and_b64 s[4:5], vcc, s[4:5]
	s_nop 0
	v_cndmask_b32_e64 v3, 1.0, v18, s[4:5]
	v_bfi_b32 v2, s35, v2, v3
	v_cndmask_b32_e32 v3, v5, v2, vcc
	v_cmp_gt_f32_e32 vcc, 0, v18
	s_nop 1
	v_cndmask_b32_e32 v2, v2, v3, vcc
	v_cmp_eq_f32_e32 vcc, 0, v18
	s_xor_b64 s[6:7], s[6:7], vcc
	v_cndmask_b32_e64 v1, v4, 0, s[6:7]
	v_cndmask_b32_e64 v3, 0, v18, s[4:5]
	v_bfi_b32 v1, s35, v1, v3
	s_or_b64 vcc, vcc, s[30:31]
	v_cndmask_b32_e32 v1, v2, v1, vcc
	v_cmp_o_f32_e32 vcc, v18, v18
	s_nop 1
	v_cndmask_b32_e32 v64, v5, v1, vcc
.LBB55_4:
	v_bfe_u32 v60, v0, 10, 10
	v_lshlrev_b32_e32 v2, 7, v60
	v_and_b32_e32 v29, 0x3ff, v0
	v_lshrrev_b32_e32 v1, 10, v0
	v_and_b32_e32 v2, 0x180, v2
	v_lshlrev_b32_e32 v28, 2, v29
	s_lshl_b32 s4, s2, 1
	v_bfe_u32 v1, v1, 2, 8
	v_add_u32_e32 v0, v2, v28
	s_movk_i32 s5, 0x100
	s_mul_hi_u32 s6, s14, s15
	v_cmp_gt_u32_e32 vcc, s5, v0
	v_lshlrev_b32_e32 v63, 3, v29
	v_add_u32_e32 v37, s4, v1
	v_lshlrev_b32_e32 v30, 2, v28
	s_and_saveexec_b64 s[4:5], vcc
	s_cbranch_execz .LBB55_6
; %bb.5:
	s_load_dwordx4 s[44:47], s[0:1], 0x70
	v_mul_hi_u32 v0, s24, v37
	v_add_u32_e32 v0, v37, v0
	v_lshrrev_b32_e32 v0, s25, v0
	v_mul_lo_u32 v0, v0, s26
	s_waitcnt lgkmcnt(0)
	s_mul_i32 s7, s33, s46
	s_ashr_i32 s30, s7, 31
	s_mul_i32 s15, s34, s45
	s_add_u32 s7, s8, s7
	s_addc_u32 s9, s9, s30
	s_ashr_i32 s30, s15, 31
	s_add_u32 s8, s7, s15
	s_addc_u32 s9, s9, s30
	s_ashr_i32 s45, s44, 31
	s_lshr_b64 s[30:31], s[44:45], 2
	v_sub_u32_e32 v3, v37, v0
	v_mad_u64_u32 v[4:5], s[30:31], s30, v3, 0
	v_mov_b32_e32 v0, v5
	s_lshr_b32 s7, s45, 2
	v_mad_u64_u32 v[6:7], s[30:31], s7, v3, v[0:1]
	v_mov_b32_e32 v5, v6
	v_lshl_add_u64 v[4:5], v[4:5], 2, s[8:9]
	v_lshlrev_b32_e32 v2, 2, v2
	v_mov_b32_e32 v3, 0
	v_lshl_add_u64 v[4:5], v[4:5], 0, v[2:3]
	v_mov_b32_e32 v31, v3
	v_lshl_add_u64 v[2:3], v[4:5], 0, v[30:31]
	global_load_dwordx4 v[2:5], v[2:3], off
	v_lshlrev_b32_e32 v0, 9, v1
	v_lshlrev_b32_e32 v1, 8, v60
	v_and_b32_e32 v1, 0x300, v1
	v_add3_u32 v6, v0, v1, v63
	s_waitcnt vmcnt(0)
	v_fma_mixlo_f16 v0, s28, v2, 0
	v_fma_mixlo_f16 v1, s28, v4, 0
	v_mov_b32_e32 v2, v5
	v_and_b32_e32 v4, 0xffff, v0
	v_and_b32_e32 v5, 0xffff, v1
	v_pk_mul_f32 v[0:1], s[28:29], v[2:3] op_sel_hi:[0,1]
	v_cvt_pk_f16_f32 v0, v0, v1
	v_lshlrev_b32_e32 v1, 16, v0
	v_and_b32_e32 v0, 0xffff0000, v0
	v_or_b32_e32 v0, v0, v4
	v_or3_b32 v1, v1, v5, 0
	v_or3_b32 v0, 0, 0, v0
	ds_write_b64 v6, v[0:1] offset:18432
.LBB55_6:
	s_or_b64 exec, exec, s[4:5]
	s_ashr_i32 s35, s34, 31
	s_ashr_i32 s4, s42, 31
	s_cmp_eq_u64 s[18:19], 0
	s_waitcnt lgkmcnt(0)
	s_barrier
	s_cbranch_scc1 .LBB55_8
; %bb.7:
	s_load_dword s5, s[0:1], 0xd0
	s_mov_b32 s9, 0
	s_waitcnt lgkmcnt(0)
	s_mul_i32 s5, s5, s33
	s_add_i32 s8, s5, s2
	s_lshl_b64 s[8:9], s[8:9], 2
	s_add_u32 s8, s18, s8
	s_addc_u32 s9, s19, s9
	s_load_dword s38, s[8:9], 0x0
.LBB55_8:
	s_nop 0
	s_load_dwordx2 s[8:9], s[0:1], 0x8c
	s_load_dwordx4 s[44:47], s[0:1], 0x98
	s_load_dwordx2 s[18:19], s[0:1], 0xa8
	s_ashr_i32 s5, s33, 31
	s_ashr_i32 s29, s41, 1
	s_waitcnt lgkmcnt(0)
	s_ashr_i32 s30, s8, 2
	s_mul_hi_u32 s7, s44, s33
	s_mul_i32 s8, s44, s5
	s_add_i32 s7, s7, s8
	s_mul_i32 s8, s45, s33
	s_ashr_i32 s2, s46, 2
	s_add_i32 s7, s7, s8
	s_mul_i32 s8, s44, s33
	s_add_u32 s8, s10, s8
	s_mul_i32 s10, s6, s39
	s_addc_u32 s7, s11, s7
	s_sub_i32 s10, s14, s10
	s_xor_b32 s4, s35, s4
	s_add_i32 s11, s6, 1
	s_sub_i32 s14, s10, s39
	s_cmp_ge_u32 s10, s39
	s_cselect_b32 s6, s11, s6
	s_cselect_b32 s10, s14, s10
	s_add_i32 s11, s6, 1
	s_cmp_ge_u32 s10, s39
	s_cselect_b32 s6, s11, s6
	s_xor_b32 s6, s6, s4
	s_sub_i32 s4, s6, s4
	s_mul_i32 s6, s4, s9
	s_ashr_i32 s9, s6, 31
	s_add_u32 s31, s8, s6
	s_mul_hi_u32 s6, s18, s33
	s_mul_i32 s5, s18, s5
	s_addc_u32 s39, s7, s9
	s_add_i32 s5, s6, s5
	s_mul_i32 s6, s19, s33
	s_add_i32 s5, s5, s6
	s_mul_i32 s6, s18, s33
	s_add_u32 s6, s12, s6
	s_mul_i32 s4, s4, s47
	s_addc_u32 s5, s13, s5
	s_ashr_i32 s7, s4, 31
	s_add_u32 s18, s6, s4
	s_addc_u32 s19, s5, s7
	s_lshl_b32 s28, s3, 7
	s_add_i32 s40, s38, 0xffffff80
	s_cmp_ge_i32 s28, s40
	v_lshlrev_b32_e32 v61, 2, v60
	v_lshrrev_b32_e32 v67, 3, v29
	v_and_b32_e32 v36, 28, v28
	v_lshlrev_b32_e32 v66, 5, v60
	v_and_b32_e32 v31, 3, v29
	v_mul_lo_u32 v32, s2, v60
	v_and_b32_e32 v62, 3, v60
	v_mbcnt_lo_u32_b32 v65, -1, 0
	s_cbranch_scc1 .LBB55_16
; %bb.9:
	v_and_b32_e32 v2, 0x7f80, v66
	v_mov_b32_e32 v3, 0x4800
	v_lshl_add_u32 v73, v2, 2, v3
	v_mul_hi_u32 v3, s24, v37
	v_add_u32_e32 v3, v37, v3
	v_add_u32_e32 v0, v67, v61
	v_lshlrev_b32_e32 v1, 2, v36
	s_movk_i32 s4, 0x90
	v_lshrrev_b32_e32 v3, s25, v3
	v_mad_u32_u24 v68, v0, s4, v1
	v_and_b32_e32 v1, 0x60, v66
	v_mul_lo_u32 v3, v3, s26
	v_mul_lo_u32 v40, s30, v0
	v_add_u32_e32 v0, v1, v29
	v_sub_u32_e32 v3, v37, v3
	s_movk_i32 s8, 0x3fc
	s_lshl_b32 s4, s30, 5
	v_mul_u32_u24_e32 v72, 0x90, v0
	v_mad_u64_u32 v[48:49], s[6:7], v3, s29, v[0:1]
	v_and_or_b32 v0, v60, s8, v31
	v_mov_b32_e32 v3, 0x4e00
	v_add_u32_e32 v42, s4, v40
	v_lshl_add_u32 v74, v0, 2, v3
	v_mov_b32_e32 v0, 0x4c00
	v_add_u32_e32 v44, s4, v42
	s_cmp_lg_u64 s[36:37], 0
	v_lshl_add_u32 v6, v2, 1, v0
	v_add_u32_e32 v46, s4, v44
	s_cselect_b64 s[4:5], -1, 0
	v_lshl_or_b32 v0, v1, 1, v6
	s_lshl_b32 s8, s2, 3
	v_lshl_add_u32 v75, v29, 1, v0
	v_add_u32_e32 v0, s8, v32
	v_add_u32_e32 v2, s8, v0
	;; [unrolled: 1-line block ×3, first 2 shown]
	v_and_b32_e32 v7, 3, v60
	v_mov_b32_e32 v39, 0
	v_lshl_add_u32 v76, v60, 9, v30
	v_ashrrev_i32_e32 v33, 31, v32
	v_ashrrev_i32_e32 v1, 31, v0
	;; [unrolled: 1-line block ×4, first 2 shown]
	v_lshl_or_b32 v80, v7, 1, v6
	s_add_u32 s14, s0, 0xd0
	v_cndmask_b32_e64 v6, 0, 1, s[4:5]
	v_ashrrev_i32_e32 v41, 31, v40
	v_add_u32_e32 v69, 0x1200, v68
	v_ashrrev_i32_e32 v43, 31, v42
	v_add_u32_e32 v70, 0x2400, v68
	;; [unrolled: 2-line block ×3, first 2 shown]
	v_ashrrev_i32_e32 v47, 31, v46
	v_cmp_eq_u32_e64 s[6:7], 0, v29
	v_add_u32_e32 v49, 0x4e00, v61
	v_add_u32_e32 v77, 0x1000, v76
	;; [unrolled: 1-line block ×4, first 2 shown]
	v_lshl_add_u32 v81, v7, 9, v63
	s_addc_u32 s15, s1, 0
	v_mov_b32_e32 v12, 0xfeffffff
	v_lshlrev_b32_e32 v50, 2, v36
	v_mov_b32_e32 v51, v39
	v_mbcnt_hi_u32_b32 v82, -1, v65
	s_mov_b32 s41, 0x3fb8aa3b
	s_mov_b32 s42, 0xc2ce8ed0
	;; [unrolled: 1-line block ×3, first 2 shown]
	v_lshlrev_b32_e32 v38, 2, v28
	v_lshlrev_b64 v[52:53], 2, v[0:1]
	v_lshlrev_b64 v[54:55], 2, v[2:3]
	;; [unrolled: 1-line block ×3, first 2 shown]
	v_cmp_ne_u32_e64 s[4:5], 1, v6
	v_mov_b32_e32 v83, 0x7f800000
	v_mov_b32_e32 v1, v39
	;; [unrolled: 1-line block ×6, first 2 shown]
	v_lshlrev_b64 v[58:59], 2, v[32:33]
.LBB55_10:                              ; =>This Inner Loop Header: Depth=1
	s_mul_hi_i32 s9, s28, s30
	s_mul_i32 s8, s28, s30
	s_lshl_b64 s[8:9], s[8:9], 2
	s_add_u32 s8, s31, s8
	s_addc_u32 s9, s39, s9
	v_lshl_add_u64 v[4:5], v[40:41], 2, s[8:9]
	v_lshl_add_u64 v[8:9], v[44:45], 2, s[8:9]
	;; [unrolled: 1-line block ×7, first 2 shown]
	global_load_dwordx4 v[14:17], v[4:5], off
	global_load_dwordx4 v[18:21], v[6:7], off
	v_lshl_add_u64 v[10:11], v[10:11], 0, v[50:51]
	global_load_dwordx4 v[22:25], v[8:9], off
	global_load_dwordx4 v[84:87], v[10:11], off
	v_mov_b32_e32 v13, 0
	s_and_b64 vcc, exec, s[4:5]
	s_waitcnt vmcnt(3)
	ds_write_b128 v68, v[14:17]
	s_waitcnt vmcnt(2)
	ds_write_b128 v69, v[18:21]
	;; [unrolled: 2-line block ×4, first 2 shown]
	s_waitcnt lgkmcnt(0)
	s_barrier
	ds_read_b128 v[14:17], v72
	ds_read_b128 v[18:21], v73
	s_waitcnt lgkmcnt(0)
	;;#ASMSTART
	v_dot2_f32_f16 v13, v14, v18, v13
	;;#ASMEND
	s_nop 0
	;;#ASMSTART
	v_dot2_f32_f16 v13, v15, v19, v13
	;;#ASMEND
	s_nop 0
	;;#ASMSTART
	v_dot2_f32_f16 v13, v16, v20, v13
	;;#ASMEND
	s_nop 0
	;;#ASMSTART
	v_dot2_f32_f16 v13, v17, v21, v13
	;;#ASMEND
	ds_read_b128 v[14:17], v72 offset:16
	ds_read_b128 v[18:21], v73 offset:16
	s_waitcnt lgkmcnt(0)
	;;#ASMSTART
	v_dot2_f32_f16 v13, v14, v18, v13
	;;#ASMEND
	s_nop 0
	;;#ASMSTART
	v_dot2_f32_f16 v13, v15, v19, v13
	;;#ASMEND
	s_nop 0
	;;#ASMSTART
	v_dot2_f32_f16 v13, v16, v20, v13
	;;#ASMEND
	s_nop 0
	;;#ASMSTART
	v_dot2_f32_f16 v13, v17, v21, v13
	;;#ASMEND
	ds_read_b128 v[14:17], v72 offset:32
	ds_read_b128 v[18:21], v73 offset:32
	;; [unrolled: 18-line block ×7, first 2 shown]
	s_waitcnt lgkmcnt(0)
	;;#ASMSTART
	v_dot2_f32_f16 v13, v14, v18, v13
	;;#ASMEND
	s_nop 0
	;;#ASMSTART
	v_dot2_f32_f16 v13, v15, v19, v13
	;;#ASMEND
	s_nop 0
	;; [unrolled: 4-line block ×3, first 2 shown]
	;;#ASMSTART
	v_dot2_f32_f16 v13, v17, v21, v13
	;;#ASMEND
	s_barrier
	global_load_dwordx4 v[14:17], v[4:5], off offset:128
	global_load_dwordx4 v[18:21], v[6:7], off offset:128
	;; [unrolled: 1-line block ×4, first 2 shown]
	s_waitcnt vmcnt(3)
	ds_write_b128 v68, v[14:17]
	s_waitcnt vmcnt(2)
	ds_write_b128 v69, v[18:21]
	;; [unrolled: 2-line block ×4, first 2 shown]
	s_waitcnt lgkmcnt(0)
	s_barrier
	ds_read_b128 v[14:17], v72
	ds_read_b128 v[18:21], v73 offset:128
	s_waitcnt lgkmcnt(0)
	;;#ASMSTART
	v_dot2_f32_f16 v13, v14, v18, v13
	;;#ASMEND
	s_nop 0
	;;#ASMSTART
	v_dot2_f32_f16 v13, v15, v19, v13
	;;#ASMEND
	s_nop 0
	;;#ASMSTART
	v_dot2_f32_f16 v13, v16, v20, v13
	;;#ASMEND
	s_nop 0
	;;#ASMSTART
	v_dot2_f32_f16 v13, v17, v21, v13
	;;#ASMEND
	ds_read_b128 v[14:17], v72 offset:16
	ds_read_b128 v[18:21], v73 offset:144
	s_waitcnt lgkmcnt(0)
	;;#ASMSTART
	v_dot2_f32_f16 v13, v14, v18, v13
	;;#ASMEND
	s_nop 0
	;;#ASMSTART
	v_dot2_f32_f16 v13, v15, v19, v13
	;;#ASMEND
	s_nop 0
	;;#ASMSTART
	v_dot2_f32_f16 v13, v16, v20, v13
	;;#ASMEND
	s_nop 0
	;;#ASMSTART
	v_dot2_f32_f16 v13, v17, v21, v13
	;;#ASMEND
	ds_read_b128 v[14:17], v72 offset:32
	;; [unrolled: 18-line block ×7, first 2 shown]
	ds_read_b128 v[18:21], v73 offset:240
	s_waitcnt lgkmcnt(0)
	;;#ASMSTART
	v_dot2_f32_f16 v13, v14, v18, v13
	;;#ASMEND
	s_nop 0
	;;#ASMSTART
	v_dot2_f32_f16 v13, v15, v19, v13
	;;#ASMEND
	s_nop 0
	;; [unrolled: 4-line block ×3, first 2 shown]
	;;#ASMSTART
	v_dot2_f32_f16 v13, v17, v21, v13
	;;#ASMEND
	s_barrier
	global_load_dwordx4 v[14:17], v[4:5], off offset:256
	global_load_dwordx4 v[18:21], v[6:7], off offset:256
	global_load_dwordx4 v[22:25], v[8:9], off offset:256
	global_load_dwordx4 v[84:87], v[10:11], off offset:256
	s_waitcnt vmcnt(3)
	ds_write_b128 v68, v[14:17]
	s_waitcnt vmcnt(2)
	ds_write_b128 v69, v[18:21]
	;; [unrolled: 2-line block ×4, first 2 shown]
	s_waitcnt lgkmcnt(0)
	s_barrier
	ds_read_b128 v[14:17], v72
	ds_read_b128 v[18:21], v73 offset:256
	s_waitcnt lgkmcnt(0)
	;;#ASMSTART
	v_dot2_f32_f16 v13, v14, v18, v13
	;;#ASMEND
	s_nop 0
	;;#ASMSTART
	v_dot2_f32_f16 v13, v15, v19, v13
	;;#ASMEND
	s_nop 0
	;;#ASMSTART
	v_dot2_f32_f16 v13, v16, v20, v13
	;;#ASMEND
	s_nop 0
	;;#ASMSTART
	v_dot2_f32_f16 v13, v17, v21, v13
	;;#ASMEND
	ds_read_b128 v[14:17], v72 offset:16
	ds_read_b128 v[18:21], v73 offset:272
	s_waitcnt lgkmcnt(0)
	;;#ASMSTART
	v_dot2_f32_f16 v13, v14, v18, v13
	;;#ASMEND
	s_nop 0
	;;#ASMSTART
	v_dot2_f32_f16 v13, v15, v19, v13
	;;#ASMEND
	s_nop 0
	;;#ASMSTART
	v_dot2_f32_f16 v13, v16, v20, v13
	;;#ASMEND
	s_nop 0
	;;#ASMSTART
	v_dot2_f32_f16 v13, v17, v21, v13
	;;#ASMEND
	ds_read_b128 v[14:17], v72 offset:32
	;; [unrolled: 18-line block ×7, first 2 shown]
	ds_read_b128 v[18:21], v73 offset:368
	s_waitcnt lgkmcnt(0)
	;;#ASMSTART
	v_dot2_f32_f16 v13, v14, v18, v13
	;;#ASMEND
	s_nop 0
	;;#ASMSTART
	v_dot2_f32_f16 v13, v15, v19, v13
	;;#ASMEND
	s_nop 0
	;; [unrolled: 4-line block ×3, first 2 shown]
	;;#ASMSTART
	v_dot2_f32_f16 v13, v17, v21, v13
	;;#ASMEND
	s_barrier
	global_load_dwordx4 v[14:17], v[4:5], off offset:384
	global_load_dwordx4 v[18:21], v[6:7], off offset:384
	;; [unrolled: 1-line block ×4, first 2 shown]
	s_waitcnt vmcnt(3)
	ds_write_b128 v68, v[14:17]
	s_waitcnt vmcnt(2)
	ds_write_b128 v69, v[18:21]
	;; [unrolled: 2-line block ×4, first 2 shown]
	s_waitcnt lgkmcnt(0)
	s_barrier
	ds_read_b128 v[4:7], v72
	ds_read_b128 v[8:11], v73 offset:384
	s_waitcnt lgkmcnt(0)
	;;#ASMSTART
	v_dot2_f32_f16 v13, v4, v8, v13
	;;#ASMEND
	s_nop 0
	;;#ASMSTART
	v_dot2_f32_f16 v13, v5, v9, v13
	;;#ASMEND
	s_nop 0
	;;#ASMSTART
	v_dot2_f32_f16 v13, v6, v10, v13
	;;#ASMEND
	s_nop 0
	;;#ASMSTART
	v_dot2_f32_f16 v13, v7, v11, v13
	;;#ASMEND
	ds_read_b128 v[4:7], v72 offset:16
	ds_read_b128 v[8:11], v73 offset:400
	s_waitcnt lgkmcnt(0)
	;;#ASMSTART
	v_dot2_f32_f16 v13, v4, v8, v13
	;;#ASMEND
	s_nop 0
	;;#ASMSTART
	v_dot2_f32_f16 v13, v5, v9, v13
	;;#ASMEND
	s_nop 0
	;;#ASMSTART
	v_dot2_f32_f16 v13, v6, v10, v13
	;;#ASMEND
	s_nop 0
	;;#ASMSTART
	v_dot2_f32_f16 v13, v7, v11, v13
	;;#ASMEND
	ds_read_b128 v[4:7], v72 offset:32
	;; [unrolled: 18-line block ×7, first 2 shown]
	ds_read_b128 v[8:11], v73 offset:496
	s_waitcnt lgkmcnt(0)
	;;#ASMSTART
	v_dot2_f32_f16 v13, v4, v8, v13
	;;#ASMEND
	s_nop 0
	;;#ASMSTART
	v_dot2_f32_f16 v13, v5, v9, v13
	;;#ASMEND
	v_mov_b32_e32 v4, 0
	;;#ASMSTART
	v_dot2_f32_f16 v13, v6, v10, v13
	;;#ASMEND
	s_nop 0
	;;#ASMSTART
	v_dot2_f32_f16 v13, v7, v11, v13
	;;#ASMEND
	s_cbranch_vccnz .LBB55_12
; %bb.11:                               ;   in Loop: Header=BB55_10 Depth=1
	v_add_u32_e32 v4, s28, v48
	v_ashrrev_i32_e32 v5, 31, v4
	v_lshl_add_u64 v[4:5], v[4:5], 1, s[36:37]
	global_load_ushort v4, v[4:5], off
	s_waitcnt vmcnt(0)
	v_cvt_f32_f16_e32 v4, v4
	v_mul_f32_e32 v4, v64, v4
.LBB55_12:                              ;   in Loop: Header=BB55_10 Depth=1
	v_and_b32_e32 v5, 0x60, v82
	v_add_u32_e32 v7, 32, v5
	v_xor_b32_e32 v5, 16, v82
	v_cmp_lt_i32_e32 vcc, v5, v7
	v_add_f32_e32 v4, v13, v4
	v_add_f32_e32 v6, 0x40051340, v4
	v_cndmask_b32_e32 v5, v82, v5, vcc
	v_max_f32_e32 v8, v12, v12
	v_lshlrev_b32_e32 v5, 2, v5
	v_max_f32_e32 v6, v8, v6
	ds_bpermute_b32 v5, v5, v6
	v_xor_b32_e32 v8, 8, v82
	v_cmp_lt_i32_e32 vcc, v8, v7
	s_waitcnt lgkmcnt(0)
	v_max_f32_e32 v5, v5, v5
	v_cndmask_b32_e32 v8, v82, v8, vcc
	v_lshlrev_b32_e32 v8, 2, v8
	v_max_f32_e32 v5, v6, v5
	ds_bpermute_b32 v6, v8, v5
	v_xor_b32_e32 v8, 4, v82
	v_cmp_lt_i32_e32 vcc, v8, v7
	s_waitcnt lgkmcnt(0)
	v_max_f32_e32 v6, v6, v6
	v_cndmask_b32_e32 v8, v82, v8, vcc
	;; [unrolled: 8-line block ×3, first 2 shown]
	v_lshlrev_b32_e32 v9, 2, v9
	v_max_f32_e32 v8, v6, v8
	ds_bpermute_b32 v9, v9, v8
	v_xor_b32_e32 v6, 1, v82
	v_cmp_lt_i32_e32 vcc, v6, v7
	s_nop 1
	v_cndmask_b32_e32 v7, v82, v6, vcc
	v_lshlrev_b32_e32 v10, 2, v7
	s_waitcnt lgkmcnt(0)
	v_max_f32_e32 v7, v9, v9
	v_max_f32_e32 v7, v8, v7
	ds_bpermute_b32 v8, v10, v7
	s_and_saveexec_b64 s[8:9], s[6:7]
	s_cbranch_execz .LBB55_14
; %bb.13:                               ;   in Loop: Header=BB55_10 Depth=1
	s_waitcnt lgkmcnt(0)
	v_max_f32_e32 v8, v8, v8
	v_max_f32_e32 v7, v7, v7
	;; [unrolled: 1-line block ×3, first 2 shown]
	ds_write_b32 v49, v7
.LBB55_14:                              ;   in Loop: Header=BB55_10 Depth=1
	s_or_b64 exec, exec, s[8:9]
	s_mul_hi_i32 s9, s28, s2
	s_mul_i32 s8, s28, s2
	s_lshl_b64 s[8:9], s[8:9], 2
	s_add_u32 s8, s18, s8
	s_addc_u32 s9, s19, s9
	s_waitcnt lgkmcnt(0)
	v_lshl_add_u64 v[8:9], s[8:9], 0, v[58:59]
	v_lshl_add_u64 v[18:19], v[8:9], 0, v[38:39]
	;; [unrolled: 1-line block ×3, first 2 shown]
	s_barrier
	v_lshl_add_u64 v[20:21], v[8:9], 0, v[38:39]
	global_load_dwordx4 v[8:11], v[18:19], off
	global_load_dwordx4 v[14:17], v[20:21], off
	v_lshl_add_u64 v[18:19], s[8:9], 0, v[54:55]
	v_lshl_add_u64 v[26:27], v[18:19], 0, v[38:39]
	;; [unrolled: 1-line block ×4, first 2 shown]
	global_load_dwordx4 v[18:21], v[26:27], off
	global_load_dwordx4 v[22:25], v[84:85], off
	ds_read_b32 v7, v74
	v_and_b32_e32 v13, 0x7c, v82
	v_add_u32_e32 v13, 4, v13
	v_cmp_lt_i32_e32 vcc, v5, v13
	v_add_u32_e32 v33, 0x800, v81
	v_add_u32_e32 v87, 0x1000, v81
	v_cndmask_b32_e32 v5, v82, v5, vcc
	v_lshlrev_b32_e32 v5, 2, v5
	s_waitcnt lgkmcnt(0)
	ds_bpermute_b32 v5, v5, v7
	v_cmp_lt_i32_e32 vcc, v6, v13
	v_max_f32_e32 v7, v7, v7
	v_add_u32_e32 v86, 0x1800, v81
	v_cndmask_b32_e32 v6, v82, v6, vcc
	s_waitcnt lgkmcnt(0)
	v_max_f32_e32 v5, v5, v5
	v_lshlrev_b32_e32 v6, 2, v6
	v_max_f32_e32 v5, v7, v5
	ds_bpermute_b32 v6, v6, v5
	v_add_u32_e32 v90, 0x2000, v81
	v_add_u32_e32 v89, 0x2800, v81
	;; [unrolled: 1-line block ×4, first 2 shown]
	s_waitcnt lgkmcnt(0)
	v_max_f32_e32 v6, v6, v6
	v_max_f32_e32 v34, v5, v6
	v_sub_f32_e32 v5, v12, v34
	v_sub_f32_e32 v4, v4, v34
	v_mul_f32_e32 v7, 0x3fb8aa3b, v5
	v_mul_f32_e32 v6, 0x3fb8aa3b, v4
	v_fma_f32 v26, v5, s41, -v7
	v_rndne_f32_e32 v27, v7
	v_fma_f32 v12, v4, s41, -v6
	v_rndne_f32_e32 v13, v6
	v_fmac_f32_e32 v26, 0x32a5705f, v5
	v_sub_f32_e32 v7, v7, v27
	v_fmac_f32_e32 v12, 0x32a5705f, v4
	v_sub_f32_e32 v6, v6, v13
	v_add_f32_e32 v7, v7, v26
	v_cvt_i32_f32_e32 v27, v27
	v_add_f32_e32 v6, v6, v12
	v_exp_f32_e32 v7, v7
	v_cvt_i32_f32_e32 v13, v13
	v_exp_f32_e32 v6, v6
	v_cmp_ngt_f32_e64 s[8:9], s42, v5
	v_cmp_nlt_f32_e64 s[12:13], s43, v5
	v_ldexp_f32 v5, v7, v27
	v_cmp_ngt_f32_e32 vcc, s42, v4
	v_cmp_nlt_f32_e64 s[10:11], s43, v4
	v_ldexp_f32 v4, v6, v13
	v_cndmask_b32_e64 v5, 0, v5, s[8:9]
	v_cndmask_b32_e32 v4, 0, v4, vcc
	v_cndmask_b32_e64 v85, v83, v5, s[12:13]
	v_cndmask_b32_e64 v84, v83, v4, s[10:11]
	v_cvt_f16_f32_e32 v4, v85
	v_cvt_f16_f32_e32 v5, v84
	s_or_b32 s8, s28, 32
	s_mul_hi_i32 s9, s8, s2
	s_mul_i32 s8, s8, s2
	s_lshl_b64 s[8:9], s[8:9], 2
	v_mul_u32_u24_e32 v106, 0x10001, v4
	s_add_u32 s8, s18, s8
	ds_write_b16 v75, v5
	v_pk_mul_f16 v12, v2, v106
	v_pk_mul_f16 v13, v3, v106
	s_addc_u32 s9, s19, s9
	v_lshl_add_u64 v[26:27], s[8:9], 0, v[58:59]
	v_lshl_add_u64 v[26:27], v[26:27], 0, v[38:39]
	;; [unrolled: 1-line block ×4, first 2 shown]
	v_fma_f32 v35, v35, v85, v84
	s_waitcnt vmcnt(3)
	ds_write_b128 v76, v[8:11]
	s_waitcnt vmcnt(2)
	ds_write_b128 v77, v[14:17]
	;; [unrolled: 2-line block ×4, first 2 shown]
	s_waitcnt lgkmcnt(0)
	s_barrier
	ds_read2_b64 v[2:5], v81 offset1:32
	ds_read_u16 v10, v80
	ds_read_u16 v108, v80 offset:8
	ds_read_u16 v109, v80 offset:16
	ds_read_u16 v110, v80 offset:24
	ds_read_u16 v111, v80 offset:32
	ds_read_u16 v112, v80 offset:40
	ds_read_u16 v113, v80 offset:48
	ds_read_u16 v114, v80 offset:56
	ds_read2_b64 v[6:9], v33 offset1:32
	s_waitcnt lgkmcnt(8)
	v_mul_u32_u24_e32 v10, 0x10001, v10
	v_pk_mul_f16 v107, v2, v10
	v_pk_mul_f16 v115, v3, v10
	v_pk_fma_f16 v116, v4, v10, v12
	v_pk_fma_f16 v117, v5, v10, v13
	ds_read2_b64 v[2:5], v87 offset1:32
	ds_read2_b64 v[10:13], v86 offset1:32
	;; [unrolled: 1-line block ×6, first 2 shown]
	s_waitcnt lgkmcnt(0)
	s_barrier
	global_load_dwordx4 v[96:99], v[26:27], off
	global_load_dwordx4 v[100:103], v[104:105], off
	v_pk_fma_f16 v118, v0, v106, v107
	v_pk_fma_f16 v115, v1, v106, v115
	v_lshl_add_u64 v[0:1], s[8:9], 0, v[54:55]
	v_lshl_add_u64 v[0:1], v[0:1], 0, v[38:39]
	;; [unrolled: 1-line block ×4, first 2 shown]
	global_load_dwordx4 v[104:107], v[0:1], off
	v_mul_u32_u24_e32 v0, 0x10001, v108
	v_pk_fma_f16 v1, v8, v0, v116
	v_pk_fma_f16 v108, v9, v0, v117
	;; [unrolled: 1-line block ×4, first 2 shown]
	global_load_dwordx4 v[6:9], v[26:27], off
	s_or_b32 s8, s28, 64
	v_mul_u32_u24_e32 v26, 0x10001, v109
	s_mul_hi_i32 s9, s8, s2
	s_mul_i32 s8, s8, s2
	v_mul_u32_u24_e32 v27, 0x10001, v110
	v_pk_fma_f16 v1, v4, v26, v1
	v_pk_fma_f16 v4, v5, v26, v108
	;; [unrolled: 1-line block ×4, first 2 shown]
	s_lshl_b64 s[8:9], s[8:9], 2
	v_mul_u32_u24_e32 v109, 0x10001, v111
	v_pk_fma_f16 v1, v12, v27, v1
	v_pk_fma_f16 v3, v13, v27, v4
	;; [unrolled: 1-line block ×4, first 2 shown]
	s_add_u32 s8, s18, s8
	v_mul_u32_u24_e32 v110, 0x10001, v112
	v_pk_fma_f16 v1, v16, v109, v1
	v_pk_fma_f16 v3, v17, v109, v3
	;; [unrolled: 1-line block ×4, first 2 shown]
	s_addc_u32 s9, s19, s9
	v_mul_u32_u24_e32 v111, 0x10001, v113
	v_pk_fma_f16 v1, v20, v110, v1
	v_pk_fma_f16 v3, v21, v110, v3
	;; [unrolled: 1-line block ×4, first 2 shown]
	v_mul_u32_u24_e32 v112, 0x10001, v114
	v_pk_fma_f16 v1, v24, v111, v1
	v_pk_fma_f16 v3, v25, v111, v3
	;; [unrolled: 1-line block ×8, first 2 shown]
	s_waitcnt vmcnt(3)
	ds_write_b128 v76, v[96:99]
	s_waitcnt vmcnt(2)
	ds_write_b128 v77, v[100:103]
	;; [unrolled: 2-line block ×4, first 2 shown]
	v_lshl_add_u64 v[96:97], s[8:9], 0, v[58:59]
	v_lshl_add_u64 v[104:105], v[96:97], 0, v[38:39]
	;; [unrolled: 1-line block ×3, first 2 shown]
	s_waitcnt lgkmcnt(0)
	s_barrier
	ds_read2_b64 v[4:7], v81 offset1:32
	ds_read_u16 v112, v80 offset:64
	ds_read_u16 v113, v80 offset:72
	;; [unrolled: 1-line block ×8, first 2 shown]
	ds_read2_b64 v[8:11], v33 offset1:32
	ds_read2_b64 v[12:15], v87 offset1:32
	;; [unrolled: 1-line block ×7, first 2 shown]
	s_waitcnt lgkmcnt(0)
	s_barrier
	v_lshl_add_u64 v[106:107], v[96:97], 0, v[38:39]
	global_load_dwordx4 v[96:99], v[104:105], off
	global_load_dwordx4 v[100:103], v[106:107], off
	v_mul_u32_u24_e32 v104, 0x10001, v112
	v_pk_fma_f16 v106, v4, v104, v110
	v_pk_fma_f16 v107, v5, v104, v111
	v_lshl_add_u64 v[4:5], s[8:9], 0, v[54:55]
	v_pk_fma_f16 v108, v6, v104, v108
	v_pk_fma_f16 v109, v7, v104, v109
	v_lshl_add_u64 v[4:5], v[4:5], 0, v[38:39]
	v_lshl_add_u64 v[6:7], s[8:9], 0, v[56:57]
	;; [unrolled: 1-line block ×3, first 2 shown]
	global_load_dwordx4 v[4:7], v[4:5], off
	v_mul_u32_u24_e32 v110, 0x10001, v113
	v_pk_fma_f16 v106, v8, v110, v106
	v_pk_fma_f16 v107, v9, v110, v107
	;; [unrolled: 1-line block ×4, first 2 shown]
	global_load_dwordx4 v[8:11], v[104:105], off
	s_or_b32 s8, s28, 0x60
	v_mul_u32_u24_e32 v104, 0x10001, v114
	s_mul_hi_i32 s9, s8, s2
	s_mul_i32 s8, s8, s2
	v_pk_fma_f16 v12, v12, v104, v106
	v_pk_fma_f16 v13, v13, v104, v107
	;; [unrolled: 1-line block ×4, first 2 shown]
	v_mul_u32_u24_e32 v104, 0x10001, v115
	s_lshl_b64 s[8:9], s[8:9], 2
	v_pk_fma_f16 v12, v16, v104, v12
	v_pk_fma_f16 v13, v17, v104, v13
	;; [unrolled: 1-line block ×4, first 2 shown]
	v_mul_u32_u24_e32 v16, 0x10001, v116
	s_add_u32 s8, s18, s8
	v_pk_fma_f16 v12, v20, v16, v12
	v_pk_fma_f16 v13, v21, v16, v13
	;; [unrolled: 1-line block ×4, first 2 shown]
	v_mul_u32_u24_e32 v16, 0x10001, v117
	s_addc_u32 s9, s19, s9
	v_pk_fma_f16 v12, v24, v16, v12
	v_pk_fma_f16 v13, v25, v16, v13
	;; [unrolled: 1-line block ×4, first 2 shown]
	v_mul_u32_u24_e32 v16, 0x10001, v118
	s_waitcnt vmcnt(3)
	ds_write_b128 v76, v[96:99]
	s_waitcnt vmcnt(2)
	ds_write_b128 v77, v[100:103]
	s_waitcnt vmcnt(1)
	ds_write_b128 v78, v[4:7]
	s_waitcnt vmcnt(0)
	ds_write_b128 v79, v[8:11]
	v_lshl_add_u64 v[96:97], s[8:9], 0, v[58:59]
	v_pk_fma_f16 v12, v92, v16, v12
	v_pk_fma_f16 v13, v93, v16, v13
	;; [unrolled: 1-line block ×4, first 2 shown]
	v_mul_u32_u24_e32 v16, 0x10001, v119
	v_lshl_add_u64 v[104:105], v[96:97], 0, v[38:39]
	v_lshl_add_u64 v[96:97], s[8:9], 0, v[52:53]
	v_pk_fma_f16 v108, v0, v16, v12
	v_pk_fma_f16 v109, v1, v16, v13
	;; [unrolled: 1-line block ×4, first 2 shown]
	s_waitcnt lgkmcnt(0)
	s_barrier
	ds_read2_b64 v[92:95], v81 offset1:32
	ds_read_u16 v112, v80 offset:128
	ds_read_u16 v113, v80 offset:136
	;; [unrolled: 1-line block ×8, first 2 shown]
	ds_read2_b64 v[24:27], v33 offset1:32
	ds_read2_b64 v[20:23], v87 offset1:32
	;; [unrolled: 1-line block ×7, first 2 shown]
	s_waitcnt lgkmcnt(0)
	s_barrier
	v_lshl_add_u64 v[106:107], v[96:97], 0, v[38:39]
	global_load_dwordx4 v[96:99], v[104:105], off
	global_load_dwordx4 v[100:103], v[106:107], off
	v_mul_u32_u24_e32 v104, 0x10001, v112
	v_pk_fma_f16 v108, v92, v104, v108
	v_pk_fma_f16 v109, v93, v104, v109
	v_lshl_add_u64 v[92:93], s[8:9], 0, v[54:55]
	v_pk_fma_f16 v110, v94, v104, v110
	v_pk_fma_f16 v111, v95, v104, v111
	v_lshl_add_u64 v[92:93], v[92:93], 0, v[38:39]
	v_lshl_add_u64 v[94:95], s[8:9], 0, v[56:57]
	;; [unrolled: 1-line block ×3, first 2 shown]
	global_load_dwordx4 v[92:95], v[92:93], off
	v_mul_u32_u24_e32 v84, 0x10001, v113
	global_load_dwordx4 v[104:107], v[104:105], off
	v_pk_fma_f16 v24, v24, v84, v108
	v_pk_fma_f16 v25, v25, v84, v109
	v_pk_fma_f16 v26, v26, v84, v110
	v_pk_fma_f16 v27, v27, v84, v111
	v_mul_u32_u24_e32 v84, 0x10001, v114
	v_pk_fma_f16 v20, v20, v84, v24
	v_pk_fma_f16 v21, v21, v84, v25
	v_pk_fma_f16 v22, v22, v84, v26
	v_pk_fma_f16 v23, v23, v84, v27
	v_mul_u32_u24_e32 v24, 0x10001, v115
	;; [unrolled: 5-line block ×6, first 2 shown]
	v_pk_fma_f16 v4, v0, v8, v4
	v_pk_fma_f16 v9, v1, v8, v5
	;; [unrolled: 1-line block ×4, first 2 shown]
	s_waitcnt vmcnt(3)
	ds_write_b128 v76, v[96:99]
	s_waitcnt vmcnt(2)
	ds_write_b128 v77, v[100:103]
	;; [unrolled: 2-line block ×4, first 2 shown]
	s_waitcnt lgkmcnt(0)
	s_barrier
	ds_read2_b64 v[0:3], v81 offset1:32
	ds_read_u16 v5, v80 offset:192
	ds_read_u16 v11, v80 offset:200
	;; [unrolled: 1-line block ×8, first 2 shown]
	s_waitcnt lgkmcnt(7)
	v_mul_u32_u24_e32 v18, 0x10001, v5
	v_pk_fma_f16 v0, v0, v18, v4
	ds_read2_b64 v[4:7], v33 offset1:32
	s_waitcnt lgkmcnt(7)
	v_mul_u32_u24_e32 v11, 0x10001, v11
	v_pk_fma_f16 v9, v1, v18, v9
	v_pk_fma_f16 v10, v2, v18, v10
	v_pk_fma_f16 v8, v3, v18, v8
	s_waitcnt lgkmcnt(0)
	v_pk_fma_f16 v4, v4, v11, v0
	ds_read2_b64 v[0:3], v87 offset1:32
	v_pk_fma_f16 v9, v5, v11, v9
	v_pk_fma_f16 v10, v6, v11, v10
	v_pk_fma_f16 v8, v7, v11, v8
	v_mul_u32_u24_e32 v11, 0x10001, v12
	s_waitcnt lgkmcnt(0)
	v_pk_fma_f16 v0, v0, v11, v4
	ds_read2_b64 v[4:7], v86 offset1:32
	v_pk_fma_f16 v9, v1, v11, v9
	v_pk_fma_f16 v10, v2, v11, v10
	v_pk_fma_f16 v8, v3, v11, v8
	v_mul_u32_u24_e32 v11, 0x10001, v13
	;; [unrolled: 7-line block ×5, first 2 shown]
	s_waitcnt lgkmcnt(0)
	v_pk_fma_f16 v4, v0, v8, v4
	v_pk_fma_f16 v5, v1, v8, v5
	;; [unrolled: 1-line block ×4, first 2 shown]
	ds_read2_b64 v[0:3], v91 offset1:32
	s_waitcnt lgkmcnt(0)
	s_barrier
	s_load_dword s8, s[14:15], 0x4
	v_mul_u32_u24_e32 v8, 0x10001, v17
	v_pk_fma_f16 v0, v0, v8, v4
	v_pk_fma_f16 v1, v1, v8, v5
	;; [unrolled: 1-line block ×3, first 2 shown]
	s_waitcnt lgkmcnt(0)
	s_lshl_b32 s8, s8, 7
	s_add_i32 s28, s8, s28
	s_cmp_lt_i32 s28, s40
	v_pk_fma_f16 v3, v3, v8, v7
	s_cbranch_scc0 .LBB55_17
; %bb.15:                               ;   in Loop: Header=BB55_10 Depth=1
	v_mov_b32_e32 v12, v34
	s_branch .LBB55_10
.LBB55_16:
	v_mov_b32_e32 v3, 0
	v_mov_b32_e32 v35, 0
	;; [unrolled: 1-line block ×6, first 2 shown]
.LBB55_17:
	s_cmp_gt_i32 s38, s28
	s_cbranch_scc1 .LBB55_20
; %bb.18:
	v_mbcnt_hi_u32_b32 v10, -1, v65
	v_and_b32_e32 v4, 0x60, v10
	v_add_u32_e32 v11, 32, v4
	v_xor_b32_e32 v12, 16, v10
	v_xor_b32_e32 v13, 8, v10
	;; [unrolled: 1-line block ×5, first 2 shown]
	v_and_b32_e32 v4, 3, v60
	s_cbranch_execz .LBB55_21
; %bb.19:
	v_mov_b32_e32 v62, v4
	s_branch .LBB55_28
.LBB55_20:
                                        ; implicit-def: $vgpr10
                                        ; implicit-def: $vgpr11
                                        ; implicit-def: $vgpr12
                                        ; implicit-def: $vgpr13
                                        ; implicit-def: $vgpr14
                                        ; implicit-def: $vgpr15
                                        ; implicit-def: $vgpr16
                                        ; implicit-def: $vgpr4
.LBB55_21:
	s_mul_hi_i32 s7, s28, s30
	s_mul_i32 s6, s28, s30
	s_sub_i32 s10, s38, s28
	s_lshl_b64 s[6:7], s[6:7], 2
	v_lshl_add_u32 v20, v60, 2, v67
	s_add_u32 s6, s31, s6
	v_mul_lo_u32 v8, s30, v20
	s_mov_b32 s12, 0
	s_addc_u32 s7, s39, s7
	v_ashrrev_i32_e32 v9, 31, v8
	s_mov_b32 s14, s12
	s_mov_b64 s[4:5], src_private_base
	v_lshlrev_b32_e32 v4, 2, v36
	v_mov_b32_e32 v5, 0
	s_mov_b32 s13, s12
	v_mov_b32_e32 v24, s14
	v_lshl_add_u64 v[6:7], v[8:9], 2, s[6:7]
	v_mov_b32_e32 v23, s13
	v_mov_b32_e32 v22, s12
	v_lshl_add_u64 v[6:7], v[6:7], 0, v[4:5]
	v_mov_b32_e32 v16, s5
	v_cmp_gt_i32_e32 vcc, s10, v20
	v_mov_b32_e32 v21, 0
	scratch_store_dword off, v5, off
	scratch_store_dwordx3 off, v[22:24], off offset:4
	v_cndmask_b32_e32 v11, v16, v7, vcc
	v_cndmask_b32_e32 v10, v21, v6, vcc
	flat_load_dwordx4 v[10:13], v[10:11]
	s_lshl_b32 s11, s30, 5
	v_add_u32_e32 v18, s11, v8
	v_ashrrev_i32_e32 v19, 31, v18
	s_movk_i32 s4, 0x90
	v_add_u32_e32 v14, 32, v20
	v_lshl_add_u64 v[8:9], v[18:19], 2, s[6:7]
	v_mad_u32_u24 v17, v20, s4, v4
	v_lshl_add_u64 v[8:9], v[8:9], 0, v[4:5]
	v_cmp_gt_i32_e64 s[8:9], s10, v14
	scratch_store_dword off, v5, off
	scratch_store_dwordx3 off, v[22:24], off offset:4
	v_cndmask_b32_e64 v15, v16, v9, s[8:9]
	v_cndmask_b32_e64 v14, v21, v8, s[8:9]
	v_add_u32_e32 v18, s11, v18
	v_ashrrev_i32_e32 v19, 31, v18
	v_add_u32_e32 v25, 64, v20
	v_cmp_gt_i32_e64 s[4:5], s10, v25
	s_mov_b64 s[12:13], 0x80
	s_waitcnt vmcnt(0) lgkmcnt(0)
	ds_write_b128 v17, v[10:13]
	flat_load_dwordx4 v[12:15], v[14:15]
	v_lshl_add_u64 v[10:11], v[18:19], 2, s[6:7]
	v_lshl_add_u64 v[10:11], v[10:11], 0, v[4:5]
	v_cndmask_b32_e64 v27, v16, v11, s[4:5]
	v_cndmask_b32_e64 v26, v21, v10, s[4:5]
	scratch_store_dword off, v5, off
	scratch_store_dwordx3 off, v[22:24], off offset:4
	s_waitcnt vmcnt(0) lgkmcnt(0)
	ds_write_b128 v17, v[12:15] offset:4608
	flat_load_dwordx4 v[38:41], v[26:27]
	v_add_u32_e32 v12, s11, v18
	v_ashrrev_i32_e32 v13, 31, v12
	v_add_u32_e32 v14, 0x60, v20
	v_lshl_add_u64 v[12:13], v[12:13], 2, s[6:7]
	v_lshl_add_u64 v[12:13], v[12:13], 0, v[4:5]
	v_cmp_gt_i32_e64 s[6:7], s10, v14
	scratch_store_dword off, v5, off
	scratch_store_dwordx3 off, v[22:24], off offset:4
	v_cndmask_b32_e64 v15, v16, v13, s[6:7]
	v_cndmask_b32_e64 v14, v21, v12, s[6:7]
	v_and_b32_e32 v4, 0x60, v66
	v_add_u32_e32 v19, v4, v29
	v_and_b32_e32 v18, 0x7f80, v66
	v_mov_b32_e32 v20, v5
	v_lshl_add_u64 v[26:27], v[6:7], 0, s[12:13]
	v_cndmask_b32_e32 v27, v16, v27, vcc
	v_cndmask_b32_e32 v26, v21, v26, vcc
	s_waitcnt vmcnt(0) lgkmcnt(0)
	ds_write_b128 v17, v[38:41] offset:9216
	flat_load_dwordx4 v[38:41], v[14:15]
	v_mul_u32_u24_e32 v15, 0x90, v19
	v_lshlrev_b32_e32 v14, 2, v18
	s_waitcnt vmcnt(0) lgkmcnt(0)
	ds_write_b128 v17, v[38:41] offset:13824
	s_waitcnt lgkmcnt(0)
	s_barrier
	ds_read_b128 v[38:41], v15
	ds_read_b128 v[42:45], v14 offset:18432
	s_waitcnt lgkmcnt(0)
	;;#ASMSTART
	v_dot2_f32_f16 v20, v38, v42, v20
	;;#ASMEND
	s_nop 0
	;;#ASMSTART
	v_dot2_f32_f16 v20, v39, v43, v20
	;;#ASMEND
	s_nop 0
	;;#ASMSTART
	v_dot2_f32_f16 v20, v40, v44, v20
	;;#ASMEND
	s_nop 0
	;;#ASMSTART
	v_dot2_f32_f16 v20, v41, v45, v20
	;;#ASMEND
	ds_read_b128 v[38:41], v15 offset:16
	ds_read_b128 v[42:45], v14 offset:18448
	s_waitcnt lgkmcnt(0)
	;;#ASMSTART
	v_dot2_f32_f16 v20, v38, v42, v20
	;;#ASMEND
	s_nop 0
	;;#ASMSTART
	v_dot2_f32_f16 v20, v39, v43, v20
	;;#ASMEND
	s_nop 0
	;;#ASMSTART
	v_dot2_f32_f16 v20, v40, v44, v20
	;;#ASMEND
	s_nop 0
	;;#ASMSTART
	v_dot2_f32_f16 v20, v41, v45, v20
	;;#ASMEND
	ds_read_b128 v[38:41], v15 offset:32
	;; [unrolled: 18-line block ×7, first 2 shown]
	ds_read_b128 v[42:45], v14 offset:18544
	s_waitcnt lgkmcnt(0)
	;;#ASMSTART
	v_dot2_f32_f16 v20, v38, v42, v20
	;;#ASMEND
	s_nop 0
	;;#ASMSTART
	v_dot2_f32_f16 v20, v39, v43, v20
	;;#ASMEND
	s_nop 0
	;; [unrolled: 4-line block ×3, first 2 shown]
	;;#ASMSTART
	v_dot2_f32_f16 v20, v41, v45, v20
	;;#ASMEND
	s_barrier
	scratch_store_dword off, v5, off
	scratch_store_dwordx3 off, v[22:24], off offset:4
	flat_load_dwordx4 v[38:41], v[26:27]
	v_lshl_add_u64 v[26:27], v[8:9], 0, s[12:13]
	v_cndmask_b32_e64 v27, v16, v27, s[8:9]
	v_cndmask_b32_e64 v26, v21, v26, s[8:9]
	scratch_store_dword off, v5, off
	scratch_store_dwordx3 off, v[22:24], off offset:4
	s_waitcnt vmcnt(0) lgkmcnt(0)
	ds_write_b128 v17, v[38:41]
	flat_load_dwordx4 v[38:41], v[26:27]
	v_lshl_add_u64 v[26:27], v[10:11], 0, s[12:13]
	v_cndmask_b32_e64 v27, v16, v27, s[4:5]
	v_cndmask_b32_e64 v26, v21, v26, s[4:5]
	scratch_store_dword off, v5, off
	scratch_store_dwordx3 off, v[22:24], off offset:4
	s_waitcnt vmcnt(0) lgkmcnt(0)
	ds_write_b128 v17, v[38:41] offset:4608
	flat_load_dwordx4 v[38:41], v[26:27]
	v_lshl_add_u64 v[26:27], v[12:13], 0, s[12:13]
	v_cndmask_b32_e64 v27, v16, v27, s[6:7]
	v_cndmask_b32_e64 v26, v21, v26, s[6:7]
	scratch_store_dword off, v5, off
	scratch_store_dwordx3 off, v[22:24], off offset:4
	s_mov_b64 s[12:13], 0x100
	s_waitcnt vmcnt(0) lgkmcnt(0)
	ds_write_b128 v17, v[38:41] offset:9216
	flat_load_dwordx4 v[38:41], v[26:27]
	v_lshl_add_u64 v[26:27], v[6:7], 0, s[12:13]
	v_cndmask_b32_e32 v27, v16, v27, vcc
	v_cndmask_b32_e32 v26, v21, v26, vcc
	s_waitcnt vmcnt(0) lgkmcnt(0)
	ds_write_b128 v17, v[38:41] offset:13824
	s_waitcnt lgkmcnt(0)
	s_barrier
	ds_read_b128 v[38:41], v15
	ds_read_b128 v[42:45], v14 offset:18560
	s_waitcnt lgkmcnt(0)
	;;#ASMSTART
	v_dot2_f32_f16 v20, v38, v42, v20
	;;#ASMEND
	s_nop 0
	;;#ASMSTART
	v_dot2_f32_f16 v20, v39, v43, v20
	;;#ASMEND
	s_nop 0
	;;#ASMSTART
	v_dot2_f32_f16 v20, v40, v44, v20
	;;#ASMEND
	s_nop 0
	;;#ASMSTART
	v_dot2_f32_f16 v20, v41, v45, v20
	;;#ASMEND
	ds_read_b128 v[38:41], v15 offset:16
	ds_read_b128 v[42:45], v14 offset:18576
	s_waitcnt lgkmcnt(0)
	;;#ASMSTART
	v_dot2_f32_f16 v20, v38, v42, v20
	;;#ASMEND
	s_nop 0
	;;#ASMSTART
	v_dot2_f32_f16 v20, v39, v43, v20
	;;#ASMEND
	s_nop 0
	;;#ASMSTART
	v_dot2_f32_f16 v20, v40, v44, v20
	;;#ASMEND
	s_nop 0
	;;#ASMSTART
	v_dot2_f32_f16 v20, v41, v45, v20
	;;#ASMEND
	ds_read_b128 v[38:41], v15 offset:32
	;; [unrolled: 18-line block ×7, first 2 shown]
	ds_read_b128 v[42:45], v14 offset:18672
	s_waitcnt lgkmcnt(0)
	;;#ASMSTART
	v_dot2_f32_f16 v20, v38, v42, v20
	;;#ASMEND
	s_nop 0
	;;#ASMSTART
	v_dot2_f32_f16 v20, v39, v43, v20
	;;#ASMEND
	s_nop 0
	;; [unrolled: 4-line block ×3, first 2 shown]
	;;#ASMSTART
	v_dot2_f32_f16 v20, v41, v45, v20
	;;#ASMEND
	s_barrier
	scratch_store_dword off, v5, off
	scratch_store_dwordx3 off, v[22:24], off offset:4
	flat_load_dwordx4 v[38:41], v[26:27]
	v_lshl_add_u64 v[26:27], v[8:9], 0, s[12:13]
	v_cndmask_b32_e64 v27, v16, v27, s[8:9]
	v_cndmask_b32_e64 v26, v21, v26, s[8:9]
	scratch_store_dword off, v5, off
	scratch_store_dwordx3 off, v[22:24], off offset:4
	s_waitcnt vmcnt(0) lgkmcnt(0)
	ds_write_b128 v17, v[38:41]
	flat_load_dwordx4 v[38:41], v[26:27]
	v_lshl_add_u64 v[26:27], v[10:11], 0, s[12:13]
	v_cndmask_b32_e64 v27, v16, v27, s[4:5]
	v_cndmask_b32_e64 v26, v21, v26, s[4:5]
	scratch_store_dword off, v5, off
	scratch_store_dwordx3 off, v[22:24], off offset:4
	s_waitcnt vmcnt(0) lgkmcnt(0)
	ds_write_b128 v17, v[38:41] offset:4608
	flat_load_dwordx4 v[38:41], v[26:27]
	v_lshl_add_u64 v[26:27], v[12:13], 0, s[12:13]
	v_cndmask_b32_e64 v27, v16, v27, s[6:7]
	v_cndmask_b32_e64 v26, v21, v26, s[6:7]
	scratch_store_dword off, v5, off
	scratch_store_dwordx3 off, v[22:24], off offset:4
	s_mov_b64 s[12:13], 0x180
	v_lshl_add_u64 v[6:7], v[6:7], 0, s[12:13]
	v_cndmask_b32_e32 v7, v16, v7, vcc
	v_cndmask_b32_e32 v6, v21, v6, vcc
	v_lshl_add_u64 v[10:11], v[10:11], 0, s[12:13]
	v_cndmask_b32_e64 v11, v16, v11, s[4:5]
	v_cndmask_b32_e64 v10, v21, v10, s[4:5]
	v_cmp_gt_i32_e32 vcc, s10, v19
	s_waitcnt vmcnt(0) lgkmcnt(0)
	ds_write_b128 v17, v[38:41] offset:9216
	flat_load_dwordx4 v[38:41], v[26:27]
	s_waitcnt vmcnt(0) lgkmcnt(0)
	ds_write_b128 v17, v[38:41] offset:13824
	s_waitcnt lgkmcnt(0)
	s_barrier
	ds_read_b128 v[38:41], v15
	ds_read_b128 v[42:45], v14 offset:18688
	s_waitcnt lgkmcnt(0)
	;;#ASMSTART
	v_dot2_f32_f16 v20, v38, v42, v20
	;;#ASMEND
	s_nop 0
	;;#ASMSTART
	v_dot2_f32_f16 v20, v39, v43, v20
	;;#ASMEND
	s_nop 0
	;;#ASMSTART
	v_dot2_f32_f16 v20, v40, v44, v20
	;;#ASMEND
	s_nop 0
	;;#ASMSTART
	v_dot2_f32_f16 v20, v41, v45, v20
	;;#ASMEND
	ds_read_b128 v[38:41], v15 offset:16
	ds_read_b128 v[42:45], v14 offset:18704
	s_waitcnt lgkmcnt(0)
	;;#ASMSTART
	v_dot2_f32_f16 v20, v38, v42, v20
	;;#ASMEND
	s_nop 0
	;;#ASMSTART
	v_dot2_f32_f16 v20, v39, v43, v20
	;;#ASMEND
	s_nop 0
	;;#ASMSTART
	v_dot2_f32_f16 v20, v40, v44, v20
	;;#ASMEND
	s_nop 0
	;;#ASMSTART
	v_dot2_f32_f16 v20, v41, v45, v20
	;;#ASMEND
	ds_read_b128 v[38:41], v15 offset:32
	;; [unrolled: 18-line block ×7, first 2 shown]
	ds_read_b128 v[42:45], v14 offset:18800
	s_waitcnt lgkmcnt(0)
	;;#ASMSTART
	v_dot2_f32_f16 v20, v38, v42, v20
	;;#ASMEND
	s_nop 0
	;;#ASMSTART
	v_dot2_f32_f16 v20, v39, v43, v20
	;;#ASMEND
	s_nop 0
	;; [unrolled: 4-line block ×3, first 2 shown]
	;;#ASMSTART
	v_dot2_f32_f16 v20, v41, v45, v20
	;;#ASMEND
	s_barrier
	scratch_store_dword off, v5, off
	scratch_store_dwordx3 off, v[22:24], off offset:4
	flat_load_dwordx4 v[38:41], v[6:7]
	v_lshl_add_u64 v[6:7], v[8:9], 0, s[12:13]
	v_cndmask_b32_e64 v7, v16, v7, s[8:9]
	v_cndmask_b32_e64 v6, v21, v6, s[8:9]
	scratch_store_dword off, v5, off
	scratch_store_dwordx3 off, v[22:24], off offset:4
	s_waitcnt vmcnt(0) lgkmcnt(0)
	ds_write_b128 v17, v[38:41]
	flat_load_dwordx4 v[6:9], v[6:7]
	s_nop 0
	scratch_store_dword off, v5, off
	scratch_store_dwordx3 off, v[22:24], off offset:4
	s_waitcnt vmcnt(0) lgkmcnt(0)
	ds_write_b128 v17, v[6:9] offset:4608
	flat_load_dwordx4 v[6:9], v[10:11]
	v_lshl_add_u64 v[10:11], v[12:13], 0, s[12:13]
	v_cndmask_b32_e64 v11, v16, v11, s[6:7]
	v_cndmask_b32_e64 v10, v21, v10, s[6:7]
	scratch_store_dword off, v5, off
	scratch_store_dwordx3 off, v[22:24], off offset:4
	s_waitcnt vmcnt(0) lgkmcnt(0)
	ds_write_b128 v17, v[6:9] offset:9216
	flat_load_dwordx4 v[6:9], v[10:11]
	s_waitcnt vmcnt(0) lgkmcnt(0)
	ds_write_b128 v17, v[6:9] offset:13824
	s_waitcnt lgkmcnt(0)
	s_barrier
	ds_read_b128 v[6:9], v15
	ds_read_b128 v[10:13], v14 offset:18816
	s_waitcnt lgkmcnt(0)
	;;#ASMSTART
	v_dot2_f32_f16 v20, v6, v10, v20
	;;#ASMEND
	s_nop 0
	;;#ASMSTART
	v_dot2_f32_f16 v20, v7, v11, v20
	;;#ASMEND
	s_nop 0
	;;#ASMSTART
	v_dot2_f32_f16 v20, v8, v12, v20
	;;#ASMEND
	s_nop 0
	;;#ASMSTART
	v_dot2_f32_f16 v20, v9, v13, v20
	;;#ASMEND
	ds_read_b128 v[6:9], v15 offset:16
	ds_read_b128 v[10:13], v14 offset:18832
	s_waitcnt lgkmcnt(0)
	;;#ASMSTART
	v_dot2_f32_f16 v20, v6, v10, v20
	;;#ASMEND
	s_nop 0
	;;#ASMSTART
	v_dot2_f32_f16 v20, v7, v11, v20
	;;#ASMEND
	s_nop 0
	;;#ASMSTART
	v_dot2_f32_f16 v20, v8, v12, v20
	;;#ASMEND
	s_nop 0
	;;#ASMSTART
	v_dot2_f32_f16 v20, v9, v13, v20
	;;#ASMEND
	ds_read_b128 v[6:9], v15 offset:32
	;; [unrolled: 18-line block ×7, first 2 shown]
	ds_read_b128 v[10:13], v14 offset:18928
	s_waitcnt lgkmcnt(0)
	;;#ASMSTART
	v_dot2_f32_f16 v20, v6, v10, v20
	;;#ASMEND
	s_nop 0
	;;#ASMSTART
	v_dot2_f32_f16 v20, v7, v11, v20
	;;#ASMEND
	v_mov_b32_e32 v6, v34
	;;#ASMSTART
	v_dot2_f32_f16 v20, v8, v12, v20
	;;#ASMEND
	s_nop 0
	;;#ASMSTART
	v_dot2_f32_f16 v20, v9, v13, v20
	;;#ASMEND
	s_and_saveexec_b64 s[4:5], vcc
	s_cbranch_execz .LBB55_25
; %bb.22:
	s_cmp_eq_u64 s[36:37], 0
	s_cbranch_scc1 .LBB55_24
; %bb.23:
	v_mul_hi_u32 v5, s24, v37
	v_add_u32_e32 v5, v37, v5
	v_lshrrev_b32_e32 v5, s25, v5
	v_mul_lo_u32 v5, v5, s26
	v_sub_u32_e32 v5, v37, v5
	v_mul_lo_u32 v5, v5, s29
	v_add3_u32 v6, v5, v19, s28
	v_ashrrev_i32_e32 v7, 31, v6
	v_lshl_add_u64 v[6:7], v[6:7], 1, s[36:37]
	global_load_ushort v5, v[6:7], off
	s_waitcnt vmcnt(0)
	v_cvt_f32_f16_e32 v5, v5
	v_mul_f32_e32 v5, v64, v5
.LBB55_24:
	v_add_f32_e32 v20, v20, v5
	v_add_f32_e32 v5, 0x40051340, v20
	v_max_f32_e32 v6, v34, v34
	v_max_f32_e32 v6, v6, v5
.LBB55_25:
	s_or_b64 exec, exec, s[4:5]
	v_mbcnt_hi_u32_b32 v10, -1, v65
	v_and_b32_e32 v5, 0x60, v10
	v_add_u32_e32 v11, 32, v5
	v_xor_b32_e32 v12, 16, v10
	v_cmp_lt_i32_e32 vcc, v12, v11
	v_xor_b32_e32 v13, 8, v10
	v_xor_b32_e32 v14, 4, v10
	v_cndmask_b32_e32 v5, v10, v12, vcc
	v_lshlrev_b32_e32 v5, 2, v5
	ds_bpermute_b32 v5, v5, v6
	v_cmp_lt_i32_e32 vcc, v13, v11
	v_max_f32_e32 v6, v6, v6
	v_xor_b32_e32 v15, 2, v10
	v_cndmask_b32_e32 v7, v10, v13, vcc
	s_waitcnt lgkmcnt(0)
	v_max_f32_e32 v5, v5, v5
	v_lshlrev_b32_e32 v7, 2, v7
	v_max_f32_e32 v5, v6, v5
	ds_bpermute_b32 v6, v7, v5
	v_cmp_lt_i32_e32 vcc, v14, v11
	v_xor_b32_e32 v16, 1, v10
	s_waitcnt lgkmcnt(0)
	v_max_f32_e32 v6, v6, v6
	v_cndmask_b32_e32 v7, v10, v14, vcc
	v_lshlrev_b32_e32 v7, 2, v7
	v_max_f32_e32 v5, v5, v6
	ds_bpermute_b32 v6, v7, v5
	v_cmp_lt_i32_e32 vcc, v15, v11
	s_waitcnt lgkmcnt(0)
	v_max_f32_e32 v6, v6, v6
	v_cndmask_b32_e32 v7, v10, v15, vcc
	v_lshlrev_b32_e32 v7, 2, v7
	v_max_f32_e32 v5, v5, v6
	ds_bpermute_b32 v6, v7, v5
	v_cmp_lt_i32_e32 vcc, v16, v11
	s_waitcnt lgkmcnt(0)
	v_max_f32_e32 v6, v6, v6
	v_cndmask_b32_e32 v7, v10, v16, vcc
	v_lshlrev_b32_e32 v7, 2, v7
	v_max_f32_e32 v5, v5, v6
	ds_bpermute_b32 v6, v7, v5
	v_cmp_eq_u32_e32 vcc, 0, v29
	s_and_saveexec_b64 s[4:5], vcc
	s_cbranch_execz .LBB55_27
; %bb.26:
	s_waitcnt lgkmcnt(0)
	v_max_f32_e32 v6, v6, v6
	v_max_f32_e32 v5, v5, v5
	;; [unrolled: 1-line block ×3, first 2 shown]
	ds_write_b32 v61, v5 offset:20000
.LBB55_27:
	s_or_b64 exec, exec, s[4:5]
	s_movk_i32 s4, 0x3fc
	v_and_or_b32 v5, v60, s4, v31
	v_lshlrev_b32_e32 v5, 2, v5
	s_waitcnt lgkmcnt(0)
	s_barrier
	ds_read_b32 v5, v5 offset:20000
	v_and_b32_e32 v6, 0x7c, v10
	v_add_u32_e32 v6, 4, v6
	v_cmp_lt_i32_e32 vcc, v15, v6
	s_mov_b32 s6, 0x3fb8aa3b
	s_mov_b32 s7, 0xc2ce8ed0
	v_cndmask_b32_e32 v7, v10, v15, vcc
	v_lshlrev_b32_e32 v7, 2, v7
	s_waitcnt lgkmcnt(0)
	ds_bpermute_b32 v7, v7, v5
	v_cmp_lt_i32_e32 vcc, v16, v6
	v_max_f32_e32 v5, v5, v5
	s_mov_b32 s8, 0x42b17218
	v_cndmask_b32_e32 v6, v10, v16, vcc
	s_waitcnt lgkmcnt(0)
	v_max_f32_e32 v7, v7, v7
	v_max_f32_e32 v5, v5, v7
	v_lshlrev_b32_e32 v6, 2, v6
	ds_bpermute_b32 v6, v6, v5
	v_cmp_gt_u32_e32 vcc, s10, v19
	v_lshlrev_b32_e32 v4, 1, v4
	v_ashrrev_i32_e32 v33, 31, v32
	s_mov_b32 s12, 0
	s_waitcnt lgkmcnt(0)
	v_max_f32_e32 v6, v6, v6
	v_max_f32_e32 v17, v5, v6
	v_sub_f32_e32 v5, v20, v17
	v_mul_f32_e32 v6, 0x3fb8aa3b, v5
	v_fma_f32 v7, v5, s6, -v6
	v_rndne_f32_e32 v8, v6
	v_fmac_f32_e32 v7, 0x32a5705f, v5
	v_sub_f32_e32 v6, v6, v8
	v_add_f32_e32 v6, v6, v7
	v_exp_f32_e32 v6, v6
	v_cvt_i32_f32_e32 v7, v8
	v_cmp_ngt_f32_e64 s[4:5], s7, v5
	s_mov_b32 s14, s12
	v_mov_b32_e32 v31, 0
	v_ldexp_f32 v6, v6, v7
	v_mov_b32_e32 v7, 0x4c00
	v_lshl_add_u32 v8, v18, 1, v7
	v_sub_f32_e32 v7, v34, v17
	v_mul_f32_e32 v9, 0x3fb8aa3b, v7
	v_fma_f32 v18, v7, s6, -v9
	v_rndne_f32_e32 v19, v9
	v_fmac_f32_e32 v18, 0x32a5705f, v7
	v_sub_f32_e32 v9, v9, v19
	v_add_f32_e32 v9, v9, v18
	v_exp_f32_e32 v9, v9
	v_cvt_i32_f32_e32 v18, v19
	v_cndmask_b32_e64 v6, 0, v6, s[4:5]
	v_cmp_nlt_f32_e64 s[4:5], s8, v5
	v_mov_b32_e32 v5, 0x7f800000
	v_ldexp_f32 v9, v9, v18
	v_cndmask_b32_e64 v6, v5, v6, s[4:5]
	v_cndmask_b32_e32 v6, 0, v6, vcc
	v_cmp_ngt_f32_e32 vcc, s7, v7
	s_mov_b64 s[4:5], src_private_base
	s_mul_hi_i32 s7, s28, s2
	v_cndmask_b32_e32 v9, 0, v9, vcc
	v_cmp_nlt_f32_e32 vcc, s8, v7
	s_mul_i32 s6, s28, s2
	s_lshl_b32 s4, s2, 3
	v_cndmask_b32_e32 v5, v5, v9, vcc
	v_fma_f32 v35, v35, v5, v6
	v_cvt_f16_f32_e32 v5, v5
	s_lshl_b64 s[6:7], s[6:7], 2
	s_add_u32 s6, s18, s6
	v_lshl_add_u32 v18, v62, 1, v8
	v_mul_u32_u24_e32 v27, 0x10001, v5
	v_pk_mul_f16 v47, v2, v27
	v_cvt_f16_f32_e32 v2, v6
	v_pk_mul_f16 v50, v3, v27
	v_lshlrev_b32_e32 v3, 1, v29
	v_add3_u32 v3, v8, v4, v3
	s_addc_u32 s7, s19, s7
	v_lshlrev_b64 v[8:9], 2, v[32:33]
	ds_write_b16 v3, v2
	s_mov_b32 s13, s12
	v_mov_b32_e32 v46, s14
	v_lshl_add_u64 v[2:3], s[6:7], 0, v[8:9]
	v_mov_b32_e32 v45, s13
	v_mov_b32_e32 v44, s12
	v_cmp_gt_i32_e32 vcc, s10, v60
	v_lshl_add_u64 v[2:3], v[2:3], 0, v[30:31]
	v_mov_b32_e32 v38, s5
	v_mov_b32_e32 v39, 0
	scratch_store_dword off, v31, off
	scratch_store_dwordx3 off, v[44:46], off offset:4
	v_cndmask_b32_e32 v3, v38, v3, vcc
	v_cndmask_b32_e32 v2, v39, v2, vcc
	flat_load_dwordx4 v[2:5], v[2:3]
	v_add_u32_e32 v6, s4, v32
	v_lshl_add_u32 v20, v60, 9, v30
	v_ashrrev_i32_e32 v7, 31, v6
	v_add_u32_e32 v36, 8, v60
	v_cmp_gt_i32_e32 vcc, s10, v36
	v_add_u32_e32 v24, s4, v6
	v_lshl_add_u32 v26, v36, 9, v30
	v_ashrrev_i32_e32 v25, 31, v24
	v_add_u32_e32 v34, 16, v60
	v_add_u32_e32 v48, s4, v24
	v_ashrrev_i32_e32 v49, 31, v48
	v_add_u32_e32 v23, 24, v60
	v_lshl_add_u32 v22, v34, 9, v30
	v_lshl_add_u32 v19, v23, 9, v30
	;; [unrolled: 1-line block ×3, first 2 shown]
	s_or_b32 s4, s28, 32
	s_mul_hi_i32 s5, s4, s2
	s_mul_i32 s4, s4, s2
	s_lshl_b64 s[4:5], s[4:5], 2
	s_add_u32 s4, s18, s4
	s_addc_u32 s5, s19, s5
	s_waitcnt vmcnt(0) lgkmcnt(0)
	ds_write_b128 v20, v[2:5]
	v_lshlrev_b64 v[2:3], 2, v[6:7]
	v_lshl_add_u64 v[4:5], s[6:7], 0, v[2:3]
	v_lshl_add_u64 v[4:5], v[4:5], 0, v[30:31]
	scratch_store_dword off, v31, off
	scratch_store_dwordx3 off, v[44:46], off offset:4
	v_cndmask_b32_e32 v5, v38, v5, vcc
	v_cndmask_b32_e32 v4, v39, v4, vcc
	flat_load_dwordx4 v[4:7], v[4:5]
	v_cmp_gt_i32_e32 vcc, s10, v34
	s_waitcnt vmcnt(0) lgkmcnt(0)
	ds_write_b128 v26, v[4:7]
	v_lshlrev_b64 v[4:5], 2, v[24:25]
	v_lshl_add_u64 v[6:7], s[6:7], 0, v[4:5]
	v_lshl_add_u64 v[6:7], v[6:7], 0, v[30:31]
	scratch_store_dword off, v31, off
	scratch_store_dwordx3 off, v[44:46], off offset:4
	v_cndmask_b32_e32 v7, v38, v7, vcc
	v_cndmask_b32_e32 v6, v39, v6, vcc
	flat_load_dwordx4 v[40:43], v[6:7]
	v_lshlrev_b64 v[6:7], 2, v[48:49]
	v_lshl_add_u64 v[24:25], s[6:7], 0, v[6:7]
	v_cmp_gt_i32_e32 vcc, s10, v23
	v_lshl_add_u64 v[24:25], v[24:25], 0, v[30:31]
	s_sub_i32 s6, s10, 32
	v_cndmask_b32_e32 v25, v38, v25, vcc
	v_cndmask_b32_e32 v24, v39, v24, vcc
	v_cmp_gt_i32_e32 vcc, s6, v60
	s_waitcnt vmcnt(0) lgkmcnt(0)
	ds_write_b128 v22, v[40:43]
	scratch_store_dword off, v31, off
	scratch_store_dwordx3 off, v[44:46], off offset:4
	flat_load_dwordx4 v[40:43], v[24:25]
	s_waitcnt vmcnt(0) lgkmcnt(0)
	ds_write_b128 v19, v[40:43]
	s_waitcnt lgkmcnt(0)
	s_barrier
	ds_read2_b64 v[40:43], v21 offset1:32
	ds_read_u16 v24, v18
	ds_read_u16 v25, v18 offset:8
	ds_read_u16 v32, v18 offset:16
	;; [unrolled: 1-line block ×7, first 2 shown]
	s_waitcnt lgkmcnt(7)
	v_mul_u32_u24_e32 v24, 0x10001, v24
	v_pk_mul_f16 v40, v40, v24
	s_waitcnt lgkmcnt(6)
	v_mul_u32_u24_e32 v25, 0x10001, v25
	v_pk_fma_f16 v53, v0, v27, v40
	v_pk_mul_f16 v0, v41, v24
	s_waitcnt lgkmcnt(4)
	v_mul_u32_u24_e32 v33, 0x10001, v33
	v_pk_fma_f16 v1, v1, v27, v0
	v_add_u32_e32 v0, 0x800, v21
	v_pk_fma_f16 v27, v42, v24, v47
	v_pk_fma_f16 v24, v43, v24, v50
	ds_read2_b64 v[40:43], v0 offset1:32
	s_waitcnt lgkmcnt(4)
	v_mul_u32_u24_e32 v48, 0x10001, v48
	s_waitcnt lgkmcnt(0)
	v_pk_fma_f16 v50, v41, v25, v1
	v_add_u32_e32 v1, 0x1000, v21
	v_pk_fma_f16 v47, v40, v25, v53
	v_pk_fma_f16 v27, v42, v25, v27
	;; [unrolled: 1-line block ×3, first 2 shown]
	ds_read2_b64 v[40:43], v1 offset1:32
	v_mul_u32_u24_e32 v25, 0x10001, v32
	s_waitcnt lgkmcnt(0)
	v_pk_fma_f16 v32, v40, v25, v47
	v_pk_fma_f16 v47, v41, v25, v50
	;; [unrolled: 1-line block ×4, first 2 shown]
	v_add_u32_e32 v24, 0x1800, v21
	ds_read2_b64 v[40:43], v24 offset1:32
	s_waitcnt lgkmcnt(0)
	v_pk_fma_f16 v32, v40, v33, v32
	v_pk_fma_f16 v47, v41, v33, v47
	;; [unrolled: 1-line block ×4, first 2 shown]
	v_add_u32_e32 v25, 0x2000, v21
	ds_read2_b64 v[40:43], v25 offset1:32
	s_waitcnt lgkmcnt(0)
	v_pk_fma_f16 v50, v42, v48, v27
	v_add_u32_e32 v27, 0x2800, v21
	v_pk_fma_f16 v32, v40, v48, v32
	v_pk_fma_f16 v47, v41, v48, v47
	;; [unrolled: 1-line block ×3, first 2 shown]
	ds_read2_b64 v[40:43], v27 offset1:32
	v_mul_u32_u24_e32 v48, 0x10001, v49
	s_waitcnt lgkmcnt(0)
	v_pk_fma_f16 v49, v40, v48, v32
	v_add_u32_e32 v32, 0x3000, v21
	v_pk_fma_f16 v47, v41, v48, v47
	v_pk_fma_f16 v50, v42, v48, v50
	;; [unrolled: 1-line block ×3, first 2 shown]
	ds_read2_b64 v[40:43], v32 offset1:32
	v_mul_u32_u24_e32 v48, 0x10001, v51
	v_mul_u32_u24_e32 v51, 0x10001, v52
	s_waitcnt lgkmcnt(0)
	v_pk_fma_f16 v49, v40, v48, v49
	v_pk_fma_f16 v47, v41, v48, v47
	;; [unrolled: 1-line block ×4, first 2 shown]
	v_add_u32_e32 v33, 0x3800, v21
	ds_read2_b64 v[40:43], v33 offset1:32
	s_waitcnt lgkmcnt(0)
	s_barrier
	scratch_store_dword off, v31, off
	scratch_store_dwordx3 off, v[44:46], off offset:4
	v_pk_fma_f16 v49, v40, v51, v49
	v_pk_fma_f16 v47, v41, v51, v47
	v_lshl_add_u64 v[40:41], s[4:5], 0, v[8:9]
	v_lshl_add_u64 v[40:41], v[40:41], 0, v[30:31]
	v_cndmask_b32_e32 v41, v38, v41, vcc
	v_cndmask_b32_e32 v40, v39, v40, vcc
	v_pk_fma_f16 v50, v42, v51, v50
	v_pk_fma_f16 v48, v43, v51, v48
	flat_load_dwordx4 v[40:43], v[40:41]
	v_cmp_gt_i32_e32 vcc, s6, v36
	s_waitcnt vmcnt(0) lgkmcnt(0)
	ds_write_b128 v20, v[40:43]
	v_lshl_add_u64 v[40:41], s[4:5], 0, v[2:3]
	v_lshl_add_u64 v[40:41], v[40:41], 0, v[30:31]
	scratch_store_dword off, v31, off
	scratch_store_dwordx3 off, v[44:46], off offset:4
	v_cndmask_b32_e32 v41, v38, v41, vcc
	v_cndmask_b32_e32 v40, v39, v40, vcc
	flat_load_dwordx4 v[40:43], v[40:41]
	v_cmp_gt_i32_e32 vcc, s6, v34
	s_waitcnt vmcnt(0) lgkmcnt(0)
	ds_write_b128 v26, v[40:43]
	v_lshl_add_u64 v[40:41], s[4:5], 0, v[4:5]
	v_lshl_add_u64 v[40:41], v[40:41], 0, v[30:31]
	scratch_store_dword off, v31, off
	scratch_store_dwordx3 off, v[44:46], off offset:4
	v_cndmask_b32_e32 v41, v38, v41, vcc
	v_cndmask_b32_e32 v40, v39, v40, vcc
	;; [unrolled: 10-line block ×3, first 2 shown]
	flat_load_dwordx4 v[40:43], v[40:41]
	s_or_b32 s4, s28, 64
	s_mul_hi_i32 s5, s4, s2
	s_mul_i32 s4, s4, s2
	s_lshl_b64 s[4:5], s[4:5], 2
	s_add_u32 s4, s18, s4
	s_addc_u32 s5, s19, s5
	s_sub_i32 s6, s10, 64
	v_cmp_gt_i32_e32 vcc, s6, v60
	s_waitcnt vmcnt(0) lgkmcnt(0)
	ds_write_b128 v19, v[40:43]
	s_waitcnt lgkmcnt(0)
	s_barrier
	ds_read2_b64 v[40:43], v21 offset1:32
	ds_read_u16 v51, v18 offset:64
	ds_read_u16 v52, v18 offset:72
	;; [unrolled: 1-line block ×8, first 2 shown]
	s_waitcnt lgkmcnt(7)
	v_mul_u32_u24_e32 v51, 0x10001, v51
	v_pk_fma_f16 v49, v40, v51, v49
	v_pk_fma_f16 v47, v41, v51, v47
	v_pk_fma_f16 v50, v42, v51, v50
	v_pk_fma_f16 v48, v43, v51, v48
	ds_read2_b64 v[40:43], v0 offset1:32
	s_waitcnt lgkmcnt(7)
	v_mul_u32_u24_e32 v51, 0x10001, v52
	s_waitcnt lgkmcnt(0)
	v_pk_fma_f16 v49, v40, v51, v49
	v_pk_fma_f16 v47, v41, v51, v47
	v_pk_fma_f16 v50, v42, v51, v50
	v_pk_fma_f16 v48, v43, v51, v48
	ds_read2_b64 v[40:43], v1 offset1:32
	v_mul_u32_u24_e32 v51, 0x10001, v53
	s_waitcnt lgkmcnt(0)
	v_pk_fma_f16 v49, v40, v51, v49
	v_pk_fma_f16 v47, v41, v51, v47
	v_pk_fma_f16 v50, v42, v51, v50
	v_pk_fma_f16 v48, v43, v51, v48
	ds_read2_b64 v[40:43], v24 offset1:32
	;; [unrolled: 7-line block ×6, first 2 shown]
	v_mul_u32_u24_e32 v51, 0x10001, v58
	s_waitcnt lgkmcnt(0)
	s_barrier
	v_pk_fma_f16 v49, v40, v51, v49
	v_pk_fma_f16 v47, v41, v51, v47
	v_lshl_add_u64 v[40:41], s[4:5], 0, v[8:9]
	v_lshl_add_u64 v[40:41], v[40:41], 0, v[30:31]
	scratch_store_dword off, v31, off
	scratch_store_dwordx3 off, v[44:46], off offset:4
	v_cndmask_b32_e32 v41, v38, v41, vcc
	v_cndmask_b32_e32 v40, v39, v40, vcc
	v_pk_fma_f16 v50, v42, v51, v50
	v_pk_fma_f16 v48, v43, v51, v48
	flat_load_dwordx4 v[40:43], v[40:41]
	v_cmp_gt_i32_e32 vcc, s6, v36
	s_waitcnt vmcnt(0) lgkmcnt(0)
	ds_write_b128 v20, v[40:43]
	v_lshl_add_u64 v[40:41], s[4:5], 0, v[2:3]
	v_lshl_add_u64 v[40:41], v[40:41], 0, v[30:31]
	scratch_store_dword off, v31, off
	scratch_store_dwordx3 off, v[44:46], off offset:4
	v_cndmask_b32_e32 v41, v38, v41, vcc
	v_cndmask_b32_e32 v40, v39, v40, vcc
	flat_load_dwordx4 v[40:43], v[40:41]
	v_cmp_gt_i32_e32 vcc, s6, v34
	s_waitcnt vmcnt(0) lgkmcnt(0)
	ds_write_b128 v26, v[40:43]
	v_lshl_add_u64 v[40:41], s[4:5], 0, v[4:5]
	v_lshl_add_u64 v[40:41], v[40:41], 0, v[30:31]
	scratch_store_dword off, v31, off
	scratch_store_dwordx3 off, v[44:46], off offset:4
	v_cndmask_b32_e32 v41, v38, v41, vcc
	v_cndmask_b32_e32 v40, v39, v40, vcc
	;; [unrolled: 10-line block ×3, first 2 shown]
	flat_load_dwordx4 v[40:43], v[40:41]
	s_or_b32 s4, s28, 0x60
	s_mul_hi_i32 s5, s4, s2
	s_mul_i32 s4, s4, s2
	s_lshl_b64 s[4:5], s[4:5], 2
	s_add_u32 s4, s18, s4
	s_addc_u32 s5, s19, s5
	s_addk_i32 s10, 0xffa0
	v_lshl_add_u64 v[8:9], s[4:5], 0, v[8:9]
	v_cmp_gt_i32_e32 vcc, s10, v60
	v_lshl_add_u64 v[8:9], v[8:9], 0, v[30:31]
	v_lshl_add_u64 v[2:3], s[4:5], 0, v[2:3]
	v_cndmask_b32_e32 v9, v38, v9, vcc
	v_cndmask_b32_e32 v8, v39, v8, vcc
	v_cmp_gt_i32_e32 vcc, s10, v36
	v_lshl_add_u64 v[2:3], v[2:3], 0, v[30:31]
	s_waitcnt vmcnt(0) lgkmcnt(0)
	ds_write_b128 v19, v[40:43]
	s_waitcnt lgkmcnt(0)
	s_barrier
	ds_read2_b64 v[40:43], v21 offset1:32
	ds_read_u16 v51, v18 offset:128
	ds_read_u16 v52, v18 offset:136
	ds_read_u16 v53, v18 offset:144
	ds_read_u16 v54, v18 offset:152
	ds_read_u16 v55, v18 offset:160
	ds_read_u16 v56, v18 offset:168
	ds_read_u16 v57, v18 offset:176
	ds_read_u16 v58, v18 offset:184
	s_waitcnt lgkmcnt(7)
	v_mul_u32_u24_e32 v51, 0x10001, v51
	v_pk_fma_f16 v49, v40, v51, v49
	v_pk_fma_f16 v47, v41, v51, v47
	;; [unrolled: 1-line block ×4, first 2 shown]
	ds_read2_b64 v[40:43], v0 offset1:32
	s_waitcnt lgkmcnt(7)
	v_mul_u32_u24_e32 v51, 0x10001, v52
	v_cndmask_b32_e32 v3, v38, v3, vcc
	v_cndmask_b32_e32 v2, v39, v2, vcc
	v_cmp_gt_i32_e32 vcc, s10, v34
	s_waitcnt lgkmcnt(0)
	v_pk_fma_f16 v49, v40, v51, v49
	v_pk_fma_f16 v47, v41, v51, v47
	;; [unrolled: 1-line block ×4, first 2 shown]
	ds_read2_b64 v[40:43], v1 offset1:32
	v_mul_u32_u24_e32 v51, 0x10001, v53
	v_mov_b32_e32 v34, v17
	s_waitcnt lgkmcnt(0)
	v_pk_fma_f16 v49, v40, v51, v49
	v_pk_fma_f16 v47, v41, v51, v47
	v_pk_fma_f16 v50, v42, v51, v50
	v_pk_fma_f16 v48, v43, v51, v48
	ds_read2_b64 v[40:43], v24 offset1:32
	v_mul_u32_u24_e32 v51, 0x10001, v54
	s_waitcnt lgkmcnt(0)
	v_pk_fma_f16 v49, v40, v51, v49
	v_pk_fma_f16 v47, v41, v51, v47
	v_pk_fma_f16 v50, v42, v51, v50
	v_pk_fma_f16 v48, v43, v51, v48
	ds_read2_b64 v[40:43], v25 offset1:32
	v_mul_u32_u24_e32 v51, 0x10001, v55
	;; [unrolled: 7-line block ×5, first 2 shown]
	s_waitcnt lgkmcnt(0)
	s_barrier
	scratch_store_dword off, v31, off
	scratch_store_dwordx3 off, v[44:46], off offset:4
	v_pk_fma_f16 v40, v40, v51, v49
	v_pk_fma_f16 v41, v41, v51, v47
	;; [unrolled: 1-line block ×4, first 2 shown]
	flat_load_dwordx4 v[48:51], v[8:9]
	s_waitcnt vmcnt(0) lgkmcnt(0)
	ds_write_b128 v20, v[48:51]
	scratch_store_dword off, v31, off
	scratch_store_dwordx3 off, v[44:46], off offset:4
	flat_load_dwordx4 v[48:51], v[2:3]
	v_lshl_add_u64 v[2:3], s[4:5], 0, v[4:5]
	v_lshl_add_u64 v[2:3], v[2:3], 0, v[30:31]
	v_cndmask_b32_e32 v3, v38, v3, vcc
	v_cndmask_b32_e32 v2, v39, v2, vcc
	v_cmp_gt_i32_e32 vcc, s10, v23
	s_waitcnt vmcnt(0) lgkmcnt(0)
	ds_write_b128 v26, v[48:51]
	scratch_store_dword off, v31, off
	scratch_store_dwordx3 off, v[44:46], off offset:4
	flat_load_dwordx4 v[2:5], v[2:3]
	s_waitcnt vmcnt(0) lgkmcnt(0)
	ds_write_b128 v22, v[2:5]
	v_lshl_add_u64 v[2:3], s[4:5], 0, v[6:7]
	v_lshl_add_u64 v[2:3], v[2:3], 0, v[30:31]
	scratch_store_dword off, v31, off
	scratch_store_dwordx3 off, v[44:46], off offset:4
	v_cndmask_b32_e32 v3, v38, v3, vcc
	v_cndmask_b32_e32 v2, v39, v2, vcc
	flat_load_dwordx4 v[2:5], v[2:3]
	s_waitcnt vmcnt(0) lgkmcnt(0)
	ds_write_b128 v19, v[2:5]
	s_waitcnt lgkmcnt(0)
	s_barrier
	ds_read2_b64 v[2:5], v21 offset1:32
	ds_read_u16 v6, v18 offset:192
	ds_read_u16 v7, v18 offset:200
	;; [unrolled: 1-line block ×8, first 2 shown]
	s_waitcnt lgkmcnt(7)
	v_mul_u32_u24_e32 v6, 0x10001, v6
	v_pk_fma_f16 v22, v2, v6, v40
	v_pk_fma_f16 v23, v3, v6, v41
	;; [unrolled: 1-line block ×4, first 2 shown]
	ds_read2_b64 v[2:5], v0 offset1:32
	s_waitcnt lgkmcnt(7)
	v_mul_u32_u24_e32 v0, 0x10001, v7
	s_waitcnt lgkmcnt(0)
	v_pk_fma_f16 v7, v2, v0, v22
	v_pk_fma_f16 v22, v3, v0, v23
	v_pk_fma_f16 v4, v4, v0, v26
	v_pk_fma_f16 v5, v5, v0, v6
	ds_read2_b64 v[0:3], v1 offset1:32
	v_mul_u32_u24_e32 v6, 0x10001, v8
	s_waitcnt lgkmcnt(0)
	v_pk_fma_f16 v7, v0, v6, v7
	v_pk_fma_f16 v8, v1, v6, v22
	v_pk_fma_f16 v4, v2, v6, v4
	v_pk_fma_f16 v5, v3, v6, v5
	ds_read2_b64 v[0:3], v24 offset1:32
	;; [unrolled: 7-line block ×6, first 2 shown]
	v_mul_u32_u24_e32 v6, 0x10001, v18
	s_waitcnt lgkmcnt(0)
	s_barrier
	v_pk_fma_f16 v0, v0, v6, v7
	v_pk_fma_f16 v1, v1, v6, v8
	v_pk_fma_f16 v2, v2, v6, v4
	v_pk_fma_f16 v3, v3, v6, v5
.LBB55_28:
	v_cmp_lt_i32_e32 vcc, v12, v11
	v_cmp_ne_u32_e64 s[4:5], 0, v62
	s_nop 0
	v_cndmask_b32_e32 v4, v10, v12, vcc
	v_lshlrev_b32_e32 v4, 2, v4
	ds_bpermute_b32 v4, v4, v35
	v_cmp_lt_i32_e32 vcc, v13, v11
	s_waitcnt lgkmcnt(0)
	v_add_f32_e32 v4, v35, v4
	v_cndmask_b32_e32 v5, v10, v13, vcc
	v_lshlrev_b32_e32 v5, 2, v5
	ds_bpermute_b32 v5, v5, v4
	v_cmp_lt_i32_e32 vcc, v14, v11
	s_waitcnt lgkmcnt(0)
	v_add_f32_e32 v4, v4, v5
	;; [unrolled: 6-line block ×4, first 2 shown]
	v_cndmask_b32_e32 v6, v10, v16, vcc
	v_lshlrev_b32_e32 v6, 2, v6
	ds_bpermute_b32 v5, v6, v4
	v_cmp_eq_u32_e32 vcc, 0, v62
	s_waitcnt lgkmcnt(0)
	v_add_f32_e32 v35, v4, v5
	s_and_saveexec_b64 s[6:7], s[4:5]
	s_xor_b64 s[6:7], exec, s[6:7]
	s_cbranch_execnz .LBB55_32
; %bb.29:
	s_andn2_saveexec_b64 s[4:5], s[6:7]
	s_cbranch_execnz .LBB55_35
.LBB55_30:
	s_or_b64 exec, exec, s[4:5]
	s_and_saveexec_b64 s[4:5], vcc
	s_cbranch_execnz .LBB55_36
.LBB55_31:
	s_endpgm
.LBB55_32:
	v_lshlrev_b32_e32 v4, 4, v29
	v_lshl_add_u32 v4, v60, 9, v4
	v_cmp_eq_u32_e64 s[4:5], 0, v29
	ds_write_b128 v4, v[0:3]
	s_and_saveexec_b64 s[8:9], s[4:5]
; %bb.33:
	ds_write_b32 v61, v35 offset:18432
; %bb.34:
	s_or_b64 exec, exec, s[8:9]
                                        ; implicit-def: $vgpr60
                                        ; implicit-def: $vgpr61
	s_andn2_saveexec_b64 s[4:5], s[6:7]
	s_cbranch_execz .LBB55_30
.LBB55_35:
	v_lshlrev_b32_e32 v4, 9, v60
	v_lshl_add_u32 v14, v29, 4, v4
	s_waitcnt lgkmcnt(0)
	s_barrier
	ds_read_b128 v[4:7], v14 offset:512
	ds_read_b128 v[8:11], v14 offset:1024
	s_waitcnt lgkmcnt(1)
	v_pk_add_f16 v4, v4, v0
	v_add_u32_e32 v0, 0x4804, v61
	ds_read2_b32 v[12:13], v0 offset1:1
	v_pk_add_f16 v5, v5, v1
	v_pk_add_f16 v6, v6, v2
	;; [unrolled: 1-line block ×3, first 2 shown]
	s_waitcnt lgkmcnt(1)
	v_pk_add_f16 v5, v9, v5
	ds_read_b32 v9, v61 offset:18444
	ds_read_b128 v[0:3], v14 offset:1536
	s_waitcnt lgkmcnt(2)
	v_add_f32_e32 v12, v35, v12
	v_pk_add_f16 v4, v8, v4
	v_pk_add_f16 v6, v10, v6
	;; [unrolled: 1-line block ×3, first 2 shown]
	v_add_f32_e32 v8, v12, v13
	s_waitcnt lgkmcnt(0)
	v_pk_add_f16 v0, v0, v4
	v_pk_add_f16 v1, v1, v5
	;; [unrolled: 1-line block ×4, first 2 shown]
	v_add_f32_e32 v35, v8, v9
	s_or_b64 exec, exec, s[4:5]
	s_and_saveexec_b64 s[4:5], vcc
	s_cbranch_execz .LBB55_31
.LBB55_36:
	s_cmp_eq_u64 s[16:17], 0
	s_cselect_b64 s[4:5], -1, 0
	s_cmp_lg_u32 s3, 0
	s_cselect_b64 s[6:7], -1, 0
	s_or_b64 s[4:5], s[6:7], s[4:5]
	s_and_b64 vcc, exec, s[4:5]
	s_cbranch_vccnz .LBB55_38
; %bb.37:
	s_lshl_b64 s[4:5], s[34:35], 2
	s_add_u32 s4, s16, s4
	s_addc_u32 s5, s17, s5
	v_mov_b32_e32 v4, 0
	global_load_dword v5, v4, s[4:5]
	v_max_f32_e32 v4, v34, v34
	s_mov_b32 s2, 0x3fb8aa3b
	s_mov_b32 s4, 0xc2ce8ed0
	s_waitcnt vmcnt(0)
	v_max_f32_e32 v6, v5, v5
	v_max_f32_e32 v4, v4, v6
	v_sub_f32_e32 v6, v34, v4
	v_sub_f32_e32 v5, v5, v4
	v_mul_f32_e32 v7, 0x3fb8aa3b, v6
	v_mul_f32_e32 v8, 0x3fb8aa3b, v5
	v_fma_f32 v9, v6, s2, -v7
	v_rndne_f32_e32 v10, v7
	v_fma_f32 v11, v5, s2, -v8
	v_rndne_f32_e32 v12, v8
	v_fmac_f32_e32 v9, 0x32a5705f, v6
	v_sub_f32_e32 v7, v7, v10
	v_fmac_f32_e32 v11, 0x32a5705f, v5
	v_sub_f32_e32 v8, v8, v12
	v_add_f32_e32 v7, v7, v9
	v_cvt_i32_f32_e32 v10, v10
	v_add_f32_e32 v8, v8, v11
	v_exp_f32_e32 v7, v7
	v_cvt_i32_f32_e32 v12, v12
	v_exp_f32_e32 v8, v8
	v_cmp_ngt_f32_e32 vcc, s4, v6
	v_ldexp_f32 v7, v7, v10
	s_mov_b32 s2, 0x42b17218
	v_ldexp_f32 v8, v8, v12
	v_cndmask_b32_e32 v7, 0, v7, vcc
	v_cmp_ngt_f32_e32 vcc, s4, v5
	v_mov_b32_e32 v9, 0x7f800000
	s_nop 0
	v_cndmask_b32_e32 v8, 0, v8, vcc
	v_cmp_nlt_f32_e32 vcc, s2, v6
	s_nop 1
	v_cndmask_b32_e32 v6, v9, v7, vcc
	v_cvt_f16_f32_e32 v7, v6
	v_cmp_nlt_f32_e32 vcc, s2, v5
	s_nop 1
	v_cndmask_b32_e32 v5, v9, v8, vcc
	v_fmac_f32_e32 v5, v35, v6
	v_mul_u32_u24_e32 v6, 0x10001, v7
	v_pk_mul_f16 v0, v0, v6
	v_pk_mul_f16 v1, v1, v6
	;; [unrolled: 1-line block ×4, first 2 shown]
	v_mov_b64_e32 v[34:35], v[4:5]
	v_cmp_gt_i32_e32 vcc, s26, v37
	s_and_b64 exec, exec, vcc
	s_cbranch_execz .LBB55_31
	s_branch .LBB55_39
.LBB55_38:
	v_mov_b32_e32 v5, v35
	v_cmp_gt_i32_e32 vcc, s26, v37
	s_and_b64 exec, exec, vcc
	s_cbranch_execz .LBB55_31
.LBB55_39:
	s_load_dword s2, s[0:1], 0xd4
	v_div_scale_f32 v4, s[0:1], v5, v5, 1.0
	v_rcp_f32_e32 v6, v4
	s_mul_i32 s33, s33, s26
	s_waitcnt lgkmcnt(0)
	s_cmp_lg_u32 s2, 1
	s_cselect_b64 s[0:1], -1, 0
	v_fma_f32 v7, -v4, v6, 1.0
	v_fmac_f32_e32 v6, v7, v6
	v_div_scale_f32 v7, vcc, 1.0, v5, 1.0
	v_mul_f32_e32 v8, v7, v6
	v_fma_f32 v9, -v4, v8, v7
	v_fmac_f32_e32 v8, v9, v6
	v_fma_f32 v4, -v4, v8, v7
	v_div_fmas_f32 v4, v4, v6, v8
	v_div_fixup_f32 v4, v4, v5, 1.0
	v_cndmask_b32_e64 v10, v4, 1.0, s[0:1]
	v_add_u32_e32 v4, s33, v37
	v_mul_lo_u32 v4, v4, s27
	v_add_u32_e32 v4, s34, v4
	v_cvt_f32_f16_sdwa v7, v0 dst_sel:DWORD dst_unused:UNUSED_PAD src0_sel:WORD_1
	v_cvt_f32_f16_e32 v6, v0
	v_cvt_f32_f16_sdwa v9, v1 dst_sel:DWORD dst_unused:UNUSED_PAD src0_sel:WORD_1
	v_cvt_f32_f16_e32 v8, v1
	v_mul_lo_u32 v4, s2, v4
	v_add_u32_e32 v4, s3, v4
	v_lshl_add_u32 v12, v4, 8, v28
	v_mov_b32_e32 v13, 0
	v_lshl_add_u64 v[0:1], v[12:13], 2, s[20:21]
	v_pk_mul_f32 v[6:7], v[10:11], v[6:7] op_sel_hi:[0,1]
	v_pk_mul_f32 v[8:9], v[10:11], v[8:9] op_sel_hi:[0,1]
	global_store_dwordx4 v[0:1], v[6:9], off
	v_cvt_f32_f16_sdwa v1, v2 dst_sel:DWORD dst_unused:UNUSED_PAD src0_sel:WORD_1
	v_cvt_f32_f16_e32 v0, v2
	v_cvt_f32_f16_sdwa v7, v3 dst_sel:DWORD dst_unused:UNUSED_PAD src0_sel:WORD_1
	v_cvt_f32_f16_e32 v6, v3
	v_cmp_eq_u32_e32 vcc, 0, v29
	v_add_u32_e32 v12, 0x80, v12
	s_and_b64 s[0:1], vcc, s[0:1]
	v_lshl_add_u64 v[8:9], v[12:13], 2, s[20:21]
	v_pk_mul_f32 v[0:1], v[10:11], v[0:1] op_sel_hi:[0,1]
	v_pk_mul_f32 v[2:3], v[10:11], v[6:7] op_sel_hi:[0,1]
	global_store_dwordx4 v[8:9], v[0:3], off
	s_and_b64 exec, exec, s[0:1]
	s_cbranch_execz .LBB55_31
; %bb.40:
	v_mov_b32_e32 v0, s22
	v_mov_b32_e32 v1, s23
	v_ashrrev_i32_e32 v5, 31, v4
	v_lshl_add_u64 v[0:1], v[4:5], 3, v[0:1]
	global_store_dwordx2 v[0:1], v[34:35], off
	s_endpgm
	.section	.rodata,"a",@progbits
	.p2align	6, 0x0
	.amdhsa_kernel _ZL15flash_attn_tileILi256ELi256ELi2ELi1ELb0EEvPKcS1_S1_S1_S1_PKiPfP15HIP_vector_typeIfLj2EEffffjfiS5_IjLj3EEiiiiiiiiiiiliiliiiiil
		.amdhsa_group_segment_fixed_size 20032
		.amdhsa_private_segment_fixed_size 32
		.amdhsa_kernarg_size 464
		.amdhsa_user_sgpr_count 2
		.amdhsa_user_sgpr_dispatch_ptr 0
		.amdhsa_user_sgpr_queue_ptr 0
		.amdhsa_user_sgpr_kernarg_segment_ptr 1
		.amdhsa_user_sgpr_dispatch_id 0
		.amdhsa_user_sgpr_kernarg_preload_length 0
		.amdhsa_user_sgpr_kernarg_preload_offset 0
		.amdhsa_user_sgpr_private_segment_size 0
		.amdhsa_uses_dynamic_stack 0
		.amdhsa_enable_private_segment 1
		.amdhsa_system_sgpr_workgroup_id_x 1
		.amdhsa_system_sgpr_workgroup_id_y 1
		.amdhsa_system_sgpr_workgroup_id_z 1
		.amdhsa_system_sgpr_workgroup_info 0
		.amdhsa_system_vgpr_workitem_id 1
		.amdhsa_next_free_vgpr 120
		.amdhsa_next_free_sgpr 48
		.amdhsa_accum_offset 120
		.amdhsa_reserve_vcc 1
		.amdhsa_float_round_mode_32 0
		.amdhsa_float_round_mode_16_64 0
		.amdhsa_float_denorm_mode_32 3
		.amdhsa_float_denorm_mode_16_64 3
		.amdhsa_dx10_clamp 1
		.amdhsa_ieee_mode 1
		.amdhsa_fp16_overflow 0
		.amdhsa_tg_split 0
		.amdhsa_exception_fp_ieee_invalid_op 0
		.amdhsa_exception_fp_denorm_src 0
		.amdhsa_exception_fp_ieee_div_zero 0
		.amdhsa_exception_fp_ieee_overflow 0
		.amdhsa_exception_fp_ieee_underflow 0
		.amdhsa_exception_fp_ieee_inexact 0
		.amdhsa_exception_int_div_zero 0
	.end_amdhsa_kernel
	.section	.text._ZL15flash_attn_tileILi256ELi256ELi2ELi1ELb0EEvPKcS1_S1_S1_S1_PKiPfP15HIP_vector_typeIfLj2EEffffjfiS5_IjLj3EEiiiiiiiiiiiliiliiiiil,"axG",@progbits,_ZL15flash_attn_tileILi256ELi256ELi2ELi1ELb0EEvPKcS1_S1_S1_S1_PKiPfP15HIP_vector_typeIfLj2EEffffjfiS5_IjLj3EEiiiiiiiiiiiliiliiiiil,comdat
.Lfunc_end55:
	.size	_ZL15flash_attn_tileILi256ELi256ELi2ELi1ELb0EEvPKcS1_S1_S1_S1_PKiPfP15HIP_vector_typeIfLj2EEffffjfiS5_IjLj3EEiiiiiiiiiiiliiliiiiil, .Lfunc_end55-_ZL15flash_attn_tileILi256ELi256ELi2ELi1ELb0EEvPKcS1_S1_S1_S1_PKiPfP15HIP_vector_typeIfLj2EEffffjfiS5_IjLj3EEiiiiiiiiiiiliiliiiiil
                                        ; -- End function
	.set _ZL15flash_attn_tileILi256ELi256ELi2ELi1ELb0EEvPKcS1_S1_S1_S1_PKiPfP15HIP_vector_typeIfLj2EEffffjfiS5_IjLj3EEiiiiiiiiiiiliiliiiiil.num_vgpr, 120
	.set _ZL15flash_attn_tileILi256ELi256ELi2ELi1ELb0EEvPKcS1_S1_S1_S1_PKiPfP15HIP_vector_typeIfLj2EEffffjfiS5_IjLj3EEiiiiiiiiiiiliiliiiiil.num_agpr, 0
	.set _ZL15flash_attn_tileILi256ELi256ELi2ELi1ELb0EEvPKcS1_S1_S1_S1_PKiPfP15HIP_vector_typeIfLj2EEffffjfiS5_IjLj3EEiiiiiiiiiiiliiliiiiil.numbered_sgpr, 48
	.set _ZL15flash_attn_tileILi256ELi256ELi2ELi1ELb0EEvPKcS1_S1_S1_S1_PKiPfP15HIP_vector_typeIfLj2EEffffjfiS5_IjLj3EEiiiiiiiiiiiliiliiiiil.num_named_barrier, 0
	.set _ZL15flash_attn_tileILi256ELi256ELi2ELi1ELb0EEvPKcS1_S1_S1_S1_PKiPfP15HIP_vector_typeIfLj2EEffffjfiS5_IjLj3EEiiiiiiiiiiiliiliiiiil.private_seg_size, 32
	.set _ZL15flash_attn_tileILi256ELi256ELi2ELi1ELb0EEvPKcS1_S1_S1_S1_PKiPfP15HIP_vector_typeIfLj2EEffffjfiS5_IjLj3EEiiiiiiiiiiiliiliiiiil.uses_vcc, 1
	.set _ZL15flash_attn_tileILi256ELi256ELi2ELi1ELb0EEvPKcS1_S1_S1_S1_PKiPfP15HIP_vector_typeIfLj2EEffffjfiS5_IjLj3EEiiiiiiiiiiiliiliiiiil.uses_flat_scratch, 0
	.set _ZL15flash_attn_tileILi256ELi256ELi2ELi1ELb0EEvPKcS1_S1_S1_S1_PKiPfP15HIP_vector_typeIfLj2EEffffjfiS5_IjLj3EEiiiiiiiiiiiliiliiiiil.has_dyn_sized_stack, 0
	.set _ZL15flash_attn_tileILi256ELi256ELi2ELi1ELb0EEvPKcS1_S1_S1_S1_PKiPfP15HIP_vector_typeIfLj2EEffffjfiS5_IjLj3EEiiiiiiiiiiiliiliiiiil.has_recursion, 0
	.set _ZL15flash_attn_tileILi256ELi256ELi2ELi1ELb0EEvPKcS1_S1_S1_S1_PKiPfP15HIP_vector_typeIfLj2EEffffjfiS5_IjLj3EEiiiiiiiiiiiliiliiiiil.has_indirect_call, 0
	.section	.AMDGPU.csdata,"",@progbits
; Kernel info:
; codeLenInByte = 19124
; TotalNumSgprs: 54
; NumVgprs: 120
; NumAgprs: 0
; TotalNumVgprs: 120
; ScratchSize: 32
; MemoryBound: 0
; FloatMode: 240
; IeeeMode: 1
; LDSByteSize: 20032 bytes/workgroup (compile time only)
; SGPRBlocks: 6
; VGPRBlocks: 14
; NumSGPRsForWavesPerEU: 54
; NumVGPRsForWavesPerEU: 120
; AccumOffset: 120
; Occupancy: 4
; WaveLimiterHint : 1
; COMPUTE_PGM_RSRC2:SCRATCH_EN: 1
; COMPUTE_PGM_RSRC2:USER_SGPR: 2
; COMPUTE_PGM_RSRC2:TRAP_HANDLER: 0
; COMPUTE_PGM_RSRC2:TGID_X_EN: 1
; COMPUTE_PGM_RSRC2:TGID_Y_EN: 1
; COMPUTE_PGM_RSRC2:TGID_Z_EN: 1
; COMPUTE_PGM_RSRC2:TIDIG_COMP_CNT: 1
; COMPUTE_PGM_RSRC3_GFX90A:ACCUM_OFFSET: 29
; COMPUTE_PGM_RSRC3_GFX90A:TG_SPLIT: 0
	.section	.text._ZL33flash_attn_stream_k_fixup_uniformILi256ELi2ELi1EEvPfPK15HIP_vector_typeIfLj2EEiiiiiiS1_IjLj3EES5_S5_,"axG",@progbits,_ZL33flash_attn_stream_k_fixup_uniformILi256ELi2ELi1EEvPfPK15HIP_vector_typeIfLj2EEiiiiiiS1_IjLj3EES5_S5_,comdat
	.globl	_ZL33flash_attn_stream_k_fixup_uniformILi256ELi2ELi1EEvPfPK15HIP_vector_typeIfLj2EEiiiiiiS1_IjLj3EES5_S5_ ; -- Begin function _ZL33flash_attn_stream_k_fixup_uniformILi256ELi2ELi1EEvPfPK15HIP_vector_typeIfLj2EEiiiiiiS1_IjLj3EES5_S5_
	.p2align	8
	.type	_ZL33flash_attn_stream_k_fixup_uniformILi256ELi2ELi1EEvPfPK15HIP_vector_typeIfLj2EEiiiiiiS1_IjLj3EES5_S5_,@function
_ZL33flash_attn_stream_k_fixup_uniformILi256ELi2ELi1EEvPfPK15HIP_vector_typeIfLj2EEiiiiiiS1_IjLj3EES5_S5_: ; @_ZL33flash_attn_stream_k_fixup_uniformILi256ELi2ELi1EEvPfPK15HIP_vector_typeIfLj2EEiiiiiiS1_IjLj3EES5_S5_
; %bb.0:
	s_load_dwordx8 s[8:15], s[0:1], 0x1c
	s_load_dwordx2 s[6:7], s[0:1], 0x10
	s_load_dwordx4 s[20:23], s[0:1], 0x3c
	s_waitcnt lgkmcnt(0)
	s_mul_hi_u32 s5, s11, s2
	s_add_i32 s5, s2, s5
	s_lshr_b32 s5, s5, s12
	s_mul_i32 s11, s5, s13
	s_sub_i32 s11, s2, s11
	s_mul_hi_u32 s12, s11, s14
	s_add_i32 s12, s11, s12
	s_lshr_b32 s16, s12, s15
	s_mul_i32 s12, s16, s20
	s_sub_i32 s12, s11, s12
	;; [unrolled: 5-line block ×3, first 2 shown]
	s_lshl_b32 s12, s17, 1
	s_add_i32 s12, s12, s3
	s_cmp_lt_i32 s12, s6
	s_cselect_b64 s[12:13], -1, 0
	s_add_i32 s14, s11, s4
	s_cmp_lt_i32 s14, s9
	s_cselect_b64 s[14:15], -1, 0
	s_and_b64 s[12:13], s[12:13], s[14:15]
	s_andn2_b64 vcc, exec, s[12:13]
	s_cbranch_vccnz .LBB56_6
; %bb.1:
	s_load_dwordx4 s[12:15], s[0:1], 0x0
	s_mul_i32 s0, s5, s6
	s_add_i32 s0, s0, s3
	s_mul_i32 s0, s0, s7
	s_mul_i32 s16, s16, s9
	s_add_i32 s0, s0, s4
	s_add_i32 s0, s0, s16
	s_mul_i32 s1, s7, s17
	s_add_i32 s0, s0, s11
	s_lshl_b32 s1, s1, 9
	s_lshl_b32 s0, s0, 8
	s_add_i32 s1, s1, s0
	v_or_b32_e32 v4, s1, v0
	s_waitcnt lgkmcnt(0)
	v_mov_b32_e32 v2, s12
	v_mov_b32_e32 v3, s13
	v_ashrrev_i32_e32 v5, 31, v4
	v_lshl_add_u64 v[2:3], v[4:5], 2, v[2:3]
	global_load_dword v5, v[2:3], off
	s_mul_i32 s6, s10, s2
	s_add_i32 s7, s6, s10
	s_add_i32 s3, s3, s4
	s_lshl_b32 s0, s7, 1
	s_add_i32 s0, s3, s0
	s_add_i32 s0, s0, -2
	s_ashr_i32 s1, s0, 31
	s_lshl_b64 s[0:1], s[0:1], 3
	s_add_u32 s0, s14, s0
	s_addc_u32 s1, s15, s1
	s_load_dword s9, s[0:1], 0x4
	s_add_i32 s4, s7, -2
	s_cmp_lt_i32 s4, s6
	s_cbranch_scc1 .LBB56_4
; %bb.2:
	s_lshl_b32 s4, s8, 3
	s_ashr_i32 s5, s4, 31
	s_lshl_b64 s[4:5], s[4:5], 2
	s_add_u32 s4, s14, s4
	s_addc_u32 s5, s15, s5
	s_add_i32 s2, s2, 1
	s_mul_i32 s2, s10, s2
	s_load_dword s0, s[0:1], 0x0
	s_lshl_b32 s1, s3, 8
	s_lshl_b32 s10, s2, 9
	s_add_i32 s1, s1, s10
	v_or_b32_e32 v0, s1, v0
	s_lshl_b32 s1, s2, 1
	s_add_i32 s1, s3, s1
	s_lshl_b32 s2, s8, 1
	s_add_i32 s1, s1, s2
	s_add_i32 s7, s7, -1
	v_add_u32_e32 v0, 0xfffffc00, v0
	s_add_i32 s2, s1, -4
	s_waitcnt lgkmcnt(0)
	v_mov_b32_e32 v7, s0
	v_mov_b32_e32 v4, s9
	s_mov_b32 s8, 0x3fb8aa3b
	s_mov_b32 s9, 0xc2ce8ed0
	;; [unrolled: 1-line block ×3, first 2 shown]
	v_mov_b32_e32 v6, 0x7f800000
	s_mov_b32 s11, 0xc1a00000
.LBB56_3:                               ; =>This Inner Loop Header: Depth=1
	v_ashrrev_i32_e32 v1, 31, v0
	v_lshl_add_u64 v[8:9], v[0:1], 2, s[4:5]
	global_load_dword v9, v[8:9], off
	s_ashr_i32 s3, s2, 31
	s_lshl_b64 s[0:1], s[2:3], 3
	s_add_u32 s0, s14, s0
	s_addc_u32 s1, s15, s1
	s_load_dwordx2 s[0:1], s[0:1], 0x0
	v_max_f32_e32 v1, v7, v7
	s_add_i32 s7, s7, -1
	s_add_i32 s2, s2, -2
	v_add_u32_e32 v0, 0xfffffe00, v0
	s_waitcnt lgkmcnt(0)
	v_max_f32_e64 v10, s0, s0
	v_max_f32_e32 v1, v1, v10
	v_sub_f32_e32 v11, s0, v1
	v_sub_f32_e32 v10, v7, v1
	v_mul_f32_e32 v12, 0x3fb8aa3b, v11
	v_mov_b32_e32 v7, v1
	v_mul_f32_e32 v1, 0x3fb8aa3b, v10
	v_fma_f32 v15, v11, s8, -v12
	v_rndne_f32_e32 v16, v12
	v_fma_f32 v13, v10, s8, -v1
	v_rndne_f32_e32 v14, v1
	v_fmac_f32_e32 v15, 0x32a5705f, v11
	v_sub_f32_e32 v12, v12, v16
	v_fmac_f32_e32 v13, 0x32a5705f, v10
	v_sub_f32_e32 v1, v1, v14
	v_add_f32_e32 v12, v12, v15
	v_cvt_i32_f32_e32 v16, v16
	v_add_f32_e32 v1, v1, v13
	v_exp_f32_e32 v12, v12
	v_cvt_i32_f32_e32 v14, v14
	v_exp_f32_e32 v1, v1
	v_cmp_ngt_f32_e32 vcc, s9, v11
	v_ldexp_f32 v12, v12, v16
	v_mov_b32_e32 v8, s1
	v_ldexp_f32 v1, v1, v14
	v_cmp_ngt_f32_e64 s[0:1], s9, v10
	v_cndmask_b32_e32 v12, 0, v12, vcc
	v_cmp_nlt_f32_e32 vcc, s10, v11
	v_cndmask_b32_e64 v1, 0, v1, s[0:1]
	v_cmp_nlt_f32_e64 s[0:1], s10, v10
	v_cndmask_b32_e32 v12, v6, v12, vcc
	v_cmp_le_f32_e32 vcc, s11, v11
	v_cndmask_b32_e64 v1, v6, v1, s[0:1]
	v_cmp_le_f32_e64 s[0:1], s11, v10
	v_cndmask_b32_e32 v12, 0, v12, vcc
	s_cmp_le_i32 s7, s6
	v_cndmask_b32_e64 v10, 0, v1, s[0:1]
	s_waitcnt vmcnt(0)
	v_pk_mul_f32 v[8:9], v[8:9], v[12:13] op_sel_hi:[1,0]
	s_nop 0
	v_pk_fma_f32 v[4:5], v[4:5], v[10:11], v[8:9] op_sel_hi:[1,0,1]
	s_cbranch_scc0 .LBB56_3
	s_branch .LBB56_5
.LBB56_4:
	s_waitcnt lgkmcnt(0)
	v_mov_b32_e32 v4, s9
.LBB56_5:
	s_waitcnt vmcnt(0)
	v_div_scale_f32 v0, s[0:1], v4, v4, v5
	v_rcp_f32_e32 v1, v0
	v_div_scale_f32 v6, vcc, v5, v4, v5
	v_fma_f32 v7, -v0, v1, 1.0
	v_fmac_f32_e32 v1, v7, v1
	v_mul_f32_e32 v7, v6, v1
	v_fma_f32 v8, -v0, v7, v6
	v_fmac_f32_e32 v7, v8, v1
	v_fma_f32 v0, -v0, v7, v6
	v_div_fmas_f32 v0, v0, v1, v7
	v_div_fixup_f32 v0, v0, v4, v5
	global_store_dword v[2:3], v0, off
.LBB56_6:
	s_endpgm
	.section	.rodata,"a",@progbits
	.p2align	6, 0x0
	.amdhsa_kernel _ZL33flash_attn_stream_k_fixup_uniformILi256ELi2ELi1EEvPfPK15HIP_vector_typeIfLj2EEiiiiiiS1_IjLj3EES5_S5_
		.amdhsa_group_segment_fixed_size 0
		.amdhsa_private_segment_fixed_size 0
		.amdhsa_kernarg_size 76
		.amdhsa_user_sgpr_count 2
		.amdhsa_user_sgpr_dispatch_ptr 0
		.amdhsa_user_sgpr_queue_ptr 0
		.amdhsa_user_sgpr_kernarg_segment_ptr 1
		.amdhsa_user_sgpr_dispatch_id 0
		.amdhsa_user_sgpr_kernarg_preload_length 0
		.amdhsa_user_sgpr_kernarg_preload_offset 0
		.amdhsa_user_sgpr_private_segment_size 0
		.amdhsa_uses_dynamic_stack 0
		.amdhsa_enable_private_segment 0
		.amdhsa_system_sgpr_workgroup_id_x 1
		.amdhsa_system_sgpr_workgroup_id_y 1
		.amdhsa_system_sgpr_workgroup_id_z 1
		.amdhsa_system_sgpr_workgroup_info 0
		.amdhsa_system_vgpr_workitem_id 0
		.amdhsa_next_free_vgpr 17
		.amdhsa_next_free_sgpr 24
		.amdhsa_accum_offset 20
		.amdhsa_reserve_vcc 1
		.amdhsa_float_round_mode_32 0
		.amdhsa_float_round_mode_16_64 0
		.amdhsa_float_denorm_mode_32 3
		.amdhsa_float_denorm_mode_16_64 3
		.amdhsa_dx10_clamp 1
		.amdhsa_ieee_mode 1
		.amdhsa_fp16_overflow 0
		.amdhsa_tg_split 0
		.amdhsa_exception_fp_ieee_invalid_op 0
		.amdhsa_exception_fp_denorm_src 0
		.amdhsa_exception_fp_ieee_div_zero 0
		.amdhsa_exception_fp_ieee_overflow 0
		.amdhsa_exception_fp_ieee_underflow 0
		.amdhsa_exception_fp_ieee_inexact 0
		.amdhsa_exception_int_div_zero 0
	.end_amdhsa_kernel
	.section	.text._ZL33flash_attn_stream_k_fixup_uniformILi256ELi2ELi1EEvPfPK15HIP_vector_typeIfLj2EEiiiiiiS1_IjLj3EES5_S5_,"axG",@progbits,_ZL33flash_attn_stream_k_fixup_uniformILi256ELi2ELi1EEvPfPK15HIP_vector_typeIfLj2EEiiiiiiS1_IjLj3EES5_S5_,comdat
.Lfunc_end56:
	.size	_ZL33flash_attn_stream_k_fixup_uniformILi256ELi2ELi1EEvPfPK15HIP_vector_typeIfLj2EEiiiiiiS1_IjLj3EES5_S5_, .Lfunc_end56-_ZL33flash_attn_stream_k_fixup_uniformILi256ELi2ELi1EEvPfPK15HIP_vector_typeIfLj2EEiiiiiiS1_IjLj3EES5_S5_
                                        ; -- End function
	.set _ZL33flash_attn_stream_k_fixup_uniformILi256ELi2ELi1EEvPfPK15HIP_vector_typeIfLj2EEiiiiiiS1_IjLj3EES5_S5_.num_vgpr, 17
	.set _ZL33flash_attn_stream_k_fixup_uniformILi256ELi2ELi1EEvPfPK15HIP_vector_typeIfLj2EEiiiiiiS1_IjLj3EES5_S5_.num_agpr, 0
	.set _ZL33flash_attn_stream_k_fixup_uniformILi256ELi2ELi1EEvPfPK15HIP_vector_typeIfLj2EEiiiiiiS1_IjLj3EES5_S5_.numbered_sgpr, 24
	.set _ZL33flash_attn_stream_k_fixup_uniformILi256ELi2ELi1EEvPfPK15HIP_vector_typeIfLj2EEiiiiiiS1_IjLj3EES5_S5_.num_named_barrier, 0
	.set _ZL33flash_attn_stream_k_fixup_uniformILi256ELi2ELi1EEvPfPK15HIP_vector_typeIfLj2EEiiiiiiS1_IjLj3EES5_S5_.private_seg_size, 0
	.set _ZL33flash_attn_stream_k_fixup_uniformILi256ELi2ELi1EEvPfPK15HIP_vector_typeIfLj2EEiiiiiiS1_IjLj3EES5_S5_.uses_vcc, 1
	.set _ZL33flash_attn_stream_k_fixup_uniformILi256ELi2ELi1EEvPfPK15HIP_vector_typeIfLj2EEiiiiiiS1_IjLj3EES5_S5_.uses_flat_scratch, 0
	.set _ZL33flash_attn_stream_k_fixup_uniformILi256ELi2ELi1EEvPfPK15HIP_vector_typeIfLj2EEiiiiiiS1_IjLj3EES5_S5_.has_dyn_sized_stack, 0
	.set _ZL33flash_attn_stream_k_fixup_uniformILi256ELi2ELi1EEvPfPK15HIP_vector_typeIfLj2EEiiiiiiS1_IjLj3EES5_S5_.has_recursion, 0
	.set _ZL33flash_attn_stream_k_fixup_uniformILi256ELi2ELi1EEvPfPK15HIP_vector_typeIfLj2EEiiiiiiS1_IjLj3EES5_S5_.has_indirect_call, 0
	.section	.AMDGPU.csdata,"",@progbits
; Kernel info:
; codeLenInByte = 816
; TotalNumSgprs: 30
; NumVgprs: 17
; NumAgprs: 0
; TotalNumVgprs: 17
; ScratchSize: 0
; MemoryBound: 0
; FloatMode: 240
; IeeeMode: 1
; LDSByteSize: 0 bytes/workgroup (compile time only)
; SGPRBlocks: 3
; VGPRBlocks: 2
; NumSGPRsForWavesPerEU: 30
; NumVGPRsForWavesPerEU: 17
; AccumOffset: 20
; Occupancy: 8
; WaveLimiterHint : 0
; COMPUTE_PGM_RSRC2:SCRATCH_EN: 0
; COMPUTE_PGM_RSRC2:USER_SGPR: 2
; COMPUTE_PGM_RSRC2:TRAP_HANDLER: 0
; COMPUTE_PGM_RSRC2:TGID_X_EN: 1
; COMPUTE_PGM_RSRC2:TGID_Y_EN: 1
; COMPUTE_PGM_RSRC2:TGID_Z_EN: 1
; COMPUTE_PGM_RSRC2:TIDIG_COMP_CNT: 0
; COMPUTE_PGM_RSRC3_GFX90A:ACCUM_OFFSET: 4
; COMPUTE_PGM_RSRC3_GFX90A:TG_SPLIT: 0
	.section	.text._ZL33flash_attn_stream_k_fixup_generalILi256ELi2ELi1EEvPfPK15HIP_vector_typeIfLj2EEiiiiS1_IjLj3EES5_S5_S5_,"axG",@progbits,_ZL33flash_attn_stream_k_fixup_generalILi256ELi2ELi1EEvPfPK15HIP_vector_typeIfLj2EEiiiiS1_IjLj3EES5_S5_S5_,comdat
	.globl	_ZL33flash_attn_stream_k_fixup_generalILi256ELi2ELi1EEvPfPK15HIP_vector_typeIfLj2EEiiiiS1_IjLj3EES5_S5_S5_ ; -- Begin function _ZL33flash_attn_stream_k_fixup_generalILi256ELi2ELi1EEvPfPK15HIP_vector_typeIfLj2EEiiiiS1_IjLj3EES5_S5_S5_
	.p2align	8
	.type	_ZL33flash_attn_stream_k_fixup_generalILi256ELi2ELi1EEvPfPK15HIP_vector_typeIfLj2EEiiiiS1_IjLj3EES5_S5_S5_,@function
_ZL33flash_attn_stream_k_fixup_generalILi256ELi2ELi1EEvPfPK15HIP_vector_typeIfLj2EEiiiiS1_IjLj3EES5_S5_S5_: ; @_ZL33flash_attn_stream_k_fixup_generalILi256ELi2ELi1EEvPfPK15HIP_vector_typeIfLj2EEiiiiS1_IjLj3EES5_S5_S5_
; %bb.0:
	s_load_dwordx4 s[8:11], s[0:1], 0x10
	s_load_dword s22, s[0:1], 0x50
	s_mov_b32 s12, 0
	s_waitcnt lgkmcnt(0)
	s_mul_hi_i32 s13, s11, s2
	s_cmp_lg_u64 s[12:13], 0
	s_mul_i32 s5, s11, s2
	s_cbranch_scc0 .LBB57_20
; %bb.1:
	s_add_u32 s6, s22, 0
	s_addc_u32 s7, 0, 0
	s_xor_b64 s[6:7], s[6:7], 0
	v_cvt_f32_u32_e32 v1, s6
	v_cvt_f32_u32_e32 v2, s7
	s_sub_u32 s12, 0, s6
	s_subb_u32 s18, 0, s7
	v_fmamk_f32 v1, v2, 0x4f800000, v1
	v_rcp_f32_e32 v1, v1
	s_nop 0
	v_mul_f32_e32 v1, 0x5f7ffffc, v1
	v_mul_f32_e32 v2, 0x2f800000, v1
	v_trunc_f32_e32 v2, v2
	v_fmamk_f32 v1, v2, 0xcf800000, v1
	v_cvt_u32_f32_e32 v2, v2
	v_cvt_u32_f32_e32 v1, v1
	v_readfirstlane_b32 s19, v2
	v_readfirstlane_b32 s14, v1
	s_mul_i32 s15, s12, s19
	s_mul_hi_u32 s21, s12, s14
	s_mul_i32 s20, s18, s14
	s_add_i32 s15, s21, s15
	s_add_i32 s15, s15, s20
	s_mul_i32 s23, s12, s14
	s_mul_i32 s21, s14, s15
	s_mul_hi_u32 s24, s14, s23
	s_mul_hi_u32 s20, s14, s15
	s_add_u32 s21, s24, s21
	s_addc_u32 s20, 0, s20
	s_mul_hi_u32 s25, s19, s23
	s_mul_i32 s23, s19, s23
	s_add_u32 s21, s21, s23
	s_mul_hi_u32 s24, s19, s15
	s_addc_u32 s20, s20, s25
	s_addc_u32 s21, s24, 0
	s_mul_i32 s15, s19, s15
	s_add_u32 s15, s20, s15
	s_addc_u32 s20, 0, s21
	s_add_u32 s21, s14, s15
	s_cselect_b64 s[14:15], -1, 0
	s_cmp_lg_u64 s[14:15], 0
	s_addc_u32 s19, s19, s20
	s_mul_i32 s14, s12, s19
	s_mul_hi_u32 s15, s12, s21
	s_add_i32 s14, s15, s14
	s_mul_i32 s18, s18, s21
	s_add_i32 s14, s14, s18
	s_mul_i32 s12, s12, s21
	s_mul_hi_u32 s18, s19, s12
	s_mul_i32 s20, s19, s12
	s_mul_i32 s24, s21, s14
	s_mul_hi_u32 s12, s21, s12
	s_mul_hi_u32 s23, s21, s14
	s_add_u32 s12, s12, s24
	s_addc_u32 s23, 0, s23
	s_add_u32 s12, s12, s20
	s_mul_hi_u32 s15, s19, s14
	s_addc_u32 s12, s23, s18
	s_addc_u32 s15, s15, 0
	s_mul_i32 s14, s19, s14
	s_add_u32 s12, s12, s14
	s_addc_u32 s18, 0, s15
	s_add_u32 s20, s21, s12
	s_cselect_b64 s[14:15], -1, 0
	s_cmp_lg_u64 s[14:15], 0
	s_addc_u32 s18, s19, s18
	s_ashr_i32 s14, s13, 31
	s_add_u32 s12, s5, s14
	s_mov_b32 s15, s14
	s_addc_u32 s13, s13, s14
	s_xor_b64 s[12:13], s[12:13], s[14:15]
	s_mul_i32 s21, s12, s18
	s_mul_hi_u32 s23, s12, s20
	s_mul_hi_u32 s19, s12, s18
	s_add_u32 s21, s23, s21
	s_addc_u32 s19, 0, s19
	s_mul_hi_u32 s24, s13, s20
	s_mul_i32 s20, s13, s20
	s_add_u32 s20, s21, s20
	s_mul_hi_u32 s23, s13, s18
	s_addc_u32 s19, s19, s24
	s_addc_u32 s20, s23, 0
	s_mul_i32 s18, s13, s18
	s_add_u32 s23, s19, s18
	s_addc_u32 s24, 0, s20
	s_mul_i32 s18, s6, s24
	s_mul_hi_u32 s19, s6, s23
	s_add_i32 s18, s19, s18
	s_mul_i32 s19, s7, s23
	s_add_i32 s25, s18, s19
	s_sub_i32 s20, s13, s25
	s_mul_i32 s18, s6, s23
	s_sub_u32 s12, s12, s18
	s_cselect_b64 s[18:19], -1, 0
	s_cmp_lg_u64 s[18:19], 0
	s_subb_u32 s26, s20, s7
	s_sub_u32 s27, s12, s6
	s_cselect_b64 s[20:21], -1, 0
	s_cmp_lg_u64 s[20:21], 0
	s_subb_u32 s20, s26, 0
	s_cmp_ge_u32 s20, s7
	s_cselect_b32 s21, -1, 0
	s_cmp_ge_u32 s27, s6
	s_cselect_b32 s26, -1, 0
	s_cmp_eq_u32 s20, s7
	s_cselect_b32 s20, s26, s21
	s_add_u32 s21, s23, 1
	s_addc_u32 s26, s24, 0
	s_add_u32 s27, s23, 2
	s_addc_u32 s28, s24, 0
	s_cmp_lg_u32 s20, 0
	s_cselect_b32 s20, s27, s21
	s_cselect_b32 s21, s28, s26
	s_cmp_lg_u64 s[18:19], 0
	s_subb_u32 s13, s13, s25
	s_cmp_ge_u32 s13, s7
	s_cselect_b32 s18, -1, 0
	s_cmp_ge_u32 s12, s6
	s_cselect_b32 s6, -1, 0
	s_cmp_eq_u32 s13, s7
	s_cselect_b32 s6, s6, s18
	s_cmp_lg_u32 s6, 0
	s_cselect_b32 s7, s21, s24
	s_cselect_b32 s6, s20, s23
	s_xor_b64 s[12:13], s[14:15], 0
	s_xor_b64 s[6:7], s[6:7], s[12:13]
	s_sub_u32 s6, s6, s12
	s_load_dwordx4 s[12:15], s[0:1], 0x44
	s_cbranch_execnz .LBB57_3
.LBB57_2:
	v_cvt_f32_u32_e32 v1, s22
	s_sub_i32 s6, 0, s22
	v_rcp_iflag_f32_e32 v1, v1
	s_nop 0
	v_mul_f32_e32 v1, 0x4f7ffffe, v1
	v_cvt_u32_f32_e32 v1, v1
	s_nop 0
	v_readfirstlane_b32 s7, v1
	s_mul_i32 s6, s6, s7
	s_mul_hi_u32 s6, s7, s6
	s_add_i32 s7, s7, s6
	s_mul_hi_u32 s6, s5, s7
	s_waitcnt lgkmcnt(0)
	s_mul_i32 s15, s6, s22
	s_sub_i32 s5, s5, s15
	s_add_i32 s7, s6, 1
	s_sub_i32 s15, s5, s22
	s_cmp_ge_u32 s5, s22
	s_cselect_b32 s6, s7, s6
	s_cselect_b32 s5, s15, s5
	s_add_i32 s7, s6, 1
	s_cmp_ge_u32 s5, s22
	s_cselect_b32 s6, s7, s6
.LBB57_3:
	s_add_i32 s5, s2, 1
	s_mul_hi_i32 s21, s11, s5
	s_mov_b32 s20, 0
	s_cmp_lg_u64 s[20:21], 0
	s_mul_i32 s5, s11, s5
	s_cbranch_scc0 .LBB57_21
; %bb.4:
	s_add_u32 s16, s22, 0
	s_addc_u32 s17, 0, 0
	s_xor_b64 s[18:19], s[16:17], 0
	v_cvt_f32_u32_e32 v1, s18
	v_cvt_f32_u32_e32 v2, s19
	s_sub_u32 s7, 0, s18
	s_waitcnt lgkmcnt(0)
	s_subb_u32 s15, 0, s19
	v_fmamk_f32 v1, v2, 0x4f800000, v1
	v_rcp_f32_e32 v1, v1
	s_nop 0
	v_mul_f32_e32 v1, 0x5f7ffffc, v1
	v_mul_f32_e32 v2, 0x2f800000, v1
	v_trunc_f32_e32 v2, v2
	v_fmamk_f32 v1, v2, 0xcf800000, v1
	v_cvt_u32_f32_e32 v2, v2
	v_cvt_u32_f32_e32 v1, v1
	v_readfirstlane_b32 s20, v2
	v_readfirstlane_b32 s23, v1
	s_mul_i32 s24, s7, s20
	s_mul_hi_u32 s26, s7, s23
	s_mul_i32 s25, s15, s23
	s_add_i32 s24, s26, s24
	s_add_i32 s24, s24, s25
	s_mul_i32 s27, s7, s23
	s_mul_i32 s26, s23, s24
	s_mul_hi_u32 s28, s23, s27
	s_mul_hi_u32 s25, s23, s24
	s_add_u32 s26, s28, s26
	s_addc_u32 s25, 0, s25
	s_mul_hi_u32 s29, s20, s27
	s_mul_i32 s27, s20, s27
	s_add_u32 s26, s26, s27
	s_mul_hi_u32 s28, s20, s24
	s_addc_u32 s25, s25, s29
	s_addc_u32 s26, s28, 0
	s_mul_i32 s24, s20, s24
	s_add_u32 s24, s25, s24
	s_addc_u32 s26, 0, s26
	s_add_u32 s23, s23, s24
	s_cselect_b64 s[24:25], -1, 0
	s_cmp_lg_u64 s[24:25], 0
	s_addc_u32 s20, s20, s26
	s_mul_i32 s24, s7, s20
	s_mul_hi_u32 s25, s7, s23
	s_add_i32 s24, s25, s24
	s_mul_i32 s15, s15, s23
	s_add_i32 s24, s24, s15
	s_mul_i32 s7, s7, s23
	s_mul_hi_u32 s25, s20, s7
	s_mul_i32 s26, s20, s7
	s_mul_i32 s28, s23, s24
	s_mul_hi_u32 s7, s23, s7
	s_mul_hi_u32 s27, s23, s24
	s_add_u32 s7, s7, s28
	s_addc_u32 s27, 0, s27
	s_add_u32 s7, s7, s26
	s_mul_hi_u32 s15, s20, s24
	s_addc_u32 s7, s27, s25
	s_addc_u32 s15, s15, 0
	s_mul_i32 s24, s20, s24
	s_add_u32 s7, s7, s24
	s_addc_u32 s15, 0, s15
	s_add_u32 s7, s23, s7
	s_cselect_b64 s[24:25], -1, 0
	s_cmp_lg_u64 s[24:25], 0
	s_addc_u32 s15, s20, s15
	s_ashr_i32 s24, s21, 31
	s_add_u32 s20, s5, s24
	s_mov_b32 s25, s24
	s_addc_u32 s21, s21, s24
	s_xor_b64 s[20:21], s[20:21], s[24:25]
	s_mul_i32 s26, s20, s15
	s_mul_hi_u32 s27, s20, s7
	s_mul_hi_u32 s23, s20, s15
	s_add_u32 s26, s27, s26
	s_addc_u32 s23, 0, s23
	s_mul_hi_u32 s28, s21, s7
	s_mul_i32 s7, s21, s7
	s_add_u32 s7, s26, s7
	s_mul_hi_u32 s27, s21, s15
	s_addc_u32 s7, s23, s28
	s_addc_u32 s23, s27, 0
	s_mul_i32 s15, s21, s15
	s_add_u32 s7, s7, s15
	s_addc_u32 s15, 0, s23
	s_mul_i32 s23, s18, s15
	s_mul_hi_u32 s26, s18, s7
	s_add_i32 s23, s26, s23
	s_mul_i32 s26, s19, s7
	s_add_i32 s23, s23, s26
	s_sub_i32 s28, s21, s23
	s_mul_i32 s26, s18, s7
	s_sub_u32 s20, s20, s26
	s_cselect_b64 s[26:27], -1, 0
	s_cmp_lg_u64 s[26:27], 0
	s_subb_u32 s30, s28, s19
	s_sub_u32 s31, s20, s18
	s_cselect_b64 s[28:29], -1, 0
	s_cmp_lg_u64 s[28:29], 0
	s_subb_u32 s28, s30, 0
	s_cmp_ge_u32 s28, s19
	s_cselect_b32 s29, -1, 0
	s_cmp_ge_u32 s31, s18
	s_cselect_b32 s30, -1, 0
	s_cmp_eq_u32 s28, s19
	s_cselect_b32 s28, s30, s29
	s_add_u32 s29, s7, 1
	s_addc_u32 s30, s15, 0
	s_add_u32 s31, s7, 2
	s_addc_u32 s33, s15, 0
	s_cmp_lg_u32 s28, 0
	s_cselect_b32 s28, s31, s29
	s_cselect_b32 s29, s33, s30
	s_cmp_lg_u64 s[26:27], 0
	s_subb_u32 s21, s21, s23
	s_cmp_ge_u32 s21, s19
	s_cselect_b32 s23, -1, 0
	s_cmp_ge_u32 s20, s18
	s_cselect_b32 s18, -1, 0
	s_cmp_eq_u32 s21, s19
	s_cselect_b32 s18, s18, s23
	s_cmp_lg_u32 s18, 0
	s_cselect_b32 s19, s29, s15
	s_cselect_b32 s18, s28, s7
	s_xor_b64 s[20:21], s[24:25], 0
	s_xor_b64 s[18:19], s[18:19], s[20:21]
	s_sub_u32 s18, s18, s20
	s_cbranch_execnz .LBB57_6
.LBB57_5:
	v_cvt_f32_u32_e32 v1, s22
	s_sub_i32 s7, 0, s22
	v_rcp_iflag_f32_e32 v1, v1
	s_nop 0
	v_mul_f32_e32 v1, 0x4f7ffffe, v1
	v_cvt_u32_f32_e32 v1, v1
	s_waitcnt lgkmcnt(0)
	v_readfirstlane_b32 s15, v1
	s_mul_i32 s7, s7, s15
	s_mul_hi_u32 s7, s15, s7
	s_add_i32 s15, s15, s7
	s_mul_hi_u32 s7, s5, s15
	s_mul_i32 s16, s7, s22
	s_sub_i32 s5, s5, s16
	s_add_i32 s15, s7, 1
	s_sub_i32 s16, s5, s22
	s_cmp_ge_u32 s5, s22
	s_cselect_b32 s7, s15, s7
	s_cselect_b32 s5, s16, s5
	s_add_i32 s15, s7, 1
	s_cmp_ge_u32 s5, s22
	s_cselect_b32 s18, s15, s7
.LBB57_6:
	s_cmp_eq_u32 s6, s18
	s_waitcnt lgkmcnt(0)
	s_mul_hi_u32 s5, s6, s12
	s_cselect_b64 s[16:17], -1, 0
	s_add_i32 s5, s5, s6
	s_lshr_b32 s7, s5, s13
	s_mul_i32 s5, s7, s14
	s_cmp_eq_u32 s5, s6
	s_mul_hi_u32 s5, s18, s12
	s_cselect_b64 s[20:21], -1, 0
	s_add_i32 s5, s5, s18
	s_lshr_b32 s5, s5, s13
	s_cmp_eq_u32 s7, s5
	s_mul_i32 s5, s5, s14
	s_cselect_b64 s[24:25], -1, 0
	s_cmp_lg_u32 s5, s18
	s_cselect_b64 s[18:19], -1, 0
	s_and_b64 s[18:19], s[24:25], s[18:19]
	s_or_b64 s[16:17], s[16:17], s[20:21]
	s_or_b64 s[16:17], s[16:17], s[18:19]
	s_and_b64 vcc, exec, s[16:17]
	s_cbranch_vccnz .LBB57_23
; %bb.7:
	s_load_dwordx8 s[24:31], s[0:1], 0x20
	s_load_dword s15, s[0:1], 0x40
	s_waitcnt lgkmcnt(0)
	s_mul_hi_u32 s5, s6, s24
	s_add_i32 s5, s5, s6
	s_lshr_b32 s5, s5, s25
	s_mul_i32 s16, s5, s26
	s_sub_i32 s16, s6, s16
	s_mul_hi_u32 s17, s16, s27
	s_add_i32 s17, s16, s17
	s_lshr_b32 s21, s17, s28
	s_mul_i32 s17, s21, s29
	s_sub_i32 s16, s16, s17
	;; [unrolled: 5-line block ×3, first 2 shown]
	s_mul_hi_u32 s16, s15, s12
	s_add_i32 s15, s15, s16
	s_lshr_b32 s23, s15, s13
	s_lshl_b32 s15, s23, 1
	s_add_i32 s15, s15, s3
	s_cmp_lt_i32 s15, s8
	s_cselect_b64 s[16:17], -1, 0
	s_add_i32 s15, s20, s4
	s_cmp_lt_i32 s15, s10
	s_cselect_b64 s[18:19], -1, 0
	s_and_b64 s[16:17], s[16:17], s[18:19]
	s_andn2_b64 vcc, exec, s[16:17]
	s_cbranch_vccnz .LBB57_23
; %bb.8:
	s_load_dwordx4 s[16:19], s[0:1], 0x0
	s_mov_b32 s0, 0
	s_lshl_b32 s24, s22, 3
	s_mov_b32 s25, s0
	s_add_i32 s15, s3, s4
	s_waitcnt lgkmcnt(0)
	v_mov_b32_e32 v2, s16
	v_mov_b32_e32 v3, s17
	s_lshl_b64 s[16:17], s[24:25], 2
	s_add_u32 s16, s18, s16
	s_mul_i32 s1, s5, s8
	s_addc_u32 s17, s19, s17
	s_add_i32 s1, s1, s3
	s_mul_i32 s1, s1, s9
	s_mul_i32 s21, s21, s10
	s_add_i32 s1, s1, s4
	s_add_i32 s1, s1, s21
	s_mul_i32 s5, s9, s23
	s_add_i32 s1, s1, s20
	s_lshl_b32 s5, s5, 9
	s_lshl_b32 s1, s1, 8
	s_add_i32 s5, s5, s1
	v_or_b32_e32 v4, s5, v0
	v_ashrrev_i32_e32 v5, 31, v4
	v_lshl_add_u64 v[2:3], v[4:5], 2, v[2:3]
	global_load_dword v1, v[2:3], off
	v_cvt_f32_u32_e32 v4, s22
	s_lshl_b32 s1, s2, 1
	s_add_i32 s4, s1, s15
	s_ashr_i32 s5, s4, 31
	s_lshl_b64 s[4:5], s[4:5], 3
	v_rcp_iflag_f32_e32 v4, v4
	s_add_u32 s4, s18, s4
	s_addc_u32 s5, s19, s5
	s_load_dwordx2 s[4:5], s[4:5], 0x0
	v_mul_f32_e32 v4, 0x4f7ffffe, v4
	v_cvt_u32_f32_e32 v7, v4
	s_add_i32 s24, s2, -1
	v_lshl_or_b32 v6, s15, 8, v0
	s_waitcnt lgkmcnt(0)
	v_mov_b32_e32 v0, s5
	v_mov_b32_e32 v9, s4
	s_mov_b32 s10, 0x3fb8aa3b
	s_mov_b32 s20, 0xc2ce8ed0
	;; [unrolled: 1-line block ×4, first 2 shown]
	v_mov_b32_e32 v8, 0x7f800000
	s_mul_hi_i32 s1, s24, s11
	s_cmp_lg_u64 s[0:1], 0
	s_mul_i32 s8, s24, s11
	s_cbranch_scc0 .LBB57_19
.LBB57_9:
	s_add_u32 s2, s22, 0
	s_addc_u32 s3, 0, 0
	s_xor_b64 s[2:3], s[2:3], 0
	v_cvt_f32_u32_e32 v4, s2
	v_cvt_f32_u32_e32 v5, s3
	s_sub_u32 s9, 0, s2
	s_subb_u32 s25, 0, s3
	v_fmac_f32_e32 v4, 0x4f800000, v5
	v_rcp_f32_e32 v4, v4
	s_nop 0
	v_mul_f32_e32 v4, 0x5f7ffffc, v4
	v_mul_f32_e32 v5, 0x2f800000, v4
	v_trunc_f32_e32 v5, v5
	v_fmac_f32_e32 v4, 0xcf800000, v5
	v_cvt_u32_f32_e32 v5, v5
	v_cvt_u32_f32_e32 v4, v4
	v_readfirstlane_b32 s26, v5
	v_readfirstlane_b32 s4, v4
	s_mul_i32 s5, s9, s26
	s_mul_hi_u32 s28, s9, s4
	s_mul_i32 s27, s25, s4
	s_add_i32 s5, s28, s5
	s_mul_i32 s29, s9, s4
	s_add_i32 s5, s5, s27
	s_mul_i32 s28, s4, s5
	s_mul_hi_u32 s30, s4, s29
	s_mul_hi_u32 s27, s4, s5
	s_add_u32 s28, s30, s28
	s_addc_u32 s27, 0, s27
	s_mul_hi_u32 s31, s26, s29
	s_mul_i32 s29, s26, s29
	s_add_u32 s28, s28, s29
	s_mul_hi_u32 s30, s26, s5
	s_addc_u32 s27, s27, s31
	s_addc_u32 s28, s30, 0
	s_mul_i32 s5, s26, s5
	s_add_u32 s5, s27, s5
	s_addc_u32 s27, 0, s28
	s_add_u32 s28, s4, s5
	s_cselect_b64 s[4:5], -1, 0
	s_cmp_lg_u64 s[4:5], 0
	s_addc_u32 s26, s26, s27
	s_mul_i32 s4, s9, s26
	s_mul_hi_u32 s5, s9, s28
	s_add_i32 s4, s5, s4
	s_mul_i32 s25, s25, s28
	s_add_i32 s4, s4, s25
	s_mul_i32 s9, s9, s28
	s_mul_hi_u32 s25, s26, s9
	s_mul_i32 s27, s26, s9
	s_mul_i32 s30, s28, s4
	s_mul_hi_u32 s9, s28, s9
	s_mul_hi_u32 s29, s28, s4
	s_add_u32 s9, s9, s30
	s_addc_u32 s29, 0, s29
	s_add_u32 s9, s9, s27
	s_mul_hi_u32 s5, s26, s4
	s_addc_u32 s9, s29, s25
	s_addc_u32 s5, s5, 0
	s_mul_i32 s4, s26, s4
	s_add_u32 s4, s9, s4
	s_addc_u32 s9, 0, s5
	s_add_u32 s25, s28, s4
	s_cselect_b64 s[4:5], -1, 0
	s_cmp_lg_u64 s[4:5], 0
	s_addc_u32 s9, s26, s9
	s_ashr_i32 s4, s1, 31
	s_add_u32 s26, s8, s4
	s_mov_b32 s5, s4
	s_addc_u32 s27, s1, s4
	s_xor_b64 s[26:27], s[26:27], s[4:5]
	s_mul_i32 s28, s26, s9
	s_mul_hi_u32 s29, s26, s25
	s_mul_hi_u32 s1, s26, s9
	s_add_u32 s28, s29, s28
	s_addc_u32 s1, 0, s1
	s_mul_hi_u32 s30, s27, s25
	s_mul_i32 s25, s27, s25
	s_add_u32 s25, s28, s25
	s_mul_hi_u32 s29, s27, s9
	s_addc_u32 s1, s1, s30
	s_addc_u32 s25, s29, 0
	s_mul_i32 s9, s27, s9
	s_add_u32 s1, s1, s9
	s_addc_u32 s9, 0, s25
	s_mul_i32 s25, s2, s9
	s_mul_hi_u32 s28, s2, s1
	s_add_i32 s25, s28, s25
	s_mul_i32 s28, s3, s1
	s_add_i32 s25, s25, s28
	s_sub_i32 s30, s27, s25
	s_mul_i32 s28, s2, s1
	s_sub_u32 s26, s26, s28
	s_cselect_b64 s[28:29], -1, 0
	s_cmp_lg_u64 s[28:29], 0
	s_subb_u32 s33, s30, s3
	s_sub_u32 s34, s26, s2
	s_cselect_b64 s[30:31], -1, 0
	s_cmp_lg_u64 s[30:31], 0
	s_subb_u32 s30, s33, 0
	s_cmp_ge_u32 s30, s3
	s_cselect_b32 s31, -1, 0
	s_cmp_ge_u32 s34, s2
	s_cselect_b32 s33, -1, 0
	s_cmp_eq_u32 s30, s3
	s_cselect_b32 s30, s33, s31
	s_add_u32 s31, s1, 1
	s_addc_u32 s33, s9, 0
	s_add_u32 s34, s1, 2
	s_addc_u32 s35, s9, 0
	s_cmp_lg_u32 s30, 0
	s_cselect_b32 s30, s34, s31
	s_cselect_b32 s31, s35, s33
	s_cmp_lg_u64 s[28:29], 0
	s_subb_u32 s25, s27, s25
	s_cmp_ge_u32 s25, s3
	s_cselect_b32 s27, -1, 0
	s_cmp_ge_u32 s26, s2
	s_cselect_b32 s2, -1, 0
	s_cmp_eq_u32 s25, s3
	s_cselect_b32 s2, s2, s27
	s_cmp_lg_u32 s2, 0
	s_cselect_b32 s3, s31, s9
	s_cselect_b32 s2, s30, s1
	s_xor_b64 s[4:5], s[4:5], 0
	s_xor_b64 s[2:3], s[2:3], s[4:5]
	s_sub_u32 s4, s2, s4
	s_cbranch_execnz .LBB57_11
.LBB57_10:
	s_sub_i32 s1, 0, s22
	v_readfirstlane_b32 s2, v7
	s_mul_i32 s1, s1, s2
	s_mul_hi_u32 s1, s2, s1
	s_add_i32 s2, s2, s1
	s_mul_hi_u32 s1, s8, s2
	s_mul_i32 s3, s1, s22
	s_sub_i32 s3, s8, s3
	s_add_i32 s2, s1, 1
	s_sub_i32 s4, s3, s22
	s_cmp_ge_u32 s3, s22
	s_cselect_b32 s1, s2, s1
	s_cselect_b32 s3, s4, s3
	s_add_i32 s2, s1, 1
	s_cmp_ge_u32 s3, s22
	s_cselect_b32 s4, s2, s1
.LBB57_11:
	s_cmp_lg_u32 s6, s4
	s_cbranch_scc0 .LBB57_15
; %bb.12:
	s_add_i32 s1, s24, s22
	s_lshl_b32 s1, s1, 1
	s_add_i32 s2, s1, s15
	s_mov_b32 s3, s0
	s_lshl_b64 s[2:3], s[2:3], 3
	s_add_u32 s8, s18, s2
	s_mul_hi_u32 s1, s4, s12
	s_addc_u32 s9, s19, s3
	s_add_i32 s1, s1, s4
	s_lshr_b32 s1, s1, s13
	s_mul_i32 s2, s1, s14
	s_cmp_eq_u32 s2, s4
	s_cselect_b64 s[2:3], -1, 0
	s_cmp_lt_u32 s1, s7
	s_cselect_b64 s[26:27], -1, 0
	s_or_b64 s[26:27], s[26:27], s[2:3]
	s_mov_b64 s[2:3], -1
	s_and_b64 vcc, exec, s[26:27]
	s_mov_b32 s1, s24
	s_mov_b32 s25, s6
	s_cbranch_vccnz .LBB57_14
; %bb.13:
	s_add_i32 s1, s24, -1
	s_mov_b64 s[2:3], 0
	s_mov_b32 s25, s4
.LBB57_14:
	v_lshl_add_u32 v4, s24, 9, v6
	v_ashrrev_i32_e32 v5, 31, v4
	v_lshl_add_u64 v[4:5], v[4:5], 2, s[16:17]
	global_load_dword v5, v[4:5], off
	s_load_dwordx2 s[4:5], s[8:9], 0x0
	v_max_f32_e32 v4, v9, v9
	s_waitcnt lgkmcnt(0)
	v_max_f32_e64 v10, s4, s4
	v_max_f32_e32 v10, v4, v10
	v_sub_f32_e32 v11, v9, v10
	v_sub_f32_e32 v13, s4, v10
	v_mul_f32_e32 v4, 0x3fb8aa3b, v11
	v_mul_f32_e32 v12, 0x3fb8aa3b, v13
	v_fma_f32 v14, v11, s10, -v4
	v_rndne_f32_e32 v15, v4
	v_fma_f32 v16, v13, s10, -v12
	v_rndne_f32_e32 v17, v12
	v_fmac_f32_e32 v14, 0x32a5705f, v11
	v_sub_f32_e32 v4, v4, v15
	v_fmac_f32_e32 v16, 0x32a5705f, v13
	v_sub_f32_e32 v12, v12, v17
	v_add_f32_e32 v4, v4, v14
	v_cvt_i32_f32_e32 v15, v15
	v_add_f32_e32 v12, v12, v16
	v_exp_f32_e32 v14, v4
	v_cvt_i32_f32_e32 v17, v17
	v_exp_f32_e32 v12, v12
	v_cmp_ngt_f32_e32 vcc, s20, v11
	v_ldexp_f32 v14, v14, v15
	v_mov_b32_e32 v4, s5
	v_ldexp_f32 v12, v12, v17
	v_cndmask_b32_e32 v14, 0, v14, vcc
	v_cmp_ngt_f32_e32 vcc, s20, v13
	s_nop 1
	v_cndmask_b32_e32 v12, 0, v12, vcc
	v_cmp_nlt_f32_e32 vcc, s21, v11
	s_nop 1
	v_cndmask_b32_e32 v14, v8, v14, vcc
	v_cmp_nlt_f32_e32 vcc, s21, v13
	s_nop 1
	v_cndmask_b32_e32 v15, v8, v12, vcc
	v_cmp_le_f32_e32 vcc, s23, v11
	s_nop 1
	v_cndmask_b32_e32 v12, 0, v14, vcc
	v_cmp_le_f32_e32 vcc, s23, v13
	s_nop 1
	v_cndmask_b32_e32 v14, 0, v15, vcc
	s_waitcnt vmcnt(0)
	v_pk_mul_f32 v[4:5], v[4:5], v[14:15] op_sel_hi:[1,0]
	s_nop 0
	v_pk_fma_f32 v[4:5], v[0:1], v[12:13], v[4:5] op_sel_hi:[1,0,1]
	s_cbranch_execz .LBB57_16
	s_branch .LBB57_17
.LBB57_15:
                                        ; implicit-def: $vgpr4_vgpr5
                                        ; implicit-def: $sgpr2_sgpr3
                                        ; implicit-def: $vgpr10
                                        ; implicit-def: $sgpr1
                                        ; implicit-def: $sgpr25
.LBB57_16:
	s_add_i32 s1, s24, -1
	s_mov_b64 s[2:3], 0
	s_mov_b32 s25, s6
	v_mov_b32_e32 v10, v9
	s_waitcnt vmcnt(0)
	v_mov_b64_e32 v[4:5], v[0:1]
.LBB57_17:
	s_andn2_b64 vcc, exec, s[2:3]
	s_cbranch_vccz .LBB57_22
; %bb.18:
	s_mov_b32 s6, s25
	s_mov_b32 s24, s1
	v_mov_b32_e32 v9, v10
	s_waitcnt vmcnt(0)
	v_mov_b64_e32 v[0:1], v[4:5]
	s_mul_hi_i32 s1, s24, s11
	s_cmp_lg_u64 s[0:1], 0
	s_mul_i32 s8, s24, s11
	s_cbranch_scc1 .LBB57_9
.LBB57_19:
                                        ; implicit-def: $sgpr4_sgpr5
	s_branch .LBB57_10
.LBB57_20:
                                        ; implicit-def: $sgpr6_sgpr7
	s_load_dwordx4 s[12:15], s[0:1], 0x44
	s_branch .LBB57_2
.LBB57_21:
                                        ; implicit-def: $sgpr18_sgpr19
	s_branch .LBB57_5
.LBB57_22:
	v_div_scale_f32 v0, s[0:1], v4, v4, v5
	s_waitcnt vmcnt(0)
	v_rcp_f32_e32 v1, v0
	v_div_scale_f32 v6, vcc, v5, v4, v5
	v_fma_f32 v7, -v0, v1, 1.0
	v_fmac_f32_e32 v1, v7, v1
	v_mul_f32_e32 v7, v6, v1
	v_fma_f32 v8, -v0, v7, v6
	v_fmac_f32_e32 v7, v8, v1
	v_fma_f32 v0, -v0, v7, v6
	v_div_fmas_f32 v0, v0, v1, v7
	v_div_fixup_f32 v0, v0, v4, v5
	global_store_dword v[2:3], v0, off
.LBB57_23:
	s_endpgm
	.section	.rodata,"a",@progbits
	.p2align	6, 0x0
	.amdhsa_kernel _ZL33flash_attn_stream_k_fixup_generalILi256ELi2ELi1EEvPfPK15HIP_vector_typeIfLj2EEiiiiS1_IjLj3EES5_S5_S5_
		.amdhsa_group_segment_fixed_size 0
		.amdhsa_private_segment_fixed_size 0
		.amdhsa_kernarg_size 336
		.amdhsa_user_sgpr_count 2
		.amdhsa_user_sgpr_dispatch_ptr 0
		.amdhsa_user_sgpr_queue_ptr 0
		.amdhsa_user_sgpr_kernarg_segment_ptr 1
		.amdhsa_user_sgpr_dispatch_id 0
		.amdhsa_user_sgpr_kernarg_preload_length 0
		.amdhsa_user_sgpr_kernarg_preload_offset 0
		.amdhsa_user_sgpr_private_segment_size 0
		.amdhsa_uses_dynamic_stack 0
		.amdhsa_enable_private_segment 0
		.amdhsa_system_sgpr_workgroup_id_x 1
		.amdhsa_system_sgpr_workgroup_id_y 1
		.amdhsa_system_sgpr_workgroup_id_z 1
		.amdhsa_system_sgpr_workgroup_info 0
		.amdhsa_system_vgpr_workitem_id 0
		.amdhsa_next_free_vgpr 18
		.amdhsa_next_free_sgpr 36
		.amdhsa_accum_offset 20
		.amdhsa_reserve_vcc 1
		.amdhsa_float_round_mode_32 0
		.amdhsa_float_round_mode_16_64 0
		.amdhsa_float_denorm_mode_32 3
		.amdhsa_float_denorm_mode_16_64 3
		.amdhsa_dx10_clamp 1
		.amdhsa_ieee_mode 1
		.amdhsa_fp16_overflow 0
		.amdhsa_tg_split 0
		.amdhsa_exception_fp_ieee_invalid_op 0
		.amdhsa_exception_fp_denorm_src 0
		.amdhsa_exception_fp_ieee_div_zero 0
		.amdhsa_exception_fp_ieee_overflow 0
		.amdhsa_exception_fp_ieee_underflow 0
		.amdhsa_exception_fp_ieee_inexact 0
		.amdhsa_exception_int_div_zero 0
	.end_amdhsa_kernel
	.section	.text._ZL33flash_attn_stream_k_fixup_generalILi256ELi2ELi1EEvPfPK15HIP_vector_typeIfLj2EEiiiiS1_IjLj3EES5_S5_S5_,"axG",@progbits,_ZL33flash_attn_stream_k_fixup_generalILi256ELi2ELi1EEvPfPK15HIP_vector_typeIfLj2EEiiiiS1_IjLj3EES5_S5_S5_,comdat
.Lfunc_end57:
	.size	_ZL33flash_attn_stream_k_fixup_generalILi256ELi2ELi1EEvPfPK15HIP_vector_typeIfLj2EEiiiiS1_IjLj3EES5_S5_S5_, .Lfunc_end57-_ZL33flash_attn_stream_k_fixup_generalILi256ELi2ELi1EEvPfPK15HIP_vector_typeIfLj2EEiiiiS1_IjLj3EES5_S5_S5_
                                        ; -- End function
	.set _ZL33flash_attn_stream_k_fixup_generalILi256ELi2ELi1EEvPfPK15HIP_vector_typeIfLj2EEiiiiS1_IjLj3EES5_S5_S5_.num_vgpr, 18
	.set _ZL33flash_attn_stream_k_fixup_generalILi256ELi2ELi1EEvPfPK15HIP_vector_typeIfLj2EEiiiiS1_IjLj3EES5_S5_S5_.num_agpr, 0
	.set _ZL33flash_attn_stream_k_fixup_generalILi256ELi2ELi1EEvPfPK15HIP_vector_typeIfLj2EEiiiiS1_IjLj3EES5_S5_S5_.numbered_sgpr, 36
	.set _ZL33flash_attn_stream_k_fixup_generalILi256ELi2ELi1EEvPfPK15HIP_vector_typeIfLj2EEiiiiS1_IjLj3EES5_S5_S5_.num_named_barrier, 0
	.set _ZL33flash_attn_stream_k_fixup_generalILi256ELi2ELi1EEvPfPK15HIP_vector_typeIfLj2EEiiiiS1_IjLj3EES5_S5_S5_.private_seg_size, 0
	.set _ZL33flash_attn_stream_k_fixup_generalILi256ELi2ELi1EEvPfPK15HIP_vector_typeIfLj2EEiiiiS1_IjLj3EES5_S5_S5_.uses_vcc, 1
	.set _ZL33flash_attn_stream_k_fixup_generalILi256ELi2ELi1EEvPfPK15HIP_vector_typeIfLj2EEiiiiS1_IjLj3EES5_S5_S5_.uses_flat_scratch, 0
	.set _ZL33flash_attn_stream_k_fixup_generalILi256ELi2ELi1EEvPfPK15HIP_vector_typeIfLj2EEiiiiS1_IjLj3EES5_S5_S5_.has_dyn_sized_stack, 0
	.set _ZL33flash_attn_stream_k_fixup_generalILi256ELi2ELi1EEvPfPK15HIP_vector_typeIfLj2EEiiiiS1_IjLj3EES5_S5_S5_.has_recursion, 0
	.set _ZL33flash_attn_stream_k_fixup_generalILi256ELi2ELi1EEvPfPK15HIP_vector_typeIfLj2EEiiiiS1_IjLj3EES5_S5_S5_.has_indirect_call, 0
	.section	.AMDGPU.csdata,"",@progbits
; Kernel info:
; codeLenInByte = 2932
; TotalNumSgprs: 42
; NumVgprs: 18
; NumAgprs: 0
; TotalNumVgprs: 18
; ScratchSize: 0
; MemoryBound: 0
; FloatMode: 240
; IeeeMode: 1
; LDSByteSize: 0 bytes/workgroup (compile time only)
; SGPRBlocks: 5
; VGPRBlocks: 2
; NumSGPRsForWavesPerEU: 42
; NumVGPRsForWavesPerEU: 18
; AccumOffset: 20
; Occupancy: 8
; WaveLimiterHint : 0
; COMPUTE_PGM_RSRC2:SCRATCH_EN: 0
; COMPUTE_PGM_RSRC2:USER_SGPR: 2
; COMPUTE_PGM_RSRC2:TRAP_HANDLER: 0
; COMPUTE_PGM_RSRC2:TGID_X_EN: 1
; COMPUTE_PGM_RSRC2:TGID_Y_EN: 1
; COMPUTE_PGM_RSRC2:TGID_Z_EN: 1
; COMPUTE_PGM_RSRC2:TIDIG_COMP_CNT: 0
; COMPUTE_PGM_RSRC3_GFX90A:ACCUM_OFFSET: 4
; COMPUTE_PGM_RSRC3_GFX90A:TG_SPLIT: 0
	.section	.text._ZL15flash_attn_tileILi256ELi256ELi4ELi8ELb1EEvPKcS1_S1_S1_S1_PKiPfP15HIP_vector_typeIfLj2EEffffjfiS5_IjLj3EEiiiiiiiiiiiliiliiiiil,"axG",@progbits,_ZL15flash_attn_tileILi256ELi256ELi4ELi8ELb1EEvPKcS1_S1_S1_S1_PKiPfP15HIP_vector_typeIfLj2EEffffjfiS5_IjLj3EEiiiiiiiiiiiliiliiiiil,comdat
	.globl	_ZL15flash_attn_tileILi256ELi256ELi4ELi8ELb1EEvPKcS1_S1_S1_S1_PKiPfP15HIP_vector_typeIfLj2EEffffjfiS5_IjLj3EEiiiiiiiiiiiliiliiiiil ; -- Begin function _ZL15flash_attn_tileILi256ELi256ELi4ELi8ELb1EEvPKcS1_S1_S1_S1_PKiPfP15HIP_vector_typeIfLj2EEffffjfiS5_IjLj3EEiiiiiiiiiiiliiliiiiil
	.p2align	8
	.type	_ZL15flash_attn_tileILi256ELi256ELi4ELi8ELb1EEvPKcS1_S1_S1_S1_PKiPfP15HIP_vector_typeIfLj2EEffffjfiS5_IjLj3EEiiiiiiiiiiiliiliiiiil,@function
_ZL15flash_attn_tileILi256ELi256ELi4ELi8ELb1EEvPKcS1_S1_S1_S1_PKiPfP15HIP_vector_typeIfLj2EEffffjfiS5_IjLj3EEiiiiiiiiiiiliiliiiiil: ; @_ZL15flash_attn_tileILi256ELi256ELi4ELi8ELb1EEvPKcS1_S1_S1_S1_PKiPfP15HIP_vector_typeIfLj2EEffffjfiS5_IjLj3EEiiiiiiiiiiiliiliiiiil
; %bb.0:
	s_load_dwordx4 s[20:23], s[0:1], 0x5c
	s_load_dwordx2 s[24:25], s[0:1], 0x80
	s_load_dwordx2 s[28:29], s[0:1], 0xb8
	s_mov_b64 s[26:27], 0
	s_waitcnt lgkmcnt(0)
	s_ashr_i32 s5, s23, 31
	s_lshr_b32 s5, s5, 29
	s_add_i32 s5, s23, s5
	s_ashr_i32 s5, s5, 3
	v_cvt_f32_u32_e32 v1, s5
	s_sub_i32 s6, 0, s5
	v_rcp_iflag_f32_e32 v1, v1
	s_nop 0
	v_mul_f32_e32 v1, 0x4f7ffffe, v1
	v_cvt_u32_f32_e32 v1, v1
	s_nop 0
	v_readfirstlane_b32 s7, v1
	s_mul_i32 s6, s6, s7
	s_mul_hi_u32 s6, s7, s6
	s_add_i32 s7, s7, s6
	s_mul_hi_u32 s6, s4, s7
	s_mul_i32 s7, s6, s5
	s_sub_i32 s7, s4, s7
	s_add_i32 s8, s6, 1
	s_sub_i32 s9, s7, s5
	s_cmp_ge_u32 s7, s5
	s_cselect_b32 s6, s8, s6
	s_cselect_b32 s7, s9, s7
	s_add_i32 s8, s6, 1
	s_cmp_ge_u32 s7, s5
	s_cselect_b32 s30, s8, s6
	s_abs_i32 s5, s25
	v_cvt_f32_u32_e32 v1, s5
	s_lshl_b32 s4, s4, 3
	s_mul_i32 s8, s30, s23
	s_xor_b32 s6, s23, s25
	v_rcp_iflag_f32_e32 v1, v1
	s_sub_i32 s9, 0, s5
	s_sub_i32 s25, s4, s8
	s_abs_i32 s7, s23
	v_mul_f32_e32 v1, 0x4f7ffffe, v1
	v_cvt_u32_f32_e32 v1, v1
	s_ashr_i32 s6, s6, 31
	v_readfirstlane_b32 s4, v1
	s_mul_i32 s9, s9, s4
	s_mul_hi_u32 s8, s4, s9
	s_add_i32 s4, s4, s8
	s_mul_hi_u32 s4, s7, s4
	s_mul_i32 s8, s4, s5
	s_sub_i32 s7, s7, s8
	s_add_i32 s9, s4, 1
	s_sub_i32 s8, s7, s5
	s_cmp_ge_u32 s7, s5
	s_cselect_b32 s4, s9, s4
	s_cselect_b32 s7, s8, s7
	s_add_i32 s8, s4, 1
	s_cmp_ge_u32 s7, s5
	s_cselect_b32 s4, s8, s4
	s_xor_b32 s4, s4, s6
	s_sub_i32 s33, s4, s6
	s_abs_i32 s31, s33
	v_cvt_f32_u32_e32 v1, s31
	s_load_dwordx16 s[4:19], s[0:1], 0x0
	v_rcp_iflag_f32_e32 v1, v1
	s_waitcnt lgkmcnt(0)
	s_cmp_eq_u64 s[10:11], 0
	v_mul_f32_e32 v1, 0x4f7ffffe, v1
	v_cvt_u32_f32_e32 v1, v1
	s_nop 0
	v_readfirstlane_b32 s34, v1
	s_cbranch_scc1 .LBB58_2
; %bb.1:
	s_abs_i32 s28, s28
	v_cvt_f32_u32_e32 v1, s28
	s_sub_i32 s37, 0, s28
	s_abs_i32 s36, s30
	s_ashr_i32 s35, s30, 31
	v_rcp_iflag_f32_e32 v1, v1
	s_load_dwordx2 s[26:27], s[0:1], 0xc8
	v_mul_f32_e32 v1, 0x4f7ffffe, v1
	v_cvt_u32_f32_e32 v1, v1
	s_nop 0
	v_readfirstlane_b32 s38, v1
	s_mul_i32 s37, s37, s38
	s_mul_hi_u32 s37, s38, s37
	s_add_i32 s38, s38, s37
	s_mul_hi_u32 s37, s36, s38
	s_mul_i32 s37, s37, s28
	s_sub_i32 s36, s36, s37
	s_sub_i32 s37, s36, s28
	s_cmp_ge_u32 s36, s28
	s_cselect_b32 s36, s37, s36
	s_sub_i32 s37, s36, s28
	s_cmp_ge_u32 s36, s28
	s_cselect_b32 s28, s37, s36
	s_xor_b32 s28, s28, s35
	s_sub_i32 s28, s28, s35
	s_ashr_i32 s35, s28, 31
	s_waitcnt lgkmcnt(0)
	s_mul_hi_u32 s36, s26, s28
	s_mul_i32 s35, s26, s35
	s_mul_i32 s27, s27, s28
	s_add_i32 s35, s36, s35
	s_add_i32 s35, s35, s27
	s_mul_i32 s26, s26, s28
	s_add_u32 s26, s10, s26
	s_addc_u32 s27, s11, s35
.LBB58_2:
	s_load_dwordx4 s[36:39], s[0:1], 0x70
	v_lshrrev_b32_e32 v2, 10, v0
	v_bfe_u32 v2, v2, 1, 9
	v_lshl_add_u32 v5, s2, 2, v2
	v_mul_hi_u32 v2, s20, v5
	s_waitcnt lgkmcnt(0)
	s_mul_i32 s10, s30, s38
	s_ashr_i32 s28, s10, 31
	s_mul_i32 s11, s25, s37
	s_add_u32 s4, s4, s10
	s_addc_u32 s5, s5, s28
	s_ashr_i32 s28, s11, 31
	v_add_u32_e32 v2, v5, v2
	s_add_u32 s10, s4, s11
	v_lshrrev_b32_e32 v2, s21, v2
	s_addc_u32 s11, s5, s28
	s_ashr_i32 s39, s37, 31
	s_mov_b32 s38, s37
	v_mul_lo_u32 v2, v2, s22
	s_ashr_i32 s37, s36, 31
	v_sub_u32_e32 v2, v5, v2
	s_lshr_b64 s[20:21], s[36:37], 2
	s_lshr_b64 s[4:5], s[38:39], 2
	v_mad_u64_u32 v[6:7], s[20:21], s20, v2, 0
	v_mov_b32_e32 v4, v7
	s_lshr_b32 s5, s37, 2
	v_bfe_u32 v1, v0, 10, 10
	v_mad_u64_u32 v[8:9], s[20:21], s5, v2, v[4:5]
	v_lshlrev_b32_e32 v3, 2, v1
	v_mov_b32_e32 v7, v8
	v_and_b32_e32 v4, 0x3ff, v0
	v_mov_b32_e32 v9, 0
	v_lshl_add_u64 v[6:7], v[6:7], 2, s[10:11]
	v_lshlrev_b32_e32 v8, 4, v4
	v_and_b32_e32 v24, 4, v3
	s_lshr_b32 s20, s39, 2
	v_lshl_add_u64 v[22:23], v[6:7], 0, v[8:9]
	v_mul_lo_u32 v0, s20, v24
	v_mad_u64_u32 v[6:7], s[10:11], s4, v24, 0
	v_or_b32_e32 v7, v7, v0
	v_lshl_add_u64 v[14:15], v[6:7], 2, v[22:23]
	v_bitop3_b32 v16, v3, 5, 1 bitop3:0xc8
	global_load_dwordx4 v[6:9], v[14:15], off
	global_load_dwordx4 v[10:13], v[14:15], off offset:512
	v_mad_u64_u32 v[14:15], s[10:11], s4, v16, 0
	v_mov_b32_e32 v0, v15
	v_mad_u64_u32 v[16:17], s[10:11], s20, v16, v[0:1]
	v_mov_b32_e32 v15, v16
	v_lshl_add_u64 v[26:27], v[14:15], 2, v[22:23]
	global_load_dwordx4 v[14:17], v[26:27], off
	global_load_dwordx4 v[18:21], v[26:27], off offset:512
	v_bitop3_b32 v25, v3, 6, 2 bitop3:0xc8
	v_mad_u64_u32 v[26:27], s[10:11], s4, v25, 0
	v_mov_b32_e32 v0, v27
	v_mad_u64_u32 v[28:29], s[10:11], s20, v25, v[0:1]
	v_mov_b32_e32 v27, v28
	v_lshl_add_u64 v[26:27], v[26:27], 2, v[22:23]
	global_load_dwordx4 v[28:31], v[26:27], off
	global_load_dwordx4 v[32:35], v[26:27], off offset:512
	v_bitop3_b32 v25, v3, 7, 3 bitop3:0xc8
	v_mad_u64_u32 v[26:27], s[4:5], s4, v25, 0
	v_mov_b32_e32 v0, v27
	v_mad_u64_u32 v[36:37], s[4:5], s20, v25, v[0:1]
	v_mov_b32_e32 v27, v36
	v_lshl_add_u64 v[22:23], v[26:27], 2, v[22:23]
	global_load_dwordx4 v[36:39], v[22:23], off
	global_load_dwordx4 v[40:43], v[22:23], off offset:512
	s_load_dword s10, s[0:1], 0x40
	v_lshlrev_b32_e32 v26, 3, v4
	v_lshlrev_b32_e32 v27, 11, v1
	v_add_u32_e32 v0, v26, v27
	v_or_b32_e32 v25, 1, v3
	v_lshl_add_u32 v25, v25, 9, v26
	s_cmp_eq_u64 s[14:15], 0
	s_waitcnt vmcnt(7) lgkmcnt(0)
	v_fma_mixlo_f16 v6, s10, v6, 0
	v_fma_mixlo_f16 v7, s10, v7, 0
	;; [unrolled: 1-line block ×4, first 2 shown]
	s_waitcnt vmcnt(6)
	v_fma_mixlo_f16 v10, s10, v10, 0
	v_fma_mixlo_f16 v11, s10, v11, 0
	;; [unrolled: 1-line block ×4, first 2 shown]
	v_lshlrev_b32_e32 v7, 16, v7
	v_and_b32_e32 v6, 0xffff, v6
	v_lshlrev_b32_e32 v9, 16, v9
	v_and_b32_e32 v8, 0xffff, v8
	;; [unrolled: 2-line block ×4, first 2 shown]
	v_or_b32_e32 v6, v7, v6
	v_or3_b32 v7, v9, v8, 0
	v_or_b32_e32 v8, v11, v10
	v_or3_b32 v9, v13, v12, 0
	v_or3_b32 v6, 0, 0, v6
	;; [unrolled: 1-line block ×3, first 2 shown]
	ds_write2_b64 v0, v[6:7], v[8:9] offset1:32
	s_waitcnt vmcnt(5)
	v_fma_mixlo_f16 v0, s10, v14, 0
	v_fma_mixlo_f16 v6, s10, v15, 0
	v_lshlrev_b32_e32 v6, 16, v6
	v_and_b32_e32 v0, 0xffff, v0
	v_or_b32_e32 v0, v6, v0
	v_fma_mixlo_f16 v6, s10, v16, 0
	v_fma_mixlo_f16 v7, s10, v17, 0
	v_lshlrev_b32_e32 v7, 16, v7
	v_and_b32_e32 v6, 0xffff, v6
	v_or3_b32 v7, v7, v6, 0
	v_or3_b32 v6, 0, 0, v0
	s_waitcnt vmcnt(4)
	v_fma_mixlo_f16 v0, s10, v18, 0
	v_fma_mixlo_f16 v8, s10, v19, 0
	v_lshlrev_b32_e32 v8, 16, v8
	v_and_b32_e32 v0, 0xffff, v0
	v_or_b32_e32 v0, v8, v0
	v_fma_mixlo_f16 v8, s10, v20, 0
	v_fma_mixlo_f16 v9, s10, v21, 0
	v_lshlrev_b32_e32 v9, 16, v9
	v_and_b32_e32 v8, 0xffff, v8
	v_or3_b32 v9, v9, v8, 0
	v_or3_b32 v8, 0, 0, v0
	ds_write2_b64 v25, v[6:7], v[8:9] offset1:32
	s_waitcnt vmcnt(3)
	v_fma_mixlo_f16 v6, s10, v28, 0
	v_fma_mixlo_f16 v7, s10, v29, 0
	v_lshlrev_b32_e32 v7, 16, v7
	v_and_b32_e32 v6, 0xffff, v6
	v_or_b32_e32 v6, v7, v6
	v_fma_mixlo_f16 v7, s10, v30, 0
	v_fma_mixlo_f16 v8, s10, v31, 0
	v_lshlrev_b32_e32 v8, 16, v8
	v_and_b32_e32 v7, 0xffff, v7
	v_or3_b32 v7, v8, v7, 0
	s_waitcnt vmcnt(2)
	v_fma_mixlo_f16 v8, s10, v32, 0
	v_fma_mixlo_f16 v9, s10, v33, 0
	v_lshlrev_b32_e32 v9, 16, v9
	v_and_b32_e32 v8, 0xffff, v8
	v_or_b32_e32 v8, v9, v8
	v_fma_mixlo_f16 v9, s10, v34, 0
	v_fma_mixlo_f16 v10, s10, v35, 0
	v_or_b32_e32 v0, 2, v3
	v_lshlrev_b32_e32 v10, 16, v10
	v_and_b32_e32 v9, 0xffff, v9
	v_lshl_add_u32 v0, v0, 9, v26
	v_or3_b32 v6, 0, 0, v6
	v_or3_b32 v9, v10, v9, 0
	;; [unrolled: 1-line block ×3, first 2 shown]
	ds_write2_b64 v0, v[6:7], v[8:9] offset1:32
	v_or_b32_e32 v0, 3, v3
	s_waitcnt vmcnt(1)
	v_fma_mixlo_f16 v3, s10, v36, 0
	v_fma_mixlo_f16 v6, s10, v37, 0
	v_lshlrev_b32_e32 v6, 16, v6
	v_and_b32_e32 v3, 0xffff, v3
	v_or_b32_e32 v3, v6, v3
	v_fma_mixlo_f16 v6, s10, v38, 0
	v_fma_mixlo_f16 v7, s10, v39, 0
	v_lshlrev_b32_e32 v7, 16, v7
	v_and_b32_e32 v6, 0xffff, v6
	v_or3_b32 v7, v7, v6, 0
	v_or3_b32 v6, 0, 0, v3
	s_waitcnt vmcnt(0)
	v_fma_mixlo_f16 v3, s10, v40, 0
	v_fma_mixlo_f16 v8, s10, v41, 0
	v_lshlrev_b32_e32 v8, 16, v8
	v_and_b32_e32 v3, 0xffff, v3
	v_or_b32_e32 v3, v8, v3
	v_fma_mixlo_f16 v8, s10, v42, 0
	v_fma_mixlo_f16 v9, s10, v43, 0
	v_lshlrev_b32_e32 v9, 16, v9
	v_and_b32_e32 v8, 0xffff, v8
	v_lshl_add_u32 v0, v0, 9, v26
	v_or3_b32 v9, v9, v8, 0
	v_or3_b32 v8, 0, 0, v3
	ds_write2_b64 v0, v[6:7], v[8:9] offset1:32
	s_waitcnt lgkmcnt(0)
	s_barrier
	s_cbranch_scc1 .LBB58_4
; %bb.3:
	s_load_dword s4, s[0:1], 0xd0
	s_mov_b32 s5, 0
	s_waitcnt lgkmcnt(0)
	s_mul_i32 s4, s4, s30
	s_add_i32 s4, s4, s2
	s_lshl_b64 s[4:5], s[4:5], 2
	s_add_u32 s4, s14, s4
	s_addc_u32 s5, s15, s5
	s_load_dword s24, s[4:5], 0x0
.LBB58_4:
	s_lshl_b32 s2, s3, 5
	v_lshlrev_b32_e32 v25, 2, v4
	s_waitcnt lgkmcnt(0)
	s_cmp_lt_i32 s2, s24
	v_mbcnt_lo_u32_b32 v0, -1, 0
	s_cbranch_scc1 .LBB58_27
; %bb.5:
	v_mbcnt_hi_u32_b32 v17, -1, v0
	v_and_b32_e32 v3, 0x60, v17
	v_add_u32_e32 v60, 32, v3
	v_xor_b32_e32 v61, 16, v17
	v_xor_b32_e32 v63, 8, v17
	;; [unrolled: 1-line block ×5, first 2 shown]
	s_cbranch_execz .LBB58_28
; %bb.6:
	v_mov_b32_e32 v7, 0
	v_mov_b32_e32 v47, 0
	;; [unrolled: 1-line block ×24, first 2 shown]
.LBB58_7:
	v_cmp_lt_i32_e32 vcc, v61, v60
	s_cmp_lg_u64 s[12:13], 0
	s_cselect_b64 s[4:5], -1, 0
	v_cndmask_b32_e32 v10, v17, v61, vcc
	v_cmp_lt_i32_e32 vcc, v63, v60
	v_lshlrev_b32_e32 v13, 2, v10
	ds_bpermute_b32 v11, v13, v9
	v_cndmask_b32_e32 v10, v17, v63, vcc
	v_cmp_lt_i32_e32 vcc, v64, v60
	v_lshlrev_b32_e32 v14, 2, v10
	ds_bpermute_b32 v12, v13, v6
	v_cndmask_b32_e32 v10, v17, v64, vcc
	v_lshlrev_b32_e32 v15, 2, v10
	ds_bpermute_b32 v10, v13, v8
	ds_bpermute_b32 v13, v13, v7
	v_cmp_lt_i32_e32 vcc, v62, v60
	s_cmp_eq_u32 s3, 0
	s_cselect_b64 s[6:7], -1, 0
	s_waitcnt lgkmcnt(1)
	v_pk_add_f32 v[8:9], v[8:9], v[10:11]
	s_waitcnt lgkmcnt(0)
	v_pk_add_f32 v[6:7], v[6:7], v[12:13]
	ds_bpermute_b32 v10, v14, v8
	ds_bpermute_b32 v11, v14, v9
	ds_bpermute_b32 v12, v14, v6
	ds_bpermute_b32 v13, v14, v7
	v_cndmask_b32_e32 v16, v17, v62, vcc
	v_lshlrev_b32_e32 v14, 2, v16
	s_waitcnt lgkmcnt(2)
	v_pk_add_f32 v[8:9], v[8:9], v[10:11]
	ds_bpermute_b32 v10, v15, v8
	s_waitcnt lgkmcnt(1)
	v_pk_add_f32 v[6:7], v[6:7], v[12:13]
	ds_bpermute_b32 v11, v15, v9
	ds_bpermute_b32 v12, v15, v6
	ds_bpermute_b32 v13, v15, v7
	v_cmp_lt_i32_e32 vcc, v59, v60
	s_and_b64 s[4:5], s[6:7], s[4:5]
	s_waitcnt lgkmcnt(2)
	v_pk_add_f32 v[8:9], v[8:9], v[10:11]
	ds_bpermute_b32 v10, v14, v8
	s_waitcnt lgkmcnt(1)
	v_pk_add_f32 v[6:7], v[6:7], v[12:13]
	ds_bpermute_b32 v11, v14, v9
	ds_bpermute_b32 v12, v14, v6
	;; [unrolled: 1-line block ×3, first 2 shown]
	v_cndmask_b32_e32 v15, v17, v59, vcc
	v_lshlrev_b32_e32 v14, 2, v15
	s_waitcnt lgkmcnt(2)
	v_pk_add_f32 v[8:9], v[8:9], v[10:11]
	ds_bpermute_b32 v10, v14, v8
	s_waitcnt lgkmcnt(1)
	v_pk_add_f32 v[6:7], v[6:7], v[12:13]
	ds_bpermute_b32 v11, v14, v9
	ds_bpermute_b32 v12, v14, v6
	;; [unrolled: 1-line block ×3, first 2 shown]
	s_and_b64 vcc, exec, s[4:5]
	s_waitcnt lgkmcnt(2)
	v_pk_add_f32 v[8:9], v[8:9], v[10:11]
	s_waitcnt lgkmcnt(0)
	v_pk_add_f32 v[6:7], v[6:7], v[12:13]
	s_cbranch_vccz .LBB58_9
; %bb.8:
	v_add_u32_e32 v10, s25, v24
	v_ashrrev_i32_e32 v11, 31, v10
	v_lshl_add_u64 v[10:11], v[10:11], 2, s[12:13]
	global_load_dwordx4 v[10:13], v[10:11], off
	v_max_f32_e32 v14, v0, v0
	v_max_f32_e32 v15, v1, v1
	s_mov_b32 s5, 0x3fb8aa3b
	v_max_f32_e32 v16, v2, v2
	s_mov_b32 s2, 0xc2ce8ed0
	s_mov_b32 s4, 0x42b17218
	v_mov_b32_e32 v18, 0x7f800000
	s_waitcnt vmcnt(0)
	v_max_f32_e32 v17, v10, v10
	v_max_f32_e32 v14, v14, v17
	;; [unrolled: 1-line block ×3, first 2 shown]
	v_sub_f32_e32 v0, v0, v14
	v_max_f32_e32 v15, v15, v19
	v_sub_f32_e32 v10, v10, v14
	v_mul_f32_e32 v17, 0x3fb8aa3b, v0
	v_max_f32_e32 v20, v12, v12
	v_sub_f32_e32 v1, v1, v15
	v_mul_f32_e32 v19, 0x3fb8aa3b, v10
	v_fma_f32 v26, v0, s5, -v17
	v_rndne_f32_e32 v27, v17
	v_max_f32_e32 v16, v16, v20
	v_sub_f32_e32 v11, v11, v15
	v_mul_f32_e32 v20, 0x3fb8aa3b, v1
	v_fma_f32 v28, v10, s5, -v19
	v_rndne_f32_e32 v29, v19
	v_fmac_f32_e32 v26, 0x32a5705f, v0
	v_sub_f32_e32 v17, v17, v27
	v_mul_f32_e32 v21, 0x3fb8aa3b, v11
	v_fma_f32 v30, v1, s5, -v20
	v_rndne_f32_e32 v31, v20
	v_fmac_f32_e32 v28, 0x32a5705f, v10
	v_sub_f32_e32 v19, v19, v29
	v_add_f32_e32 v17, v17, v26
	v_fma_f32 v32, v11, s5, -v21
	v_rndne_f32_e32 v33, v21
	v_cvt_i32_f32_e32 v27, v27
	v_fmac_f32_e32 v30, 0x32a5705f, v1
	v_sub_f32_e32 v20, v20, v31
	v_add_f32_e32 v19, v19, v28
	v_exp_f32_e32 v17, v17
	v_cvt_i32_f32_e32 v29, v29
	v_fmac_f32_e32 v32, 0x32a5705f, v11
	v_sub_f32_e32 v21, v21, v33
	v_add_f32_e32 v20, v20, v30
	v_exp_f32_e32 v19, v19
	v_cvt_i32_f32_e32 v31, v31
	v_add_f32_e32 v21, v21, v32
	v_exp_f32_e32 v20, v20
	v_cvt_i32_f32_e32 v33, v33
	v_exp_f32_e32 v21, v21
	v_ldexp_f32 v17, v17, v27
	v_cmp_ngt_f32_e32 vcc, s2, v0
	v_ldexp_f32 v19, v19, v29
	v_ldexp_f32 v20, v20, v31
	v_cndmask_b32_e32 v17, 0, v17, vcc
	v_cmp_ngt_f32_e32 vcc, s2, v10
	v_ldexp_f32 v21, v21, v33
	v_sub_f32_e32 v2, v2, v16
	v_cndmask_b32_e32 v19, 0, v19, vcc
	v_cmp_ngt_f32_e32 vcc, s2, v1
	v_mul_f32_e32 v22, 0x3fb8aa3b, v2
	v_sub_f32_e32 v12, v12, v16
	v_cndmask_b32_e32 v20, 0, v20, vcc
	v_cmp_ngt_f32_e32 vcc, s2, v11
	v_fma_f32 v34, v2, s5, -v22
	v_rndne_f32_e32 v35, v22
	v_cndmask_b32_e32 v21, 0, v21, vcc
	v_cmp_nlt_f32_e32 vcc, s4, v0
	v_mul_f32_e32 v23, 0x3fb8aa3b, v12
	v_fmac_f32_e32 v34, 0x32a5705f, v2
	v_cndmask_b32_e32 v0, v18, v17, vcc
	v_cmp_nlt_f32_e32 vcc, s4, v10
	v_cvt_f16_f32_e32 v17, v0
	v_sub_f32_e32 v22, v22, v35
	v_cndmask_b32_e32 v10, v18, v19, vcc
	v_cmp_nlt_f32_e32 vcc, s4, v1
	v_fma_f32 v52, v12, s5, -v23
	v_rndne_f32_e32 v53, v23
	v_add_f32_e32 v22, v22, v34
	v_cndmask_b32_e32 v1, v18, v20, vcc
	v_cvt_i32_f32_e32 v35, v35
	v_fmac_f32_e32 v52, 0x32a5705f, v12
	v_sub_f32_e32 v23, v23, v53
	v_exp_f32_e32 v22, v22
	v_cvt_f16_f32_e32 v19, v1
	v_add_f32_e32 v23, v23, v52
	v_mul_u32_u24_e32 v17, 0x10001, v17
	v_exp_f32_e32 v23, v23
	v_pk_mul_f16 v47, v47, v17
	v_pk_mul_f16 v51, v51, v17
	;; [unrolled: 1-line block ×4, first 2 shown]
	v_cvt_i32_f32_e32 v17, v53
	v_cmp_nlt_f32_e32 vcc, s4, v11
	v_ldexp_f32 v22, v22, v35
	v_mul_u32_u24_e32 v19, 0x10001, v19
	v_cndmask_b32_e32 v11, v18, v21, vcc
	v_cmp_ngt_f32_e32 vcc, s2, v2
	v_pk_mul_f16 v44, v44, v19
	v_pk_mul_f16 v48, v48, v19
	;; [unrolled: 1-line block ×4, first 2 shown]
	v_cndmask_b32_e32 v19, 0, v22, vcc
	v_cmp_nlt_f32_e32 vcc, s4, v2
	v_ldexp_f32 v17, v23, v17
	v_max_f32_e32 v20, v3, v3
	v_cndmask_b32_e32 v2, v18, v19, vcc
	v_cmp_ngt_f32_e32 vcc, s2, v12
	v_cvt_f16_f32_e32 v19, v2
	v_pk_fma_f32 v[8:9], v[8:9], v[0:1], v[10:11]
	v_cndmask_b32_e32 v17, 0, v17, vcc
	v_cmp_nlt_f32_e32 vcc, s4, v12
	v_mul_u32_u24_e32 v19, 0x10001, v19
	v_pk_mul_f16 v40, v40, v19
	v_cndmask_b32_e32 v12, v18, v17, vcc
	v_max_f32_e32 v17, v13, v13
	v_max_f32_e32 v17, v20, v17
	v_sub_f32_e32 v3, v3, v17
	v_mul_f32_e32 v20, 0x3fb8aa3b, v3
	v_fma_f32 v21, v3, s5, -v20
	v_rndne_f32_e32 v22, v20
	v_fmac_f32_e32 v21, 0x32a5705f, v3
	v_sub_f32_e32 v20, v20, v22
	v_add_f32_e32 v20, v20, v21
	v_exp_f32_e32 v20, v20
	v_cvt_i32_f32_e32 v21, v22
	v_sub_f32_e32 v13, v13, v17
	v_pk_mul_f16 v43, v43, v19
	v_pk_mul_f16 v41, v41, v19
	;; [unrolled: 1-line block ×3, first 2 shown]
	v_ldexp_f32 v19, v20, v21
	v_mul_f32_e32 v20, 0x3fb8aa3b, v13
	v_fma_f32 v21, v13, s5, -v20
	v_rndne_f32_e32 v22, v20
	v_fmac_f32_e32 v21, 0x32a5705f, v13
	v_sub_f32_e32 v20, v20, v22
	v_add_f32_e32 v20, v20, v21
	v_exp_f32_e32 v20, v20
	v_cvt_i32_f32_e32 v21, v22
	v_cmp_ngt_f32_e32 vcc, s2, v3
	s_nop 1
	v_cndmask_b32_e32 v19, 0, v19, vcc
	v_cmp_nlt_f32_e32 vcc, s4, v3
	s_nop 1
	v_cndmask_b32_e32 v3, v18, v19, vcc
	v_ldexp_f32 v19, v20, v21
	v_cvt_f16_f32_e32 v20, v3
	v_cmp_ngt_f32_e32 vcc, s2, v13
	s_nop 1
	v_cndmask_b32_e32 v19, 0, v19, vcc
	v_cmp_nlt_f32_e32 vcc, s4, v13
	s_nop 1
	v_cndmask_b32_e32 v13, v18, v19, vcc
	v_mul_u32_u24_e32 v18, 0x10001, v20
	v_pk_fma_f32 v[6:7], v[6:7], v[2:3], v[12:13]
	v_mov_b64_e32 v[0:1], v[14:15]
	v_pk_mul_f16 v39, v39, v18
	v_pk_mul_f16 v38, v38, v18
	;; [unrolled: 1-line block ×4, first 2 shown]
	v_mov_b64_e32 v[2:3], v[16:17]
.LBB58_9:
	v_cmp_gt_i32_e32 vcc, s22, v5
	s_and_saveexec_b64 s[4:5], vcc
	s_cbranch_execz .LBB58_26
; %bb.10:
	s_load_dword s8, s[0:1], 0xd4
	v_mov_b32_e32 v10, 1.0
	s_waitcnt lgkmcnt(0)
	s_cmp_lg_u32 s8, 1
	s_cselect_b64 s[0:1], -1, 0
	s_cmp_eq_u32 s8, 1
	s_cselect_b64 s[6:7], -1, 0
	s_and_b64 vcc, exec, s[0:1]
	s_cbranch_vccnz .LBB58_12
; %bb.11:
	v_div_scale_f32 v10, s[4:5], v8, v8, 1.0
	v_rcp_f32_e32 v11, v10
	v_div_scale_f32 v12, vcc, 1.0, v8, 1.0
	v_fma_f32 v13, -v10, v11, 1.0
	v_fmac_f32_e32 v11, v13, v11
	v_mul_f32_e32 v13, v12, v11
	v_fma_f32 v14, -v10, v13, v12
	v_fmac_f32_e32 v13, v14, v11
	v_fma_f32 v10, -v10, v13, v12
	v_div_fmas_f32 v10, v10, v11, v13
	v_div_fixup_f32 v10, v10, v8, 1.0
.LBB58_12:
	s_mul_i32 s30, s30, s22
	v_add_u32_e32 v5, s30, v5
	v_mul_lo_u32 v5, v5, s23
	v_add3_u32 v5, s25, v24, v5
	v_cvt_f32_f16_sdwa v13, v47 dst_sel:DWORD dst_unused:UNUSED_PAD src0_sel:WORD_1
	v_cvt_f32_f16_e32 v12, v47
	v_cvt_f32_f16_sdwa v15, v51 dst_sel:DWORD dst_unused:UNUSED_PAD src0_sel:WORD_1
	v_cvt_f32_f16_e32 v14, v51
	v_cmp_eq_u32_e32 vcc, 0, v4
	v_mul_lo_u32 v4, s8, v5
	v_add_u32_e32 v4, s3, v4
	v_lshl_add_u32 v16, v4, 8, v25
	v_mov_b32_e32 v17, 0
	v_lshl_add_u64 v[18:19], v[16:17], 2, s[16:17]
	v_pk_mul_f32 v[12:13], v[10:11], v[12:13] op_sel_hi:[0,1]
	v_pk_mul_f32 v[14:15], v[10:11], v[14:15] op_sel_hi:[0,1]
	global_store_dwordx4 v[18:19], v[12:15], off
	v_add_u32_e32 v16, 0x80, v16
	s_and_b64 s[4:5], vcc, s[0:1]
	v_cvt_f32_f16_sdwa v13, v49 dst_sel:DWORD dst_unused:UNUSED_PAD src0_sel:WORD_1
	v_cvt_f32_f16_e32 v12, v49
	v_cvt_f32_f16_sdwa v15, v50 dst_sel:DWORD dst_unused:UNUSED_PAD src0_sel:WORD_1
	v_cvt_f32_f16_e32 v14, v50
	v_lshl_add_u64 v[16:17], v[16:17], 2, s[16:17]
	v_pk_mul_f32 v[12:13], v[10:11], v[12:13] op_sel_hi:[0,1]
	v_pk_mul_f32 v[14:15], v[10:11], v[14:15] op_sel_hi:[0,1]
	global_store_dwordx4 v[16:17], v[12:15], off
	s_and_saveexec_b64 s[0:1], s[4:5]
	s_cbranch_execz .LBB58_14
; %bb.13:
	v_ashrrev_i32_e32 v5, 31, v4
	v_lshl_add_u64 v[10:11], v[4:5], 3, s[18:19]
	v_mov_b32_e32 v12, v0
	v_mov_b32_e32 v13, v8
	global_store_dwordx2 v[10:11], v[12:13], off
.LBB58_14:
	s_or_b64 exec, exec, s[0:1]
	v_cndmask_b32_e64 v0, 0, 1, s[6:7]
	v_cmp_ne_u32_e64 s[0:1], 1, v0
	s_andn2_b64 vcc, exec, s[6:7]
	v_mov_b32_e32 v0, 1.0
	s_cbranch_vccnz .LBB58_16
; %bb.15:
	v_div_scale_f32 v0, s[2:3], v9, v9, 1.0
	v_rcp_f32_e32 v5, v0
	v_div_scale_f32 v8, vcc, 1.0, v9, 1.0
	v_fma_f32 v10, -v0, v5, 1.0
	v_fmac_f32_e32 v5, v10, v5
	v_mul_f32_e32 v10, v8, v5
	v_fma_f32 v11, -v0, v10, v8
	v_fmac_f32_e32 v10, v11, v5
	v_fma_f32 v0, -v0, v10, v8
	v_div_fmas_f32 v0, v0, v5, v10
	v_div_fixup_f32 v0, v0, v9, 1.0
.LBB58_16:
	v_cvt_f32_f16_sdwa v11, v44 dst_sel:DWORD dst_unused:UNUSED_PAD src0_sel:WORD_1
	v_cvt_f32_f16_e32 v10, v44
	v_cvt_f32_f16_sdwa v13, v48 dst_sel:DWORD dst_unused:UNUSED_PAD src0_sel:WORD_1
	v_cvt_f32_f16_e32 v12, v48
	v_add_u32_e32 v4, s8, v4
	v_lshl_add_u32 v14, v4, 8, v25
	v_mov_b32_e32 v15, 0
	v_lshl_add_u64 v[16:17], v[14:15], 2, s[16:17]
	v_pk_mul_f32 v[10:11], v[0:1], v[10:11] op_sel_hi:[0,1]
	v_pk_mul_f32 v[12:13], v[0:1], v[12:13] op_sel_hi:[0,1]
	global_store_dwordx4 v[16:17], v[10:13], off
	v_add_u32_e32 v14, 0x80, v14
	v_lshl_add_u64 v[14:15], v[14:15], 2, s[16:17]
	v_cvt_f32_f16_sdwa v11, v45 dst_sel:DWORD dst_unused:UNUSED_PAD src0_sel:WORD_1
	v_cvt_f32_f16_e32 v10, v45
	v_cvt_f32_f16_sdwa v13, v46 dst_sel:DWORD dst_unused:UNUSED_PAD src0_sel:WORD_1
	v_cvt_f32_f16_e32 v12, v46
	v_pk_mul_f32 v[10:11], v[0:1], v[10:11] op_sel_hi:[0,1]
	v_pk_mul_f32 v[12:13], v[0:1], v[12:13] op_sel_hi:[0,1]
	global_store_dwordx4 v[14:15], v[10:13], off
	s_and_saveexec_b64 s[2:3], s[4:5]
	s_cbranch_execz .LBB58_18
; %bb.17:
	v_ashrrev_i32_e32 v5, 31, v4
	v_lshl_add_u64 v[10:11], v[4:5], 3, s[18:19]
	v_mov_b32_e32 v8, v1
	global_store_dwordx2 v[10:11], v[8:9], off
.LBB58_18:
	s_or_b64 exec, exec, s[2:3]
	s_and_b64 vcc, exec, s[0:1]
	v_mov_b32_e32 v8, 1.0
	s_cbranch_vccnz .LBB58_20
; %bb.19:
	v_div_scale_f32 v0, s[2:3], v6, v6, 1.0
	v_rcp_f32_e32 v1, v0
	v_div_scale_f32 v5, vcc, 1.0, v6, 1.0
	v_fma_f32 v8, -v0, v1, 1.0
	v_fmac_f32_e32 v1, v8, v1
	v_mul_f32_e32 v8, v5, v1
	v_fma_f32 v9, -v0, v8, v5
	v_fmac_f32_e32 v8, v9, v1
	v_fma_f32 v0, -v0, v8, v5
	v_div_fmas_f32 v0, v0, v1, v8
	v_div_fixup_f32 v8, v0, v6, 1.0
.LBB58_20:
	v_cvt_f32_f16_sdwa v11, v40 dst_sel:DWORD dst_unused:UNUSED_PAD src0_sel:WORD_1
	v_cvt_f32_f16_e32 v10, v40
	v_cvt_f32_f16_sdwa v13, v43 dst_sel:DWORD dst_unused:UNUSED_PAD src0_sel:WORD_1
	v_cvt_f32_f16_e32 v12, v43
	v_add_u32_e32 v0, s8, v4
	v_lshl_add_u32 v4, v0, 8, v25
	v_mov_b32_e32 v5, 0
	v_lshl_add_u64 v[14:15], v[4:5], 2, s[16:17]
	v_pk_mul_f32 v[10:11], v[8:9], v[10:11] op_sel_hi:[0,1]
	v_pk_mul_f32 v[12:13], v[8:9], v[12:13] op_sel_hi:[0,1]
	global_store_dwordx4 v[14:15], v[10:13], off
	v_add_u32_e32 v4, 0x80, v4
	v_lshl_add_u64 v[4:5], v[4:5], 2, s[16:17]
	v_cvt_f32_f16_sdwa v11, v41 dst_sel:DWORD dst_unused:UNUSED_PAD src0_sel:WORD_1
	v_cvt_f32_f16_e32 v10, v41
	v_cvt_f32_f16_sdwa v13, v42 dst_sel:DWORD dst_unused:UNUSED_PAD src0_sel:WORD_1
	v_cvt_f32_f16_e32 v12, v42
	v_pk_mul_f32 v[10:11], v[8:9], v[10:11] op_sel_hi:[0,1]
	v_pk_mul_f32 v[12:13], v[8:9], v[12:13] op_sel_hi:[0,1]
	global_store_dwordx4 v[4:5], v[10:13], off
	s_and_saveexec_b64 s[2:3], s[4:5]
	s_cbranch_execz .LBB58_22
; %bb.21:
	v_ashrrev_i32_e32 v1, 31, v0
	v_lshl_add_u64 v[4:5], v[0:1], 3, s[18:19]
	v_mov_b32_e32 v8, v2
	v_mov_b32_e32 v9, v6
	global_store_dwordx2 v[4:5], v[8:9], off
.LBB58_22:
	s_or_b64 exec, exec, s[2:3]
	s_and_b64 vcc, exec, s[0:1]
	v_mov_b32_e32 v2, 1.0
	s_cbranch_vccnz .LBB58_24
; %bb.23:
	v_div_scale_f32 v1, s[0:1], v7, v7, 1.0
	v_rcp_f32_e32 v2, v1
	v_div_scale_f32 v4, vcc, 1.0, v7, 1.0
	v_fma_f32 v5, -v1, v2, 1.0
	v_fmac_f32_e32 v2, v5, v2
	v_mul_f32_e32 v5, v4, v2
	v_fma_f32 v6, -v1, v5, v4
	v_fmac_f32_e32 v5, v6, v2
	v_fma_f32 v1, -v1, v5, v4
	v_div_fmas_f32 v1, v1, v2, v5
	v_div_fixup_f32 v2, v1, v7, 1.0
.LBB58_24:
	v_cvt_f32_f16_sdwa v9, v39 dst_sel:DWORD dst_unused:UNUSED_PAD src0_sel:WORD_1
	v_cvt_f32_f16_e32 v8, v39
	v_cvt_f32_f16_sdwa v11, v38 dst_sel:DWORD dst_unused:UNUSED_PAD src0_sel:WORD_1
	v_cvt_f32_f16_e32 v10, v38
	v_add_u32_e32 v0, s8, v0
	v_lshl_add_u32 v4, v0, 8, v25
	v_mov_b32_e32 v5, 0
	v_lshl_add_u64 v[12:13], v[4:5], 2, s[16:17]
	v_pk_mul_f32 v[8:9], v[2:3], v[8:9] op_sel_hi:[0,1]
	v_pk_mul_f32 v[10:11], v[2:3], v[10:11] op_sel_hi:[0,1]
	global_store_dwordx4 v[12:13], v[8:11], off
	v_add_u32_e32 v4, 0x80, v4
	v_lshl_add_u64 v[4:5], v[4:5], 2, s[16:17]
	v_cvt_f32_f16_sdwa v9, v36 dst_sel:DWORD dst_unused:UNUSED_PAD src0_sel:WORD_1
	v_cvt_f32_f16_e32 v8, v36
	v_cvt_f32_f16_sdwa v11, v37 dst_sel:DWORD dst_unused:UNUSED_PAD src0_sel:WORD_1
	v_cvt_f32_f16_e32 v10, v37
	v_pk_mul_f32 v[8:9], v[2:3], v[8:9] op_sel_hi:[0,1]
	v_pk_mul_f32 v[10:11], v[2:3], v[10:11] op_sel_hi:[0,1]
	global_store_dwordx4 v[4:5], v[8:11], off
	s_and_b64 exec, exec, s[4:5]
	s_cbranch_execz .LBB58_26
; %bb.25:
	v_ashrrev_i32_e32 v1, 31, v0
	v_lshl_add_u64 v[0:1], v[0:1], 3, s[18:19]
	v_mov_b32_e32 v6, v3
	global_store_dwordx2 v[0:1], v[6:7], off
.LBB58_26:
	s_endpgm
.LBB58_27:
                                        ; implicit-def: $vgpr17
                                        ; implicit-def: $vgpr60
                                        ; implicit-def: $vgpr61
                                        ; implicit-def: $vgpr63
                                        ; implicit-def: $vgpr64
                                        ; implicit-def: $vgpr62
                                        ; implicit-def: $vgpr59
.LBB58_28:
	s_sub_i32 s4, 0, s31
	s_mul_i32 s4, s4, s34
	s_mul_hi_u32 s4, s34, s4
	s_add_i32 s34, s34, s4
	s_load_dwordx4 s[36:39], s[0:1], 0x98
	s_load_dword s10, s[0:1], 0x54
	s_load_dwordx2 s[4:5], s[0:1], 0x8c
	s_ashr_i32 s28, s33, 31
	s_abs_i32 s15, s25
	s_waitcnt lgkmcnt(0)
	s_ashr_i32 s11, s38, 2
	s_mul_hi_u32 s33, s36, s30
	s_ashr_i32 s14, s4, 2
	s_ashr_i32 s4, s30, 31
	s_mul_i32 s38, s36, s4
	s_add_i32 s33, s33, s38
	s_mul_i32 s37, s37, s30
	s_ashr_i32 s21, s25, 31
	s_ashr_i32 s29, s29, 1
	s_add_i32 s33, s33, s37
	s_mul_i32 s36, s36, s30
	s_mul_hi_u32 s20, s15, s34
	s_add_u32 s6, s6, s36
	s_addc_u32 s7, s7, s33
	s_xor_b32 s21, s21, s28
	s_mul_i32 s28, s20, s31
	s_sub_i32 s15, s15, s28
	s_add_i32 s28, s20, 1
	s_sub_i32 s33, s15, s31
	s_cmp_ge_u32 s15, s31
	s_cselect_b32 s20, s28, s20
	s_cselect_b32 s15, s33, s15
	s_add_i32 s28, s20, 1
	s_cmp_ge_u32 s15, s31
	s_load_dwordx2 s[34:35], s[0:1], 0xa8
	s_cselect_b32 s15, s28, s20
	s_xor_b32 s15, s15, s21
	s_sub_i32 s21, s15, s21
	s_mul_i32 s5, s21, s5
	s_ashr_i32 s20, s5, 31
	s_add_u32 s15, s6, s5
	s_waitcnt lgkmcnt(0)
	s_mul_hi_u32 s5, s34, s30
	s_mul_i32 s4, s34, s4
	s_addc_u32 s20, s7, s20
	s_add_i32 s4, s5, s4
	s_mul_i32 s5, s35, s30
	s_add_i32 s4, s4, s5
	s_mul_i32 s5, s34, s30
	s_add_u32 s5, s8, s5
	s_mul_i32 s21, s21, s39
	s_addc_u32 s4, s9, s4
	s_ashr_i32 s6, s21, 31
	s_add_u32 s8, s5, s21
	v_lshrrev_b32_e32 v3, 4, v4
	v_and_b32_e32 v6, 60, v25
	s_addc_u32 s9, s4, s6
	v_lshl_add_u32 v3, v1, 1, v3
	v_lshlrev_b32_e32 v7, 2, v6
	s_movk_i32 s4, 0x110
	v_mad_u32_u24 v7, v3, s4, v7
	v_mul_lo_u32 v12, s14, v3
	v_mov_b32_e32 v3, 0x4000
	v_mad_u32_u24 v30, v4, s4, v3
	v_mad_u64_u32 v[16:17], s[4:5], v2, s29, v[4:5]
	v_mov_b32_e32 v2, 0x6200
	v_lshl_add_u32 v31, v1, 8, v2
	v_mul_lo_u32 v2, s11, v1
	v_lshlrev_b32_e32 v10, 2, v25
	v_lshl_add_u32 v8, s11, 3, v2
	v_mov_b32_e32 v11, 0
	v_add_u32_e32 v28, 0x4000, v7
	v_add_u32_e32 v29, 0x5100, v7
	v_lshl_add_u32 v14, s14, 4, v12
	v_lshl_add_u32 v7, v1, 9, v10
	v_ashrrev_i32_e32 v3, 31, v2
	v_ashrrev_i32_e32 v9, 31, v8
	s_add_u32 s4, s0, 0xd0
	v_ashrrev_i32_e32 v13, 31, v12
	v_ashrrev_i32_e32 v15, 31, v14
	v_add_u32_e32 v32, 0x4000, v7
	v_add_u32_e32 v33, 0x5000, v7
	s_addc_u32 s5, s1, 0
	v_mov_b32_e32 v55, 0xfeffffff
	v_lshlrev_b32_e32 v18, 2, v6
	v_mov_b32_e32 v19, v11
	s_mov_b32 s21, 0x3f200000
	s_mov_b32 s28, 0x3fb8aa3b
	s_mov_b32 s29, 0xc2ce8ed0
	s_mov_b32 s31, 0x42b17218
	v_mov_b32_e32 v34, 0x3ca908c9
	s_brev_b32 s33, -2
	s_mov_b32 s34, 0x10001
	v_lshlrev_b64 v[20:21], 2, v[2:3]
	v_lshlrev_b64 v[22:23], 2, v[8:9]
	v_mov_b32_e32 v35, 0x7f800000
	v_mbcnt_hi_u32_b32 v17, -1, v0
	v_mov_b32_e32 v37, v11
	v_mov_b32_e32 v36, v11
	;; [unrolled: 1-line block ×23, first 2 shown]
                                        ; implicit-def: $vgpr1
                                        ; implicit-def: $vgpr1
	;; [unrolled: 1-line block ×3, first 2 shown]
.LBB58_29:                              ; =>This Inner Loop Header: Depth=1
	s_mul_hi_i32 s7, s2, s14
	s_mul_i32 s6, s2, s14
	s_lshl_b64 s[6:7], s[6:7], 2
	s_add_u32 s6, s15, s6
	s_addc_u32 s7, s20, s7
	v_lshl_add_u64 v[0:1], v[12:13], 2, s[6:7]
	v_lshl_add_u64 v[0:1], v[0:1], 0, v[18:19]
	;; [unrolled: 1-line block ×4, first 2 shown]
	global_load_dwordx4 v[60:63], v[0:1], off
	global_load_dwordx4 v[64:67], v[2:3], off
	v_mov_b32_e32 v59, 0
	v_mov_b32_e32 v58, 0
	;; [unrolled: 1-line block ×4, first 2 shown]
	s_waitcnt vmcnt(1)
	ds_write_b128 v28, v[60:63]
	s_waitcnt vmcnt(0)
	ds_write_b128 v29, v[64:67]
	s_waitcnt lgkmcnt(0)
	s_barrier
	ds_read_b128 v[60:63], v30
	ds_read_b128 v[64:67], v27
	ds_read_b128 v[68:71], v27 offset:512
	ds_read_b128 v[72:75], v27 offset:1024
	;; [unrolled: 1-line block ×3, first 2 shown]
	s_waitcnt lgkmcnt(3)
	;;#ASMSTART
	v_dot2_f32_f16 v59, v60, v64, v59
	;;#ASMEND
	s_nop 0
	;;#ASMSTART
	v_dot2_f32_f16 v59, v61, v65, v59
	;;#ASMEND
	s_nop 0
	;;#ASMSTART
	v_dot2_f32_f16 v59, v62, v66, v59
	;;#ASMEND
	s_nop 0
	;;#ASMSTART
	v_dot2_f32_f16 v59, v63, v67, v59
	;;#ASMEND
	s_waitcnt lgkmcnt(2)
	;;#ASMSTART
	v_dot2_f32_f16 v58, v60, v68, v58
	;;#ASMEND
	s_nop 0
	;;#ASMSTART
	v_dot2_f32_f16 v58, v61, v69, v58
	;;#ASMEND
	s_nop 0
	;;#ASMSTART
	v_dot2_f32_f16 v58, v62, v70, v58
	;;#ASMEND
	s_nop 0
	;;#ASMSTART
	v_dot2_f32_f16 v58, v63, v71, v58
	;;#ASMEND
	;; [unrolled: 16-line block ×4, first 2 shown]
	ds_read_b128 v[60:63], v30 offset:16
	ds_read_b128 v[64:67], v27 offset:16
	ds_read_b128 v[68:71], v27 offset:528
	ds_read_b128 v[72:75], v27 offset:1040
	ds_read_b128 v[76:79], v27 offset:1552
	s_waitcnt lgkmcnt(3)
	;;#ASMSTART
	v_dot2_f32_f16 v59, v60, v64, v59
	;;#ASMEND
	s_nop 0
	;;#ASMSTART
	v_dot2_f32_f16 v59, v61, v65, v59
	;;#ASMEND
	s_nop 0
	;;#ASMSTART
	v_dot2_f32_f16 v59, v62, v66, v59
	;;#ASMEND
	s_nop 0
	;;#ASMSTART
	v_dot2_f32_f16 v59, v63, v67, v59
	;;#ASMEND
	s_waitcnt lgkmcnt(2)
	;;#ASMSTART
	v_dot2_f32_f16 v58, v60, v68, v58
	;;#ASMEND
	s_nop 0
	;;#ASMSTART
	v_dot2_f32_f16 v58, v61, v69, v58
	;;#ASMEND
	s_nop 0
	;;#ASMSTART
	v_dot2_f32_f16 v58, v62, v70, v58
	;;#ASMEND
	s_nop 0
	;;#ASMSTART
	v_dot2_f32_f16 v58, v63, v71, v58
	;;#ASMEND
	s_waitcnt lgkmcnt(1)
	;;#ASMSTART
	v_dot2_f32_f16 v57, v60, v72, v57
	;;#ASMEND
	s_nop 0
	;;#ASMSTART
	v_dot2_f32_f16 v57, v61, v73, v57
	;;#ASMEND
	s_nop 0
	;;#ASMSTART
	v_dot2_f32_f16 v57, v62, v74, v57
	;;#ASMEND
	s_nop 0
	;;#ASMSTART
	v_dot2_f32_f16 v57, v63, v75, v57
	;;#ASMEND
	s_waitcnt lgkmcnt(0)
	;;#ASMSTART
	v_dot2_f32_f16 v56, v60, v76, v56
	;;#ASMEND
	s_nop 0
	;;#ASMSTART
	v_dot2_f32_f16 v56, v61, v77, v56
	;;#ASMEND
	s_nop 0
	;;#ASMSTART
	v_dot2_f32_f16 v56, v62, v78, v56
	;;#ASMEND
	s_nop 0
	;;#ASMSTART
	v_dot2_f32_f16 v56, v63, v79, v56
	;;#ASMEND
	ds_read_b128 v[60:63], v30 offset:32
	ds_read_b128 v[64:67], v27 offset:32
	;; [unrolled: 1-line block ×5, first 2 shown]
	s_waitcnt lgkmcnt(3)
	;;#ASMSTART
	v_dot2_f32_f16 v59, v60, v64, v59
	;;#ASMEND
	s_nop 0
	;;#ASMSTART
	v_dot2_f32_f16 v59, v61, v65, v59
	;;#ASMEND
	s_nop 0
	;;#ASMSTART
	v_dot2_f32_f16 v59, v62, v66, v59
	;;#ASMEND
	s_nop 0
	;;#ASMSTART
	v_dot2_f32_f16 v59, v63, v67, v59
	;;#ASMEND
	s_waitcnt lgkmcnt(2)
	;;#ASMSTART
	v_dot2_f32_f16 v58, v60, v68, v58
	;;#ASMEND
	s_nop 0
	;;#ASMSTART
	v_dot2_f32_f16 v58, v61, v69, v58
	;;#ASMEND
	s_nop 0
	;;#ASMSTART
	v_dot2_f32_f16 v58, v62, v70, v58
	;;#ASMEND
	s_nop 0
	;;#ASMSTART
	v_dot2_f32_f16 v58, v63, v71, v58
	;;#ASMEND
	;; [unrolled: 16-line block ×4, first 2 shown]
	ds_read_b128 v[60:63], v30 offset:48
	ds_read_b128 v[64:67], v27 offset:48
	;; [unrolled: 1-line block ×5, first 2 shown]
	s_waitcnt lgkmcnt(3)
	;;#ASMSTART
	v_dot2_f32_f16 v59, v60, v64, v59
	;;#ASMEND
	s_nop 0
	;;#ASMSTART
	v_dot2_f32_f16 v59, v61, v65, v59
	;;#ASMEND
	s_nop 0
	;;#ASMSTART
	v_dot2_f32_f16 v59, v62, v66, v59
	;;#ASMEND
	s_nop 0
	;;#ASMSTART
	v_dot2_f32_f16 v59, v63, v67, v59
	;;#ASMEND
	s_waitcnt lgkmcnt(2)
	;;#ASMSTART
	v_dot2_f32_f16 v58, v60, v68, v58
	;;#ASMEND
	s_nop 0
	;;#ASMSTART
	v_dot2_f32_f16 v58, v61, v69, v58
	;;#ASMEND
	s_nop 0
	;;#ASMSTART
	v_dot2_f32_f16 v58, v62, v70, v58
	;;#ASMEND
	s_nop 0
	;;#ASMSTART
	v_dot2_f32_f16 v58, v63, v71, v58
	;;#ASMEND
	;; [unrolled: 16-line block ×4, first 2 shown]
	ds_read_b128 v[60:63], v30 offset:64
	ds_read_b128 v[64:67], v27 offset:64
	;; [unrolled: 1-line block ×5, first 2 shown]
	s_waitcnt lgkmcnt(3)
	;;#ASMSTART
	v_dot2_f32_f16 v59, v60, v64, v59
	;;#ASMEND
	s_nop 0
	;;#ASMSTART
	v_dot2_f32_f16 v59, v61, v65, v59
	;;#ASMEND
	s_nop 0
	;;#ASMSTART
	v_dot2_f32_f16 v59, v62, v66, v59
	;;#ASMEND
	s_nop 0
	;;#ASMSTART
	v_dot2_f32_f16 v59, v63, v67, v59
	;;#ASMEND
	s_waitcnt lgkmcnt(2)
	;;#ASMSTART
	v_dot2_f32_f16 v58, v60, v68, v58
	;;#ASMEND
	s_nop 0
	;;#ASMSTART
	v_dot2_f32_f16 v58, v61, v69, v58
	;;#ASMEND
	s_nop 0
	;;#ASMSTART
	v_dot2_f32_f16 v58, v62, v70, v58
	;;#ASMEND
	s_nop 0
	;;#ASMSTART
	v_dot2_f32_f16 v58, v63, v71, v58
	;;#ASMEND
	;; [unrolled: 16-line block ×4, first 2 shown]
	ds_read_b128 v[60:63], v30 offset:80
	ds_read_b128 v[64:67], v27 offset:80
	;; [unrolled: 1-line block ×5, first 2 shown]
	s_waitcnt lgkmcnt(3)
	;;#ASMSTART
	v_dot2_f32_f16 v59, v60, v64, v59
	;;#ASMEND
	s_nop 0
	;;#ASMSTART
	v_dot2_f32_f16 v59, v61, v65, v59
	;;#ASMEND
	s_nop 0
	;;#ASMSTART
	v_dot2_f32_f16 v59, v62, v66, v59
	;;#ASMEND
	s_nop 0
	;;#ASMSTART
	v_dot2_f32_f16 v59, v63, v67, v59
	;;#ASMEND
	s_waitcnt lgkmcnt(2)
	;;#ASMSTART
	v_dot2_f32_f16 v58, v60, v68, v58
	;;#ASMEND
	s_nop 0
	;;#ASMSTART
	v_dot2_f32_f16 v58, v61, v69, v58
	;;#ASMEND
	s_nop 0
	;;#ASMSTART
	v_dot2_f32_f16 v58, v62, v70, v58
	;;#ASMEND
	s_nop 0
	;;#ASMSTART
	v_dot2_f32_f16 v58, v63, v71, v58
	;;#ASMEND
	s_waitcnt lgkmcnt(1)
	;;#ASMSTART
	v_dot2_f32_f16 v57, v60, v72, v57
	;;#ASMEND
	s_nop 0
	;;#ASMSTART
	v_dot2_f32_f16 v57, v61, v73, v57
	;;#ASMEND
	s_nop 0
	;;#ASMSTART
	v_dot2_f32_f16 v57, v62, v74, v57
	;;#ASMEND
	s_nop 0
	;;#ASMSTART
	v_dot2_f32_f16 v57, v63, v75, v57
	;;#ASMEND
	s_waitcnt lgkmcnt(0)
	;;#ASMSTART
	v_dot2_f32_f16 v56, v60, v76, v56
	;;#ASMEND
	s_nop 0
	;;#ASMSTART
	v_dot2_f32_f16 v56, v61, v77, v56
	;;#ASMEND
	s_nop 0
	;;#ASMSTART
	v_dot2_f32_f16 v56, v62, v78, v56
	;;#ASMEND
	s_nop 0
	;;#ASMSTART
	v_dot2_f32_f16 v56, v63, v79, v56
	;;#ASMEND
	ds_read_b128 v[60:63], v30 offset:96
	ds_read_b128 v[64:67], v27 offset:96
	;; [unrolled: 1-line block ×5, first 2 shown]
	s_waitcnt lgkmcnt(3)
	;;#ASMSTART
	v_dot2_f32_f16 v59, v60, v64, v59
	;;#ASMEND
	s_nop 0
	;;#ASMSTART
	v_dot2_f32_f16 v59, v61, v65, v59
	;;#ASMEND
	s_nop 0
	;;#ASMSTART
	v_dot2_f32_f16 v59, v62, v66, v59
	;;#ASMEND
	s_nop 0
	;;#ASMSTART
	v_dot2_f32_f16 v59, v63, v67, v59
	;;#ASMEND
	s_waitcnt lgkmcnt(2)
	;;#ASMSTART
	v_dot2_f32_f16 v58, v60, v68, v58
	;;#ASMEND
	s_nop 0
	;;#ASMSTART
	v_dot2_f32_f16 v58, v61, v69, v58
	;;#ASMEND
	s_nop 0
	;;#ASMSTART
	v_dot2_f32_f16 v58, v62, v70, v58
	;;#ASMEND
	s_nop 0
	;;#ASMSTART
	v_dot2_f32_f16 v58, v63, v71, v58
	;;#ASMEND
	;; [unrolled: 16-line block ×4, first 2 shown]
	ds_read_b128 v[60:63], v30 offset:112
	ds_read_b128 v[64:67], v27 offset:112
	;; [unrolled: 1-line block ×5, first 2 shown]
	s_waitcnt lgkmcnt(3)
	;;#ASMSTART
	v_dot2_f32_f16 v59, v60, v64, v59
	;;#ASMEND
	s_nop 0
	;;#ASMSTART
	v_dot2_f32_f16 v59, v61, v65, v59
	;;#ASMEND
	s_nop 0
	;;#ASMSTART
	v_dot2_f32_f16 v59, v62, v66, v59
	;;#ASMEND
	s_nop 0
	;;#ASMSTART
	v_dot2_f32_f16 v59, v63, v67, v59
	;;#ASMEND
	s_waitcnt lgkmcnt(2)
	;;#ASMSTART
	v_dot2_f32_f16 v58, v60, v68, v58
	;;#ASMEND
	s_nop 0
	;;#ASMSTART
	v_dot2_f32_f16 v58, v61, v69, v58
	;;#ASMEND
	s_nop 0
	;;#ASMSTART
	v_dot2_f32_f16 v58, v62, v70, v58
	;;#ASMEND
	s_nop 0
	;;#ASMSTART
	v_dot2_f32_f16 v58, v63, v71, v58
	;;#ASMEND
	s_waitcnt lgkmcnt(1)
	;;#ASMSTART
	v_dot2_f32_f16 v57, v60, v72, v57
	;;#ASMEND
	s_nop 0
	;;#ASMSTART
	v_dot2_f32_f16 v57, v61, v73, v57
	;;#ASMEND
	s_nop 0
	;;#ASMSTART
	v_dot2_f32_f16 v57, v62, v74, v57
	;;#ASMEND
	s_nop 0
	;;#ASMSTART
	v_dot2_f32_f16 v57, v63, v75, v57
	;;#ASMEND
	s_waitcnt lgkmcnt(0)
	;;#ASMSTART
	v_dot2_f32_f16 v56, v60, v76, v56
	;;#ASMEND
	s_nop 0
	;;#ASMSTART
	v_dot2_f32_f16 v56, v61, v77, v56
	;;#ASMEND
	s_nop 0
	;;#ASMSTART
	v_dot2_f32_f16 v56, v62, v78, v56
	;;#ASMEND
	s_nop 0
	;;#ASMSTART
	v_dot2_f32_f16 v56, v63, v79, v56
	;;#ASMEND
	ds_read_b128 v[60:63], v30 offset:128
	ds_read_b128 v[64:67], v27 offset:128
	ds_read_b128 v[68:71], v27 offset:640
	ds_read_b128 v[72:75], v27 offset:1152
	ds_read_b128 v[76:79], v27 offset:1664
	s_waitcnt lgkmcnt(3)
	;;#ASMSTART
	v_dot2_f32_f16 v59, v60, v64, v59
	;;#ASMEND
	s_nop 0
	;;#ASMSTART
	v_dot2_f32_f16 v59, v61, v65, v59
	;;#ASMEND
	s_nop 0
	;;#ASMSTART
	v_dot2_f32_f16 v59, v62, v66, v59
	;;#ASMEND
	s_nop 0
	;;#ASMSTART
	v_dot2_f32_f16 v59, v63, v67, v59
	;;#ASMEND
	s_waitcnt lgkmcnt(2)
	;;#ASMSTART
	v_dot2_f32_f16 v58, v60, v68, v58
	;;#ASMEND
	s_nop 0
	;;#ASMSTART
	v_dot2_f32_f16 v58, v61, v69, v58
	;;#ASMEND
	s_nop 0
	;;#ASMSTART
	v_dot2_f32_f16 v58, v62, v70, v58
	;;#ASMEND
	s_nop 0
	;;#ASMSTART
	v_dot2_f32_f16 v58, v63, v71, v58
	;;#ASMEND
	;; [unrolled: 16-line block ×4, first 2 shown]
	ds_read_b128 v[60:63], v30 offset:144
	ds_read_b128 v[64:67], v27 offset:144
	;; [unrolled: 1-line block ×5, first 2 shown]
	s_waitcnt lgkmcnt(3)
	;;#ASMSTART
	v_dot2_f32_f16 v59, v60, v64, v59
	;;#ASMEND
	s_nop 0
	;;#ASMSTART
	v_dot2_f32_f16 v59, v61, v65, v59
	;;#ASMEND
	s_nop 0
	;;#ASMSTART
	v_dot2_f32_f16 v59, v62, v66, v59
	;;#ASMEND
	s_nop 0
	;;#ASMSTART
	v_dot2_f32_f16 v59, v63, v67, v59
	;;#ASMEND
	s_waitcnt lgkmcnt(2)
	;;#ASMSTART
	v_dot2_f32_f16 v58, v60, v68, v58
	;;#ASMEND
	s_nop 0
	;;#ASMSTART
	v_dot2_f32_f16 v58, v61, v69, v58
	;;#ASMEND
	s_nop 0
	;;#ASMSTART
	v_dot2_f32_f16 v58, v62, v70, v58
	;;#ASMEND
	s_nop 0
	;;#ASMSTART
	v_dot2_f32_f16 v58, v63, v71, v58
	;;#ASMEND
	;; [unrolled: 16-line block ×4, first 2 shown]
	ds_read_b128 v[60:63], v30 offset:160
	ds_read_b128 v[64:67], v27 offset:160
	;; [unrolled: 1-line block ×5, first 2 shown]
	s_waitcnt lgkmcnt(3)
	;;#ASMSTART
	v_dot2_f32_f16 v59, v60, v64, v59
	;;#ASMEND
	s_nop 0
	;;#ASMSTART
	v_dot2_f32_f16 v59, v61, v65, v59
	;;#ASMEND
	s_nop 0
	;;#ASMSTART
	v_dot2_f32_f16 v59, v62, v66, v59
	;;#ASMEND
	s_nop 0
	;;#ASMSTART
	v_dot2_f32_f16 v59, v63, v67, v59
	;;#ASMEND
	s_waitcnt lgkmcnt(2)
	;;#ASMSTART
	v_dot2_f32_f16 v58, v60, v68, v58
	;;#ASMEND
	s_nop 0
	;;#ASMSTART
	v_dot2_f32_f16 v58, v61, v69, v58
	;;#ASMEND
	s_nop 0
	;;#ASMSTART
	v_dot2_f32_f16 v58, v62, v70, v58
	;;#ASMEND
	s_nop 0
	;;#ASMSTART
	v_dot2_f32_f16 v58, v63, v71, v58
	;;#ASMEND
	;; [unrolled: 16-line block ×4, first 2 shown]
	ds_read_b128 v[60:63], v30 offset:176
	ds_read_b128 v[64:67], v27 offset:176
	;; [unrolled: 1-line block ×5, first 2 shown]
	s_waitcnt lgkmcnt(3)
	;;#ASMSTART
	v_dot2_f32_f16 v59, v60, v64, v59
	;;#ASMEND
	s_nop 0
	;;#ASMSTART
	v_dot2_f32_f16 v59, v61, v65, v59
	;;#ASMEND
	s_nop 0
	;;#ASMSTART
	v_dot2_f32_f16 v59, v62, v66, v59
	;;#ASMEND
	s_nop 0
	;;#ASMSTART
	v_dot2_f32_f16 v59, v63, v67, v59
	;;#ASMEND
	s_waitcnt lgkmcnt(2)
	;;#ASMSTART
	v_dot2_f32_f16 v58, v60, v68, v58
	;;#ASMEND
	s_nop 0
	;;#ASMSTART
	v_dot2_f32_f16 v58, v61, v69, v58
	;;#ASMEND
	s_nop 0
	;;#ASMSTART
	v_dot2_f32_f16 v58, v62, v70, v58
	;;#ASMEND
	s_nop 0
	;;#ASMSTART
	v_dot2_f32_f16 v58, v63, v71, v58
	;;#ASMEND
	;; [unrolled: 16-line block ×4, first 2 shown]
	ds_read_b128 v[60:63], v30 offset:192
	ds_read_b128 v[64:67], v27 offset:192
	;; [unrolled: 1-line block ×5, first 2 shown]
	s_waitcnt lgkmcnt(3)
	;;#ASMSTART
	v_dot2_f32_f16 v59, v60, v64, v59
	;;#ASMEND
	s_nop 0
	;;#ASMSTART
	v_dot2_f32_f16 v59, v61, v65, v59
	;;#ASMEND
	s_nop 0
	;;#ASMSTART
	v_dot2_f32_f16 v59, v62, v66, v59
	;;#ASMEND
	s_nop 0
	;;#ASMSTART
	v_dot2_f32_f16 v59, v63, v67, v59
	;;#ASMEND
	s_waitcnt lgkmcnt(2)
	;;#ASMSTART
	v_dot2_f32_f16 v58, v60, v68, v58
	;;#ASMEND
	s_nop 0
	;;#ASMSTART
	v_dot2_f32_f16 v58, v61, v69, v58
	;;#ASMEND
	s_nop 0
	;;#ASMSTART
	v_dot2_f32_f16 v58, v62, v70, v58
	;;#ASMEND
	s_nop 0
	;;#ASMSTART
	v_dot2_f32_f16 v58, v63, v71, v58
	;;#ASMEND
	;; [unrolled: 16-line block ×4, first 2 shown]
	ds_read_b128 v[60:63], v30 offset:208
	ds_read_b128 v[64:67], v27 offset:208
	;; [unrolled: 1-line block ×5, first 2 shown]
	s_waitcnt lgkmcnt(3)
	;;#ASMSTART
	v_dot2_f32_f16 v59, v60, v64, v59
	;;#ASMEND
	s_nop 0
	;;#ASMSTART
	v_dot2_f32_f16 v59, v61, v65, v59
	;;#ASMEND
	s_nop 0
	;;#ASMSTART
	v_dot2_f32_f16 v59, v62, v66, v59
	;;#ASMEND
	s_nop 0
	;;#ASMSTART
	v_dot2_f32_f16 v59, v63, v67, v59
	;;#ASMEND
	s_waitcnt lgkmcnt(2)
	;;#ASMSTART
	v_dot2_f32_f16 v58, v60, v68, v58
	;;#ASMEND
	s_nop 0
	;;#ASMSTART
	v_dot2_f32_f16 v58, v61, v69, v58
	;;#ASMEND
	s_nop 0
	;;#ASMSTART
	v_dot2_f32_f16 v58, v62, v70, v58
	;;#ASMEND
	s_nop 0
	;;#ASMSTART
	v_dot2_f32_f16 v58, v63, v71, v58
	;;#ASMEND
	;; [unrolled: 16-line block ×4, first 2 shown]
	ds_read_b128 v[60:63], v30 offset:224
	ds_read_b128 v[64:67], v27 offset:224
	;; [unrolled: 1-line block ×5, first 2 shown]
	s_waitcnt lgkmcnt(3)
	;;#ASMSTART
	v_dot2_f32_f16 v59, v60, v64, v59
	;;#ASMEND
	s_nop 0
	;;#ASMSTART
	v_dot2_f32_f16 v59, v61, v65, v59
	;;#ASMEND
	s_nop 0
	;;#ASMSTART
	v_dot2_f32_f16 v59, v62, v66, v59
	;;#ASMEND
	s_nop 0
	;;#ASMSTART
	v_dot2_f32_f16 v59, v63, v67, v59
	;;#ASMEND
	s_waitcnt lgkmcnt(2)
	;;#ASMSTART
	v_dot2_f32_f16 v58, v60, v68, v58
	;;#ASMEND
	s_nop 0
	;;#ASMSTART
	v_dot2_f32_f16 v58, v61, v69, v58
	;;#ASMEND
	s_nop 0
	;;#ASMSTART
	v_dot2_f32_f16 v58, v62, v70, v58
	;;#ASMEND
	s_nop 0
	;;#ASMSTART
	v_dot2_f32_f16 v58, v63, v71, v58
	;;#ASMEND
	s_waitcnt lgkmcnt(1)
	;;#ASMSTART
	v_dot2_f32_f16 v57, v60, v72, v57
	;;#ASMEND
	s_nop 0
	;;#ASMSTART
	v_dot2_f32_f16 v57, v61, v73, v57
	;;#ASMEND
	s_nop 0
	;;#ASMSTART
	v_dot2_f32_f16 v57, v62, v74, v57
	;;#ASMEND
	s_nop 0
	;;#ASMSTART
	v_dot2_f32_f16 v57, v63, v75, v57
	;;#ASMEND
	s_waitcnt lgkmcnt(0)
	;;#ASMSTART
	v_dot2_f32_f16 v56, v60, v76, v56
	;;#ASMEND
	s_nop 0
	;;#ASMSTART
	v_dot2_f32_f16 v56, v61, v77, v56
	;;#ASMEND
	s_nop 0
	;;#ASMSTART
	v_dot2_f32_f16 v56, v62, v78, v56
	;;#ASMEND
	s_nop 0
	;;#ASMSTART
	v_dot2_f32_f16 v56, v63, v79, v56
	;;#ASMEND
	ds_read_b128 v[60:63], v30 offset:240
	ds_read_b128 v[64:67], v27 offset:240
	;; [unrolled: 1-line block ×5, first 2 shown]
	s_waitcnt lgkmcnt(3)
	;;#ASMSTART
	v_dot2_f32_f16 v59, v60, v64, v59
	;;#ASMEND
	s_nop 0
	;;#ASMSTART
	v_dot2_f32_f16 v59, v61, v65, v59
	;;#ASMEND
	s_nop 0
	;;#ASMSTART
	v_dot2_f32_f16 v59, v62, v66, v59
	;;#ASMEND
	s_nop 0
	;;#ASMSTART
	v_dot2_f32_f16 v59, v63, v67, v59
	;;#ASMEND
	s_waitcnt lgkmcnt(2)
	;;#ASMSTART
	v_dot2_f32_f16 v58, v60, v68, v58
	;;#ASMEND
	s_nop 0
	;;#ASMSTART
	v_dot2_f32_f16 v58, v61, v69, v58
	;;#ASMEND
	s_nop 0
	;;#ASMSTART
	v_dot2_f32_f16 v58, v62, v70, v58
	;;#ASMEND
	s_nop 0
	;;#ASMSTART
	v_dot2_f32_f16 v58, v63, v71, v58
	;;#ASMEND
	;; [unrolled: 16-line block ×3, first 2 shown]
	s_waitcnt lgkmcnt(0)
	;;#ASMSTART
	v_dot2_f32_f16 v56, v60, v76, v56
	;;#ASMEND
	v_add_u32_e32 v76, s2, v16
	;;#ASMSTART
	v_dot2_f32_f16 v56, v61, v77, v56
	;;#ASMEND
	v_ashrrev_i32_e32 v77, 31, v76
	;;#ASMSTART
	v_dot2_f32_f16 v56, v62, v78, v56
	;;#ASMEND
	v_lshl_add_u64 v[76:77], v[76:77], 1, s[26:27]
	;;#ASMSTART
	v_dot2_f32_f16 v56, v63, v79, v56
	;;#ASMEND
	s_barrier
	global_load_dwordx4 v[60:63], v[0:1], off offset:256
	global_load_dwordx4 v[64:67], v[2:3], off offset:256
	s_waitcnt vmcnt(1)
	ds_write_b128 v28, v[60:63]
	s_waitcnt vmcnt(0)
	ds_write_b128 v29, v[64:67]
	s_waitcnt lgkmcnt(0)
	s_barrier
	ds_read_b128 v[0:3], v30
	ds_read_b128 v[60:63], v27 offset:256
	ds_read_b128 v[64:67], v27 offset:768
	ds_read_b128 v[68:71], v27 offset:1280
	ds_read_b128 v[72:75], v27 offset:1792
	s_waitcnt lgkmcnt(3)
	;;#ASMSTART
	v_dot2_f32_f16 v59, v0, v60, v59
	;;#ASMEND
	s_nop 0
	;;#ASMSTART
	v_dot2_f32_f16 v59, v1, v61, v59
	;;#ASMEND
	s_nop 0
	;;#ASMSTART
	v_dot2_f32_f16 v59, v2, v62, v59
	;;#ASMEND
	s_nop 0
	;;#ASMSTART
	v_dot2_f32_f16 v59, v3, v63, v59
	;;#ASMEND
	s_waitcnt lgkmcnt(2)
	;;#ASMSTART
	v_dot2_f32_f16 v58, v0, v64, v58
	;;#ASMEND
	s_nop 0
	;;#ASMSTART
	v_dot2_f32_f16 v58, v1, v65, v58
	;;#ASMEND
	s_nop 0
	;;#ASMSTART
	v_dot2_f32_f16 v58, v2, v66, v58
	;;#ASMEND
	s_nop 0
	;;#ASMSTART
	v_dot2_f32_f16 v58, v3, v67, v58
	;;#ASMEND
	;; [unrolled: 16-line block ×4, first 2 shown]
	ds_read_b128 v[0:3], v30 offset:16
	ds_read_b128 v[60:63], v27 offset:272
	;; [unrolled: 1-line block ×5, first 2 shown]
	s_waitcnt lgkmcnt(3)
	;;#ASMSTART
	v_dot2_f32_f16 v59, v0, v60, v59
	;;#ASMEND
	s_nop 0
	;;#ASMSTART
	v_dot2_f32_f16 v59, v1, v61, v59
	;;#ASMEND
	s_nop 0
	;;#ASMSTART
	v_dot2_f32_f16 v59, v2, v62, v59
	;;#ASMEND
	s_nop 0
	;;#ASMSTART
	v_dot2_f32_f16 v59, v3, v63, v59
	;;#ASMEND
	s_waitcnt lgkmcnt(2)
	;;#ASMSTART
	v_dot2_f32_f16 v58, v0, v64, v58
	;;#ASMEND
	s_nop 0
	;;#ASMSTART
	v_dot2_f32_f16 v58, v1, v65, v58
	;;#ASMEND
	s_nop 0
	;;#ASMSTART
	v_dot2_f32_f16 v58, v2, v66, v58
	;;#ASMEND
	s_nop 0
	;;#ASMSTART
	v_dot2_f32_f16 v58, v3, v67, v58
	;;#ASMEND
	;; [unrolled: 16-line block ×4, first 2 shown]
	ds_read_b128 v[0:3], v30 offset:32
	ds_read_b128 v[60:63], v27 offset:288
	;; [unrolled: 1-line block ×5, first 2 shown]
	s_waitcnt lgkmcnt(3)
	;;#ASMSTART
	v_dot2_f32_f16 v59, v0, v60, v59
	;;#ASMEND
	s_nop 0
	;;#ASMSTART
	v_dot2_f32_f16 v59, v1, v61, v59
	;;#ASMEND
	s_nop 0
	;;#ASMSTART
	v_dot2_f32_f16 v59, v2, v62, v59
	;;#ASMEND
	s_nop 0
	;;#ASMSTART
	v_dot2_f32_f16 v59, v3, v63, v59
	;;#ASMEND
	s_waitcnt lgkmcnt(2)
	;;#ASMSTART
	v_dot2_f32_f16 v58, v0, v64, v58
	;;#ASMEND
	s_nop 0
	;;#ASMSTART
	v_dot2_f32_f16 v58, v1, v65, v58
	;;#ASMEND
	s_nop 0
	;;#ASMSTART
	v_dot2_f32_f16 v58, v2, v66, v58
	;;#ASMEND
	s_nop 0
	;;#ASMSTART
	v_dot2_f32_f16 v58, v3, v67, v58
	;;#ASMEND
	;; [unrolled: 16-line block ×4, first 2 shown]
	ds_read_b128 v[0:3], v30 offset:48
	ds_read_b128 v[60:63], v27 offset:304
	ds_read_b128 v[64:67], v27 offset:816
	ds_read_b128 v[68:71], v27 offset:1328
	ds_read_b128 v[72:75], v27 offset:1840
	s_waitcnt lgkmcnt(3)
	;;#ASMSTART
	v_dot2_f32_f16 v59, v0, v60, v59
	;;#ASMEND
	s_nop 0
	;;#ASMSTART
	v_dot2_f32_f16 v59, v1, v61, v59
	;;#ASMEND
	s_nop 0
	;;#ASMSTART
	v_dot2_f32_f16 v59, v2, v62, v59
	;;#ASMEND
	s_nop 0
	;;#ASMSTART
	v_dot2_f32_f16 v59, v3, v63, v59
	;;#ASMEND
	s_waitcnt lgkmcnt(2)
	;;#ASMSTART
	v_dot2_f32_f16 v58, v0, v64, v58
	;;#ASMEND
	s_nop 0
	;;#ASMSTART
	v_dot2_f32_f16 v58, v1, v65, v58
	;;#ASMEND
	s_nop 0
	;;#ASMSTART
	v_dot2_f32_f16 v58, v2, v66, v58
	;;#ASMEND
	s_nop 0
	;;#ASMSTART
	v_dot2_f32_f16 v58, v3, v67, v58
	;;#ASMEND
	;; [unrolled: 16-line block ×4, first 2 shown]
	ds_read_b128 v[0:3], v30 offset:64
	ds_read_b128 v[60:63], v27 offset:320
	;; [unrolled: 1-line block ×5, first 2 shown]
	s_waitcnt lgkmcnt(3)
	;;#ASMSTART
	v_dot2_f32_f16 v59, v0, v60, v59
	;;#ASMEND
	s_nop 0
	;;#ASMSTART
	v_dot2_f32_f16 v59, v1, v61, v59
	;;#ASMEND
	s_nop 0
	;;#ASMSTART
	v_dot2_f32_f16 v59, v2, v62, v59
	;;#ASMEND
	s_nop 0
	;;#ASMSTART
	v_dot2_f32_f16 v59, v3, v63, v59
	;;#ASMEND
	s_waitcnt lgkmcnt(2)
	;;#ASMSTART
	v_dot2_f32_f16 v58, v0, v64, v58
	;;#ASMEND
	s_nop 0
	;;#ASMSTART
	v_dot2_f32_f16 v58, v1, v65, v58
	;;#ASMEND
	s_nop 0
	;;#ASMSTART
	v_dot2_f32_f16 v58, v2, v66, v58
	;;#ASMEND
	s_nop 0
	;;#ASMSTART
	v_dot2_f32_f16 v58, v3, v67, v58
	;;#ASMEND
	;; [unrolled: 16-line block ×4, first 2 shown]
	ds_read_b128 v[0:3], v30 offset:80
	ds_read_b128 v[60:63], v27 offset:336
	;; [unrolled: 1-line block ×5, first 2 shown]
	s_waitcnt lgkmcnt(3)
	;;#ASMSTART
	v_dot2_f32_f16 v59, v0, v60, v59
	;;#ASMEND
	s_nop 0
	;;#ASMSTART
	v_dot2_f32_f16 v59, v1, v61, v59
	;;#ASMEND
	s_nop 0
	;;#ASMSTART
	v_dot2_f32_f16 v59, v2, v62, v59
	;;#ASMEND
	s_nop 0
	;;#ASMSTART
	v_dot2_f32_f16 v59, v3, v63, v59
	;;#ASMEND
	s_waitcnt lgkmcnt(2)
	;;#ASMSTART
	v_dot2_f32_f16 v58, v0, v64, v58
	;;#ASMEND
	s_nop 0
	;;#ASMSTART
	v_dot2_f32_f16 v58, v1, v65, v58
	;;#ASMEND
	s_nop 0
	;;#ASMSTART
	v_dot2_f32_f16 v58, v2, v66, v58
	;;#ASMEND
	s_nop 0
	;;#ASMSTART
	v_dot2_f32_f16 v58, v3, v67, v58
	;;#ASMEND
	;; [unrolled: 16-line block ×4, first 2 shown]
	ds_read_b128 v[0:3], v30 offset:96
	ds_read_b128 v[60:63], v27 offset:352
	;; [unrolled: 1-line block ×5, first 2 shown]
	s_waitcnt lgkmcnt(3)
	;;#ASMSTART
	v_dot2_f32_f16 v59, v0, v60, v59
	;;#ASMEND
	s_nop 0
	;;#ASMSTART
	v_dot2_f32_f16 v59, v1, v61, v59
	;;#ASMEND
	s_nop 0
	;;#ASMSTART
	v_dot2_f32_f16 v59, v2, v62, v59
	;;#ASMEND
	s_nop 0
	;;#ASMSTART
	v_dot2_f32_f16 v59, v3, v63, v59
	;;#ASMEND
	s_waitcnt lgkmcnt(2)
	;;#ASMSTART
	v_dot2_f32_f16 v58, v0, v64, v58
	;;#ASMEND
	s_nop 0
	;;#ASMSTART
	v_dot2_f32_f16 v58, v1, v65, v58
	;;#ASMEND
	s_nop 0
	;;#ASMSTART
	v_dot2_f32_f16 v58, v2, v66, v58
	;;#ASMEND
	s_nop 0
	;;#ASMSTART
	v_dot2_f32_f16 v58, v3, v67, v58
	;;#ASMEND
	;; [unrolled: 16-line block ×4, first 2 shown]
	ds_read_b128 v[0:3], v30 offset:112
	ds_read_b128 v[60:63], v27 offset:368
	;; [unrolled: 1-line block ×5, first 2 shown]
	s_waitcnt lgkmcnt(3)
	;;#ASMSTART
	v_dot2_f32_f16 v59, v0, v60, v59
	;;#ASMEND
	s_nop 0
	;;#ASMSTART
	v_dot2_f32_f16 v59, v1, v61, v59
	;;#ASMEND
	s_nop 0
	;;#ASMSTART
	v_dot2_f32_f16 v59, v2, v62, v59
	;;#ASMEND
	s_nop 0
	;;#ASMSTART
	v_dot2_f32_f16 v59, v3, v63, v59
	;;#ASMEND
	s_waitcnt lgkmcnt(2)
	;;#ASMSTART
	v_dot2_f32_f16 v58, v0, v64, v58
	;;#ASMEND
	s_nop 0
	;;#ASMSTART
	v_dot2_f32_f16 v58, v1, v65, v58
	;;#ASMEND
	s_nop 0
	;;#ASMSTART
	v_dot2_f32_f16 v58, v2, v66, v58
	;;#ASMEND
	s_nop 0
	;;#ASMSTART
	v_dot2_f32_f16 v58, v3, v67, v58
	;;#ASMEND
	;; [unrolled: 16-line block ×4, first 2 shown]
	ds_read_b128 v[0:3], v30 offset:128
	ds_read_b128 v[60:63], v27 offset:384
	;; [unrolled: 1-line block ×5, first 2 shown]
	s_waitcnt lgkmcnt(3)
	;;#ASMSTART
	v_dot2_f32_f16 v59, v0, v60, v59
	;;#ASMEND
	s_nop 0
	;;#ASMSTART
	v_dot2_f32_f16 v59, v1, v61, v59
	;;#ASMEND
	s_nop 0
	;;#ASMSTART
	v_dot2_f32_f16 v59, v2, v62, v59
	;;#ASMEND
	s_nop 0
	;;#ASMSTART
	v_dot2_f32_f16 v59, v3, v63, v59
	;;#ASMEND
	s_waitcnt lgkmcnt(2)
	;;#ASMSTART
	v_dot2_f32_f16 v58, v0, v64, v58
	;;#ASMEND
	s_nop 0
	;;#ASMSTART
	v_dot2_f32_f16 v58, v1, v65, v58
	;;#ASMEND
	s_nop 0
	;;#ASMSTART
	v_dot2_f32_f16 v58, v2, v66, v58
	;;#ASMEND
	s_nop 0
	;;#ASMSTART
	v_dot2_f32_f16 v58, v3, v67, v58
	;;#ASMEND
	;; [unrolled: 16-line block ×4, first 2 shown]
	ds_read_b128 v[0:3], v30 offset:144
	ds_read_b128 v[60:63], v27 offset:400
	;; [unrolled: 1-line block ×5, first 2 shown]
	s_waitcnt lgkmcnt(3)
	;;#ASMSTART
	v_dot2_f32_f16 v59, v0, v60, v59
	;;#ASMEND
	s_nop 0
	;;#ASMSTART
	v_dot2_f32_f16 v59, v1, v61, v59
	;;#ASMEND
	s_nop 0
	;;#ASMSTART
	v_dot2_f32_f16 v59, v2, v62, v59
	;;#ASMEND
	s_nop 0
	;;#ASMSTART
	v_dot2_f32_f16 v59, v3, v63, v59
	;;#ASMEND
	s_waitcnt lgkmcnt(2)
	;;#ASMSTART
	v_dot2_f32_f16 v58, v0, v64, v58
	;;#ASMEND
	s_nop 0
	;;#ASMSTART
	v_dot2_f32_f16 v58, v1, v65, v58
	;;#ASMEND
	s_nop 0
	;;#ASMSTART
	v_dot2_f32_f16 v58, v2, v66, v58
	;;#ASMEND
	s_nop 0
	;;#ASMSTART
	v_dot2_f32_f16 v58, v3, v67, v58
	;;#ASMEND
	s_waitcnt lgkmcnt(1)
	;;#ASMSTART
	v_dot2_f32_f16 v57, v0, v68, v57
	;;#ASMEND
	s_nop 0
	;;#ASMSTART
	v_dot2_f32_f16 v57, v1, v69, v57
	;;#ASMEND
	s_nop 0
	;;#ASMSTART
	v_dot2_f32_f16 v57, v2, v70, v57
	;;#ASMEND
	s_nop 0
	;;#ASMSTART
	v_dot2_f32_f16 v57, v3, v71, v57
	;;#ASMEND
	s_waitcnt lgkmcnt(0)
	;;#ASMSTART
	v_dot2_f32_f16 v56, v0, v72, v56
	;;#ASMEND
	s_nop 0
	;;#ASMSTART
	v_dot2_f32_f16 v56, v1, v73, v56
	;;#ASMEND
	s_nop 0
	;;#ASMSTART
	v_dot2_f32_f16 v56, v2, v74, v56
	;;#ASMEND
	s_nop 0
	;;#ASMSTART
	v_dot2_f32_f16 v56, v3, v75, v56
	;;#ASMEND
	ds_read_b128 v[0:3], v30 offset:160
	ds_read_b128 v[60:63], v27 offset:416
	;; [unrolled: 1-line block ×5, first 2 shown]
	s_waitcnt lgkmcnt(3)
	;;#ASMSTART
	v_dot2_f32_f16 v59, v0, v60, v59
	;;#ASMEND
	s_nop 0
	;;#ASMSTART
	v_dot2_f32_f16 v59, v1, v61, v59
	;;#ASMEND
	s_nop 0
	;;#ASMSTART
	v_dot2_f32_f16 v59, v2, v62, v59
	;;#ASMEND
	s_nop 0
	;;#ASMSTART
	v_dot2_f32_f16 v59, v3, v63, v59
	;;#ASMEND
	s_waitcnt lgkmcnt(2)
	;;#ASMSTART
	v_dot2_f32_f16 v58, v0, v64, v58
	;;#ASMEND
	s_nop 0
	;;#ASMSTART
	v_dot2_f32_f16 v58, v1, v65, v58
	;;#ASMEND
	s_nop 0
	;;#ASMSTART
	v_dot2_f32_f16 v58, v2, v66, v58
	;;#ASMEND
	s_nop 0
	;;#ASMSTART
	v_dot2_f32_f16 v58, v3, v67, v58
	;;#ASMEND
	;; [unrolled: 16-line block ×4, first 2 shown]
	ds_read_b128 v[0:3], v30 offset:176
	ds_read_b128 v[60:63], v27 offset:432
	;; [unrolled: 1-line block ×5, first 2 shown]
	s_waitcnt lgkmcnt(3)
	;;#ASMSTART
	v_dot2_f32_f16 v59, v0, v60, v59
	;;#ASMEND
	s_nop 0
	;;#ASMSTART
	v_dot2_f32_f16 v59, v1, v61, v59
	;;#ASMEND
	s_nop 0
	;;#ASMSTART
	v_dot2_f32_f16 v59, v2, v62, v59
	;;#ASMEND
	s_nop 0
	;;#ASMSTART
	v_dot2_f32_f16 v59, v3, v63, v59
	;;#ASMEND
	s_waitcnt lgkmcnt(2)
	;;#ASMSTART
	v_dot2_f32_f16 v58, v0, v64, v58
	;;#ASMEND
	s_nop 0
	;;#ASMSTART
	v_dot2_f32_f16 v58, v1, v65, v58
	;;#ASMEND
	s_nop 0
	;;#ASMSTART
	v_dot2_f32_f16 v58, v2, v66, v58
	;;#ASMEND
	s_nop 0
	;;#ASMSTART
	v_dot2_f32_f16 v58, v3, v67, v58
	;;#ASMEND
	;; [unrolled: 16-line block ×4, first 2 shown]
	ds_read_b128 v[0:3], v30 offset:192
	ds_read_b128 v[60:63], v27 offset:448
	;; [unrolled: 1-line block ×5, first 2 shown]
	s_waitcnt lgkmcnt(3)
	;;#ASMSTART
	v_dot2_f32_f16 v59, v0, v60, v59
	;;#ASMEND
	s_nop 0
	;;#ASMSTART
	v_dot2_f32_f16 v59, v1, v61, v59
	;;#ASMEND
	s_nop 0
	;;#ASMSTART
	v_dot2_f32_f16 v59, v2, v62, v59
	;;#ASMEND
	s_nop 0
	;;#ASMSTART
	v_dot2_f32_f16 v59, v3, v63, v59
	;;#ASMEND
	s_waitcnt lgkmcnt(2)
	;;#ASMSTART
	v_dot2_f32_f16 v58, v0, v64, v58
	;;#ASMEND
	s_nop 0
	;;#ASMSTART
	v_dot2_f32_f16 v58, v1, v65, v58
	;;#ASMEND
	s_nop 0
	;;#ASMSTART
	v_dot2_f32_f16 v58, v2, v66, v58
	;;#ASMEND
	s_nop 0
	;;#ASMSTART
	v_dot2_f32_f16 v58, v3, v67, v58
	;;#ASMEND
	;; [unrolled: 16-line block ×4, first 2 shown]
	ds_read_b128 v[0:3], v30 offset:208
	ds_read_b128 v[60:63], v27 offset:464
	;; [unrolled: 1-line block ×5, first 2 shown]
	s_waitcnt lgkmcnt(3)
	;;#ASMSTART
	v_dot2_f32_f16 v59, v0, v60, v59
	;;#ASMEND
	s_nop 0
	;;#ASMSTART
	v_dot2_f32_f16 v59, v1, v61, v59
	;;#ASMEND
	s_nop 0
	;;#ASMSTART
	v_dot2_f32_f16 v59, v2, v62, v59
	;;#ASMEND
	s_nop 0
	;;#ASMSTART
	v_dot2_f32_f16 v59, v3, v63, v59
	;;#ASMEND
	s_waitcnt lgkmcnt(2)
	;;#ASMSTART
	v_dot2_f32_f16 v58, v0, v64, v58
	;;#ASMEND
	s_nop 0
	;;#ASMSTART
	v_dot2_f32_f16 v58, v1, v65, v58
	;;#ASMEND
	s_nop 0
	;;#ASMSTART
	v_dot2_f32_f16 v58, v2, v66, v58
	;;#ASMEND
	s_nop 0
	;;#ASMSTART
	v_dot2_f32_f16 v58, v3, v67, v58
	;;#ASMEND
	;; [unrolled: 16-line block ×4, first 2 shown]
	ds_read_b128 v[0:3], v30 offset:224
	ds_read_b128 v[60:63], v27 offset:480
	;; [unrolled: 1-line block ×5, first 2 shown]
	s_waitcnt lgkmcnt(3)
	;;#ASMSTART
	v_dot2_f32_f16 v59, v0, v60, v59
	;;#ASMEND
	s_nop 0
	;;#ASMSTART
	v_dot2_f32_f16 v59, v1, v61, v59
	;;#ASMEND
	s_nop 0
	;;#ASMSTART
	v_dot2_f32_f16 v59, v2, v62, v59
	;;#ASMEND
	s_nop 0
	;;#ASMSTART
	v_dot2_f32_f16 v59, v3, v63, v59
	;;#ASMEND
	s_waitcnt lgkmcnt(2)
	;;#ASMSTART
	v_dot2_f32_f16 v58, v0, v64, v58
	;;#ASMEND
	s_nop 0
	;;#ASMSTART
	v_dot2_f32_f16 v58, v1, v65, v58
	;;#ASMEND
	s_nop 0
	;;#ASMSTART
	v_dot2_f32_f16 v58, v2, v66, v58
	;;#ASMEND
	s_nop 0
	;;#ASMSTART
	v_dot2_f32_f16 v58, v3, v67, v58
	;;#ASMEND
	;; [unrolled: 16-line block ×4, first 2 shown]
	ds_read_b128 v[0:3], v30 offset:240
	ds_read_b128 v[60:63], v27 offset:496
	ds_read_b128 v[64:67], v27 offset:1008
	ds_read_b128 v[68:71], v27 offset:1520
	ds_read_b128 v[72:75], v27 offset:2032
	s_waitcnt lgkmcnt(3)
	;;#ASMSTART
	v_dot2_f32_f16 v59, v0, v60, v59
	;;#ASMEND
	s_nop 0
	;;#ASMSTART
	v_dot2_f32_f16 v59, v1, v61, v59
	;;#ASMEND
	s_nop 0
	;; [unrolled: 4-line block ×3, first 2 shown]
	;;#ASMSTART
	v_dot2_f32_f16 v59, v3, v63, v59
	;;#ASMEND
	s_waitcnt lgkmcnt(2)
	;;#ASMSTART
	v_dot2_f32_f16 v58, v0, v64, v58
	;;#ASMEND
	s_nop 0
	;;#ASMSTART
	v_dot2_f32_f16 v58, v1, v65, v58
	;;#ASMEND
	v_cmp_nlt_f32_e64 s[6:7], |v59|, s21
	;;#ASMSTART
	v_dot2_f32_f16 v58, v2, v66, v58
	;;#ASMEND
	s_nop 0
	;;#ASMSTART
	v_dot2_f32_f16 v58, v3, v67, v58
	;;#ASMEND
	s_waitcnt lgkmcnt(1)
	;;#ASMSTART
	v_dot2_f32_f16 v57, v0, v68, v57
	;;#ASMEND
	s_nop 0
	;;#ASMSTART
	v_dot2_f32_f16 v57, v1, v69, v57
	;;#ASMEND
	s_nop 0
	;; [unrolled: 4-line block ×3, first 2 shown]
	;;#ASMSTART
	v_dot2_f32_f16 v57, v3, v71, v57
	;;#ASMEND
	s_waitcnt lgkmcnt(0)
	;;#ASMSTART
	v_dot2_f32_f16 v56, v0, v72, v56
	;;#ASMEND
	s_nop 0
	;;#ASMSTART
	v_dot2_f32_f16 v56, v1, v73, v56
	;;#ASMEND
                                        ; implicit-def: $vgpr1
	s_nop 0
	;;#ASMSTART
	v_dot2_f32_f16 v56, v2, v74, v56
	;;#ASMEND
	s_nop 0
	;;#ASMSTART
	v_dot2_f32_f16 v56, v3, v75, v56
	;;#ASMEND
	global_load_ushort v65, v[76:77], off
	s_and_saveexec_b64 s[36:37], s[6:7]
	s_xor_b64 s[6:7], exec, s[36:37]
	s_cbranch_execz .LBB58_31
; %bb.30:                               ;   in Loop: Header=BB58_29 Depth=1
	v_add_f32_e64 v0, |v59|, |v59|
	v_mul_f32_e32 v1, 0x3fb8aa3b, v0
	v_rndne_f32_e32 v2, v1
	v_sub_f32_e32 v3, v1, v2
	v_fma_f32 v1, v0, s28, -v1
	v_fmac_f32_e32 v1, 0x32a5705f, v0
	v_add_f32_e32 v1, v3, v1
	v_cvt_i32_f32_e32 v2, v2
	v_exp_f32_e32 v1, v1
	v_cmp_ngt_f32_e32 vcc, s29, v0
	v_ldexp_f32 v1, v1, v2
	s_nop 0
	v_cndmask_b32_e32 v1, 0, v1, vcc
	v_cmp_nlt_f32_e32 vcc, s31, v0
	s_nop 1
	v_cndmask_b32_e32 v0, v35, v1, vcc
	v_add_f32_e32 v0, 1.0, v0
	v_rcp_f32_e32 v0, v0
	s_nop 0
	v_fma_f32 v1, v0, -2.0, 1.0
.LBB58_31:                              ;   in Loop: Header=BB58_29 Depth=1
	s_andn2_saveexec_b64 s[6:7], s[6:7]
; %bb.32:                               ;   in Loop: Header=BB58_29 Depth=1
	v_mul_f32_e32 v0, v59, v59
	v_fmamk_f32 v1, v0, 0xbbbac73d, v34
	v_fmaak_f32 v1, v0, v1, 0xbd5c1c4e
	v_fmaak_f32 v1, v0, v1, 0x3e088382
	;; [unrolled: 1-line block ×3, first 2 shown]
	v_mul_f32_e64 v1, |v59|, v1
	v_fma_f32 v1, v0, v1, |v59|
; %bb.33:                               ;   in Loop: Header=BB58_29 Depth=1
	s_or_b64 exec, exec, s[6:7]
	v_and_b32_e32 v0, 0x60, v17
	v_add_u32_e32 v60, 32, v0
	v_xor_b32_e32 v61, 16, v17
	v_bfi_b32 v1, s33, v1, v59
	v_cmp_lt_i32_e32 vcc, v61, v60
	s_waitcnt vmcnt(0)
	v_fma_mix_f32 v66, s10, v1, v65 op_sel_hi:[0,0,1]
	v_add_f32_e32 v1, 0x40051340, v66
	v_cndmask_b32_e32 v0, v17, v61, vcc
	v_max_f32_e32 v2, v55, v55
	v_lshlrev_b32_e32 v0, 2, v0
	v_max_f32_e32 v1, v2, v1
	ds_bpermute_b32 v3, v0, v1
	v_xor_b32_e32 v63, 8, v17
	v_cmp_lt_i32_e32 vcc, v63, v60
	v_xor_b32_e32 v64, 4, v17
	v_xor_b32_e32 v62, 2, v17
	v_cndmask_b32_e32 v2, v17, v63, vcc
	s_waitcnt lgkmcnt(0)
	v_max_f32_e32 v3, v3, v3
	v_lshlrev_b32_e32 v2, 2, v2
	v_max_f32_e32 v3, v1, v3
	ds_bpermute_b32 v59, v2, v3
	v_cmp_lt_i32_e32 vcc, v64, v60
	v_cmp_nlt_f32_e64 s[6:7], |v58|, s21
                                        ; implicit-def: $vgpr70
	s_waitcnt lgkmcnt(0)
	v_max_f32_e32 v59, v59, v59
	v_cndmask_b32_e32 v1, v17, v64, vcc
	v_lshlrev_b32_e32 v1, 2, v1
	v_max_f32_e32 v3, v3, v59
	ds_bpermute_b32 v59, v1, v3
	v_cmp_lt_i32_e32 vcc, v62, v60
	s_waitcnt lgkmcnt(0)
	v_max_f32_e32 v59, v59, v59
	v_cndmask_b32_e32 v67, v17, v62, vcc
	v_lshlrev_b32_e32 v67, 2, v67
	v_max_f32_e32 v68, v3, v59
	ds_bpermute_b32 v69, v67, v68
	v_xor_b32_e32 v59, 1, v17
	v_cmp_lt_i32_e32 vcc, v59, v60
	s_waitcnt lgkmcnt(0)
	v_max_f32_e32 v69, v69, v69
	v_cndmask_b32_e32 v3, v17, v59, vcc
	v_lshlrev_b32_e32 v3, 2, v3
	v_max_f32_e32 v68, v68, v69
	ds_bpermute_b32 v69, v3, v68
	s_and_saveexec_b64 s[36:37], s[6:7]
	s_xor_b64 s[6:7], exec, s[36:37]
	s_cbranch_execz .LBB58_35
; %bb.34:                               ;   in Loop: Header=BB58_29 Depth=1
	v_add_f32_e64 v70, |v58|, |v58|
	v_mul_f32_e32 v71, 0x3fb8aa3b, v70
	v_rndne_f32_e32 v72, v71
	v_sub_f32_e32 v73, v71, v72
	v_fma_f32 v71, v70, s28, -v71
	v_fmac_f32_e32 v71, 0x32a5705f, v70
	v_add_f32_e32 v71, v73, v71
	v_cvt_i32_f32_e32 v72, v72
	v_exp_f32_e32 v71, v71
	v_cmp_ngt_f32_e32 vcc, s29, v70
	v_ldexp_f32 v71, v71, v72
	s_nop 0
	v_cndmask_b32_e32 v71, 0, v71, vcc
	v_cmp_nlt_f32_e32 vcc, s31, v70
	s_nop 1
	v_cndmask_b32_e32 v70, v35, v71, vcc
	v_add_f32_e32 v70, 1.0, v70
	v_rcp_f32_e32 v70, v70
	s_nop 0
	v_fma_f32 v70, v70, -2.0, 1.0
.LBB58_35:                              ;   in Loop: Header=BB58_29 Depth=1
	s_andn2_saveexec_b64 s[6:7], s[6:7]
; %bb.36:                               ;   in Loop: Header=BB58_29 Depth=1
	v_mul_f32_e32 v70, v58, v58
	v_fmamk_f32 v71, v70, 0xbbbac73d, v34
	v_fmaak_f32 v71, v70, v71, 0xbd5c1c4e
	v_fmaak_f32 v71, v70, v71, 0x3e088382
	;; [unrolled: 1-line block ×3, first 2 shown]
	v_mul_f32_e64 v71, |v58|, v71
	v_fma_f32 v70, v70, v71, |v58|
; %bb.37:                               ;   in Loop: Header=BB58_29 Depth=1
	s_or_b64 exec, exec, s[6:7]
	v_cvt_f32_f16_e32 v65, v65
	v_bfi_b32 v58, s33, v70, v58
	v_max_f32_e32 v71, v54, v54
	v_cmp_nlt_f32_e64 s[6:7], |v57|, s21
	v_fma_f32 v58, s10, v58, v65
	v_add_f32_e32 v70, 0x40051340, v58
	v_max_f32_e32 v70, v71, v70
	ds_bpermute_b32 v71, v0, v70
                                        ; implicit-def: $vgpr72
	s_waitcnt lgkmcnt(0)
	v_max_f32_e32 v71, v71, v71
	v_max_f32_e32 v70, v70, v71
	ds_bpermute_b32 v71, v2, v70
	s_waitcnt lgkmcnt(0)
	v_max_f32_e32 v71, v71, v71
	v_max_f32_e32 v70, v70, v71
	ds_bpermute_b32 v71, v1, v70
	;; [unrolled: 4-line block ×4, first 2 shown]
	s_and_saveexec_b64 s[36:37], s[6:7]
	s_xor_b64 s[6:7], exec, s[36:37]
	s_cbranch_execz .LBB58_39
; %bb.38:                               ;   in Loop: Header=BB58_29 Depth=1
	v_add_f32_e64 v72, |v57|, |v57|
	v_mul_f32_e32 v73, 0x3fb8aa3b, v72
	v_rndne_f32_e32 v74, v73
	v_sub_f32_e32 v75, v73, v74
	v_fma_f32 v73, v72, s28, -v73
	v_fmac_f32_e32 v73, 0x32a5705f, v72
	v_add_f32_e32 v73, v75, v73
	v_cvt_i32_f32_e32 v74, v74
	v_exp_f32_e32 v73, v73
	v_cmp_ngt_f32_e32 vcc, s29, v72
	v_ldexp_f32 v73, v73, v74
	s_nop 0
	v_cndmask_b32_e32 v73, 0, v73, vcc
	v_cmp_nlt_f32_e32 vcc, s31, v72
	s_nop 1
	v_cndmask_b32_e32 v72, v35, v73, vcc
	v_add_f32_e32 v72, 1.0, v72
	v_rcp_f32_e32 v72, v72
	s_nop 0
	v_fma_f32 v72, v72, -2.0, 1.0
.LBB58_39:                              ;   in Loop: Header=BB58_29 Depth=1
	s_andn2_saveexec_b64 s[6:7], s[6:7]
; %bb.40:                               ;   in Loop: Header=BB58_29 Depth=1
	v_mul_f32_e32 v72, v57, v57
	v_fmamk_f32 v73, v72, 0xbbbac73d, v34
	v_fmaak_f32 v73, v72, v73, 0xbd5c1c4e
	v_fmaak_f32 v73, v72, v73, 0x3e088382
	;; [unrolled: 1-line block ×3, first 2 shown]
	v_mul_f32_e64 v73, |v57|, v73
	v_fma_f32 v72, v72, v73, |v57|
; %bb.41:                               ;   in Loop: Header=BB58_29 Depth=1
	s_or_b64 exec, exec, s[6:7]
	v_bfi_b32 v57, s33, v72, v57
	v_fma_f32 v57, s10, v57, v65
	v_add_f32_e32 v72, 0x40051340, v57
	v_max_f32_e32 v73, v53, v53
	v_max_f32_e32 v72, v73, v72
	ds_bpermute_b32 v73, v0, v72
	v_cmp_nlt_f32_e64 s[6:7], |v56|, s21
                                        ; implicit-def: $vgpr74
	s_waitcnt lgkmcnt(0)
	v_max_f32_e32 v73, v73, v73
	v_max_f32_e32 v72, v72, v73
	ds_bpermute_b32 v73, v2, v72
	s_waitcnt lgkmcnt(0)
	v_max_f32_e32 v73, v73, v73
	v_max_f32_e32 v72, v72, v73
	ds_bpermute_b32 v73, v1, v72
	;; [unrolled: 4-line block ×4, first 2 shown]
	s_and_saveexec_b64 s[36:37], s[6:7]
	s_xor_b64 s[6:7], exec, s[36:37]
	s_cbranch_execz .LBB58_43
; %bb.42:                               ;   in Loop: Header=BB58_29 Depth=1
	v_add_f32_e64 v74, |v56|, |v56|
	v_mul_f32_e32 v75, 0x3fb8aa3b, v74
	v_rndne_f32_e32 v76, v75
	v_sub_f32_e32 v77, v75, v76
	v_fma_f32 v75, v74, s28, -v75
	v_fmac_f32_e32 v75, 0x32a5705f, v74
	v_add_f32_e32 v75, v77, v75
	v_cvt_i32_f32_e32 v76, v76
	v_exp_f32_e32 v75, v75
	v_cmp_ngt_f32_e32 vcc, s29, v74
	v_ldexp_f32 v75, v75, v76
	s_nop 0
	v_cndmask_b32_e32 v75, 0, v75, vcc
	v_cmp_nlt_f32_e32 vcc, s31, v74
	s_nop 1
	v_cndmask_b32_e32 v74, v35, v75, vcc
	v_add_f32_e32 v74, 1.0, v74
	v_rcp_f32_e32 v74, v74
	s_nop 0
	v_fma_f32 v74, v74, -2.0, 1.0
.LBB58_43:                              ;   in Loop: Header=BB58_29 Depth=1
	s_andn2_saveexec_b64 s[6:7], s[6:7]
; %bb.44:                               ;   in Loop: Header=BB58_29 Depth=1
	v_mul_f32_e32 v74, v56, v56
	v_fmamk_f32 v75, v74, 0xbbbac73d, v34
	v_fmaak_f32 v75, v74, v75, 0xbd5c1c4e
	v_fmaak_f32 v75, v74, v75, 0x3e088382
	;; [unrolled: 1-line block ×3, first 2 shown]
	v_mul_f32_e64 v75, |v56|, v75
	v_fma_f32 v74, v74, v75, |v56|
; %bb.45:                               ;   in Loop: Header=BB58_29 Depth=1
	s_or_b64 exec, exec, s[6:7]
	v_bfi_b32 v56, s33, v74, v56
	v_fmac_f32_e32 v65, s10, v56
	v_add_f32_e32 v56, 0x40051340, v65
	v_max_f32_e32 v74, v52, v52
	v_max_f32_e32 v56, v74, v56
	ds_bpermute_b32 v0, v0, v56
	v_max_f32_e32 v71, v71, v71
	v_max_f32_e32 v69, v69, v69
	;; [unrolled: 1-line block ×3, first 2 shown]
	s_mul_hi_i32 s7, s2, s11
	s_waitcnt lgkmcnt(0)
	v_max_f32_e32 v0, v0, v0
	v_max_f32_e32 v0, v56, v0
	ds_bpermute_b32 v2, v2, v0
	v_max_f32_e32 v56, v70, v70
	s_mul_i32 s6, s2, s11
	s_lshl_b64 s[6:7], s[6:7], 2
	s_add_u32 s6, s8, s6
	s_waitcnt lgkmcnt(0)
	v_max_f32_e32 v2, v2, v2
	v_max_f32_e32 v70, v0, v2
	ds_bpermute_b32 v74, v1, v70
	v_max_f32_e32 v1, v56, v71
	v_max_f32_e32 v0, v68, v69
	v_sub_f32_e32 v55, v55, v0
	v_mul_f32_e32 v68, 0x3fb8aa3b, v55
	s_waitcnt lgkmcnt(0)
	v_max_f32_e32 v56, v74, v74
	v_max_f32_e32 v56, v70, v56
	ds_bpermute_b32 v67, v67, v56
	v_fma_f32 v69, v55, s28, -v68
	v_rndne_f32_e32 v70, v68
	v_fmac_f32_e32 v69, 0x32a5705f, v55
	v_sub_f32_e32 v66, v66, v0
	s_waitcnt lgkmcnt(0)
	v_max_f32_e32 v67, v67, v67
	v_max_f32_e32 v56, v56, v67
	ds_bpermute_b32 v3, v3, v56
	v_sub_f32_e32 v67, v68, v70
	v_add_f32_e32 v67, v67, v69
	v_cvt_i32_f32_e32 v68, v70
	v_exp_f32_e32 v67, v67
	s_waitcnt lgkmcnt(0)
	v_max_f32_e32 v3, v3, v3
	v_max_f32_e32 v3, v56, v3
	v_cmp_ngt_f32_e32 vcc, s29, v55
	v_ldexp_f32 v56, v67, v68
	v_mul_f32_e32 v67, 0x3fb8aa3b, v66
	v_fma_f32 v68, v66, s28, -v67
	v_rndne_f32_e32 v69, v67
	v_fmac_f32_e32 v68, 0x32a5705f, v66
	v_sub_f32_e32 v67, v67, v69
	v_add_f32_e32 v67, v67, v68
	v_exp_f32_e32 v67, v67
	v_cvt_i32_f32_e32 v68, v69
	v_cndmask_b32_e32 v56, 0, v56, vcc
	v_cmp_nlt_f32_e32 vcc, s31, v55
	v_sub_f32_e32 v54, v54, v1
	v_ldexp_f32 v55, v67, v68
	v_cndmask_b32_e32 v74, v35, v56, vcc
	v_cmp_ngt_f32_e32 vcc, s29, v66
	v_cvt_f16_f32_e32 v56, v74
	v_sub_f32_e32 v58, v58, v1
	v_cndmask_b32_e32 v55, 0, v55, vcc
	v_cmp_nlt_f32_e32 vcc, s31, v66
	v_mul_u32_u24_e32 v56, 0x10001, v56
	v_pk_mul_f16 v80, v50, v56
	v_cndmask_b32_e32 v76, v35, v55, vcc
	v_mul_f32_e32 v55, 0x3fb8aa3b, v54
	v_fma_f32 v66, v54, s28, -v55
	v_rndne_f32_e32 v67, v55
	v_fmac_f32_e32 v66, 0x32a5705f, v54
	v_sub_f32_e32 v55, v55, v67
	v_add_f32_e32 v55, v55, v66
	v_exp_f32_e32 v55, v55
	v_cvt_i32_f32_e32 v66, v67
	v_mul_f32_e32 v50, 0x3fb8aa3b, v58
	v_pk_mul_f16 v78, v51, v56
	v_pk_mul_f16 v79, v49, v56
	v_ldexp_f32 v49, v55, v66
	v_fma_f32 v51, v58, s28, -v50
	v_rndne_f32_e32 v55, v50
	v_fmac_f32_e32 v51, 0x32a5705f, v58
	v_sub_f32_e32 v50, v50, v55
	v_add_f32_e32 v50, v50, v51
	v_exp_f32_e32 v50, v50
	v_cvt_i32_f32_e32 v51, v55
	v_cmp_ngt_f32_e32 vcc, s29, v54
	s_addc_u32 s7, s9, s7
	v_max_f32_e32 v73, v73, v73
	v_cndmask_b32_e32 v49, 0, v49, vcc
	v_cmp_nlt_f32_e32 vcc, s31, v54
	v_max_f32_e32 v72, v72, v72
	v_lshl_add_u64 v[54:55], s[6:7], 0, v[22:23]
	v_cndmask_b32_e32 v75, v35, v49, vcc
	v_ldexp_f32 v49, v50, v51
	v_lshl_add_u64 v[50:51], s[6:7], 0, v[20:21]
	v_lshl_add_u64 v[50:51], v[50:51], 0, v[10:11]
	v_max_f32_e32 v2, v72, v73
	s_barrier
	v_lshl_add_u64 v[54:55], v[54:55], 0, v[10:11]
	global_load_dwordx4 v[66:69], v[50:51], off
	global_load_dwordx4 v[70:73], v[54:55], off
	v_cmp_ngt_f32_e32 vcc, s29, v58
	v_cvt_f16_f32_e32 v81, v75
	s_or_b32 s6, s2, 16
	v_cndmask_b32_e32 v49, 0, v49, vcc
	v_cmp_nlt_f32_e32 vcc, s31, v58
	v_mul_u32_u24_e32 v58, 0x10001, v81
	v_pk_mul_f16 v81, v48, v58
	v_cndmask_b32_e32 v77, v35, v49, vcc
	v_sub_f32_e32 v49, v53, v2
	v_mul_f32_e32 v50, 0x3fb8aa3b, v49
	v_fma_f32 v51, v49, s28, -v50
	v_rndne_f32_e32 v53, v50
	v_fmac_f32_e32 v51, 0x32a5705f, v49
	v_sub_f32_e32 v50, v50, v53
	v_add_f32_e32 v50, v50, v51
	v_exp_f32_e32 v50, v50
	v_cvt_i32_f32_e32 v51, v53
	v_cmp_ngt_f32_e32 vcc, s29, v49
	v_pk_fma_f32 v[8:9], v[8:9], v[74:75], v[76:77]
	v_pk_mul_f16 v45, v45, v58
	v_ldexp_f32 v48, v50, v51
	v_sub_f32_e32 v50, v57, v2
	v_mul_f32_e32 v51, 0x3fb8aa3b, v50
	v_fma_f32 v53, v50, s28, -v51
	v_rndne_f32_e32 v54, v51
	v_fmac_f32_e32 v53, 0x32a5705f, v50
	v_sub_f32_e32 v51, v51, v54
	v_add_f32_e32 v51, v51, v53
	v_exp_f32_e32 v51, v51
	v_cvt_i32_f32_e32 v53, v54
	v_cndmask_b32_e32 v48, 0, v48, vcc
	v_cmp_nlt_f32_e32 vcc, s31, v49
	v_pk_mul_f16 v46, v46, v58
	v_ldexp_f32 v49, v51, v53
	v_cndmask_b32_e32 v48, v35, v48, vcc
	v_cvt_f16_f32_e32 v51, v48
	v_cmp_ngt_f32_e32 vcc, s29, v50
	s_mul_hi_i32 s7, s6, s11
	s_mul_i32 s6, s6, s11
	v_cndmask_b32_e32 v49, 0, v49, vcc
	v_cmp_nlt_f32_e32 vcc, s31, v50
	v_mul_u32_u24_e32 v57, 0x10001, v51
	v_pk_mul_f16 v43, v43, v57
	v_cndmask_b32_e32 v50, v35, v49, vcc
	v_sub_f32_e32 v49, v52, v3
	v_mul_f32_e32 v51, 0x3fb8aa3b, v49
	v_fma_f32 v52, v49, s28, -v51
	v_rndne_f32_e32 v53, v51
	v_fmac_f32_e32 v52, 0x32a5705f, v49
	v_sub_f32_e32 v51, v51, v53
	v_add_f32_e32 v51, v51, v52
	v_exp_f32_e32 v51, v51
	v_cvt_i32_f32_e32 v52, v53
	v_cmp_ngt_f32_e32 vcc, s29, v49
	v_pk_mul_f16 v41, v41, v57
	v_pk_mul_f16 v42, v42, v57
	v_ldexp_f32 v51, v51, v52
	v_sub_f32_e32 v52, v65, v3
	v_mul_f32_e32 v53, 0x3fb8aa3b, v52
	v_fma_f32 v54, v52, s28, -v53
	v_rndne_f32_e32 v55, v53
	v_fmac_f32_e32 v54, 0x32a5705f, v52
	v_sub_f32_e32 v53, v53, v55
	v_add_f32_e32 v53, v53, v54
	v_exp_f32_e32 v53, v53
	v_cvt_i32_f32_e32 v54, v55
	v_cndmask_b32_e32 v51, 0, v51, vcc
	v_cmp_nlt_f32_e32 vcc, s31, v49
	s_lshl_b64 s[6:7], s[6:7], 2
	s_add_u32 s6, s8, s6
	v_cndmask_b32_e32 v49, v35, v51, vcc
	v_ldexp_f32 v51, v53, v54
	v_cvt_f16_f32_e32 v53, v49
	v_cmp_ngt_f32_e32 vcc, s29, v52
	s_addc_u32 s7, s9, s7
	s_nop 0
	v_cndmask_b32_e32 v51, 0, v51, vcc
	v_cmp_nlt_f32_e32 vcc, s31, v52
	s_nop 1
	v_cndmask_b32_e32 v51, v35, v51, vcc
	v_pk_fma_f32 v[6:7], v[6:7], v[48:49], v[50:51]
	v_mul_u32_u24_e32 v48, 0x10001, v53
	v_pk_mul_f16 v65, v38, v48
	v_pk_mul_f16 v82, v36, v48
	;; [unrolled: 1-line block ×3, first 2 shown]
	v_add_u32_e32 v38, v31, v26
	v_cvt_pk_f16_f32 v37, v50, v51
	v_cvt_pk_f16_f32 v36, v76, v77
	v_pk_mul_f16 v39, v39, v48
	ds_write_b64 v38, v[36:37]
	s_waitcnt vmcnt(1)
	ds_write_b128 v32, v[66:69]
	s_waitcnt vmcnt(0)
	ds_write_b128 v33, v[70:73]
	s_waitcnt lgkmcnt(0)
	s_barrier
	v_add_u32_e32 v38, 0x4000, v26
	ds_read_b128 v[48:51], v31
	ds_read2_b64 v[52:55], v38 offset1:32
	ds_read_b128 v[66:69], v31 offset:16
	ds_read_b128 v[70:73], v31 offset:32
	;; [unrolled: 1-line block ×3, first 2 shown]
	s_waitcnt lgkmcnt(4)
	v_mul_u32_u24_sdwa v36, v48, s34 dst_sel:DWORD dst_unused:UNUSED_PAD src0_sel:WORD_0 src1_sel:DWORD
	v_mul_u32_u24_sdwa v37, v48, s34 dst_sel:DWORD dst_unused:UNUSED_PAD src0_sel:WORD_1 src1_sel:DWORD
	s_waitcnt lgkmcnt(3)
	v_pk_mul_f16 v84, v52, v36
	v_mul_u32_u24_sdwa v48, v49, s34 dst_sel:DWORD dst_unused:UNUSED_PAD src0_sel:WORD_0 src1_sel:DWORD
	v_pk_fma_f16 v47, v47, v56, v84
	v_pk_mul_f16 v56, v52, v37
	v_mul_u32_u24_sdwa v49, v49, s34 dst_sel:DWORD dst_unused:UNUSED_PAD src0_sel:WORD_1 src1_sel:DWORD
	v_pk_fma_f16 v44, v44, v58, v56
	v_pk_mul_f16 v56, v52, v48
	v_pk_fma_f16 v39, v52, v49, v39
	v_pk_fma_f16 v56, v40, v57, v56
	;; [unrolled: 1-line block ×9, first 2 shown]
	ds_read2_b64 v[40:43], v38 offset0:64 offset1:96
	v_pk_fma_f16 v53, v53, v49, v65
	v_pk_fma_f16 v65, v54, v36, v79
	;; [unrolled: 1-line block ×5, first 2 shown]
	v_mul_u32_u24_sdwa v49, v50, s34 dst_sel:DWORD dst_unused:UNUSED_PAD src0_sel:WORD_0 src1_sel:DWORD
	v_mul_u32_u24_sdwa v50, v50, s34 dst_sel:DWORD dst_unused:UNUSED_PAD src0_sel:WORD_1 src1_sel:DWORD
	v_mul_u32_u24_sdwa v55, v51, s34 dst_sel:DWORD dst_unused:UNUSED_PAD src0_sel:WORD_0 src1_sel:DWORD
	v_mul_u32_u24_sdwa v51, v51, s34 dst_sel:DWORD dst_unused:UNUSED_PAD src0_sel:WORD_1 src1_sel:DWORD
	s_waitcnt lgkmcnt(0)
	v_pk_fma_f16 v47, v40, v49, v47
	v_pk_fma_f16 v44, v40, v50, v44
	;; [unrolled: 1-line block ×16, first 2 shown]
	ds_read2_b64 v[40:43], v38 offset0:128 offset1:160
	v_mul_u32_u24_sdwa v49, v66, s34 dst_sel:DWORD dst_unused:UNUSED_PAD src0_sel:WORD_0 src1_sel:DWORD
	v_mul_u32_u24_sdwa v50, v66, s34 dst_sel:DWORD dst_unused:UNUSED_PAD src0_sel:WORD_1 src1_sel:DWORD
	v_mul_u32_u24_sdwa v51, v67, s34 dst_sel:DWORD dst_unused:UNUSED_PAD src0_sel:WORD_0 src1_sel:DWORD
	v_mul_u32_u24_sdwa v55, v67, s34 dst_sel:DWORD dst_unused:UNUSED_PAD src0_sel:WORD_1 src1_sel:DWORD
	s_waitcnt lgkmcnt(0)
	v_pk_fma_f16 v47, v40, v49, v47
	v_pk_fma_f16 v44, v40, v50, v44
	;; [unrolled: 1-line block ×16, first 2 shown]
	ds_read2_b64 v[40:43], v38 offset0:192 offset1:224
	v_mul_u32_u24_sdwa v55, v69, s34 dst_sel:DWORD dst_unused:UNUSED_PAD src0_sel:WORD_1 src1_sel:DWORD
	v_mul_u32_u24_sdwa v49, v68, s34 dst_sel:DWORD dst_unused:UNUSED_PAD src0_sel:WORD_0 src1_sel:DWORD
	v_mul_u32_u24_sdwa v50, v68, s34 dst_sel:DWORD dst_unused:UNUSED_PAD src0_sel:WORD_1 src1_sel:DWORD
	v_mul_u32_u24_sdwa v51, v69, s34 dst_sel:DWORD dst_unused:UNUSED_PAD src0_sel:WORD_0 src1_sel:DWORD
	s_waitcnt lgkmcnt(0)
	v_pk_fma_f16 v67, v40, v55, v39
	v_add_u32_e32 v39, 0x4800, v26
	v_pk_fma_f16 v47, v40, v49, v47
	v_pk_fma_f16 v44, v40, v50, v44
	;; [unrolled: 1-line block ×15, first 2 shown]
	ds_read2_b64 v[40:43], v39 offset1:32
	v_mul_u32_u24_sdwa v49, v70, s34 dst_sel:DWORD dst_unused:UNUSED_PAD src0_sel:WORD_0 src1_sel:DWORD
	v_mul_u32_u24_sdwa v50, v70, s34 dst_sel:DWORD dst_unused:UNUSED_PAD src0_sel:WORD_1 src1_sel:DWORD
	v_mul_u32_u24_sdwa v51, v71, s34 dst_sel:DWORD dst_unused:UNUSED_PAD src0_sel:WORD_0 src1_sel:DWORD
	v_mul_u32_u24_sdwa v55, v71, s34 dst_sel:DWORD dst_unused:UNUSED_PAD src0_sel:WORD_1 src1_sel:DWORD
	s_waitcnt lgkmcnt(0)
	v_pk_fma_f16 v47, v40, v49, v47
	v_pk_fma_f16 v44, v40, v50, v44
	v_pk_fma_f16 v56, v40, v51, v56
	v_pk_fma_f16 v67, v40, v55, v67
	v_pk_fma_f16 v52, v41, v49, v52
	v_pk_fma_f16 v57, v41, v50, v57
	v_pk_fma_f16 v58, v41, v51, v58
	v_pk_fma_f16 v53, v41, v55, v53
	v_pk_fma_f16 v65, v42, v49, v65
	v_pk_fma_f16 v45, v42, v50, v45
	v_pk_fma_f16 v66, v42, v51, v66
	v_pk_fma_f16 v54, v42, v55, v54
	v_pk_fma_f16 v36, v43, v49, v36
	v_pk_fma_f16 v37, v43, v50, v37
	v_pk_fma_f16 v46, v43, v51, v46
	v_pk_fma_f16 v48, v43, v55, v48
	ds_read2_b64 v[40:43], v39 offset0:64 offset1:96
	v_mul_u32_u24_sdwa v49, v72, s34 dst_sel:DWORD dst_unused:UNUSED_PAD src0_sel:WORD_0 src1_sel:DWORD
	v_mul_u32_u24_sdwa v50, v72, s34 dst_sel:DWORD dst_unused:UNUSED_PAD src0_sel:WORD_1 src1_sel:DWORD
	v_mul_u32_u24_sdwa v51, v73, s34 dst_sel:DWORD dst_unused:UNUSED_PAD src0_sel:WORD_0 src1_sel:DWORD
	v_mul_u32_u24_sdwa v55, v73, s34 dst_sel:DWORD dst_unused:UNUSED_PAD src0_sel:WORD_1 src1_sel:DWORD
	s_waitcnt lgkmcnt(0)
	v_pk_fma_f16 v47, v40, v49, v47
	v_pk_fma_f16 v44, v40, v50, v44
	v_pk_fma_f16 v56, v40, v51, v56
	v_pk_fma_f16 v67, v40, v55, v67
	v_pk_fma_f16 v52, v41, v49, v52
	v_pk_fma_f16 v57, v41, v50, v57
	v_pk_fma_f16 v58, v41, v51, v58
	v_pk_fma_f16 v53, v41, v55, v53
	v_pk_fma_f16 v65, v42, v49, v65
	v_pk_fma_f16 v45, v42, v50, v45
	v_pk_fma_f16 v66, v42, v51, v66
	v_pk_fma_f16 v54, v42, v55, v54
	v_pk_fma_f16 v36, v43, v49, v36
	v_pk_fma_f16 v37, v43, v50, v37
	v_pk_fma_f16 v46, v43, v51, v46
	v_pk_fma_f16 v48, v43, v55, v48
	ds_read2_b64 v[40:43], v39 offset0:128 offset1:160
	;; [unrolled: 22-line block ×3, first 2 shown]
	v_mul_u32_u24_sdwa v49, v76, s34 dst_sel:DWORD dst_unused:UNUSED_PAD src0_sel:WORD_0 src1_sel:DWORD
	v_mul_u32_u24_sdwa v50, v76, s34 dst_sel:DWORD dst_unused:UNUSED_PAD src0_sel:WORD_1 src1_sel:DWORD
	v_mul_u32_u24_sdwa v51, v77, s34 dst_sel:DWORD dst_unused:UNUSED_PAD src0_sel:WORD_0 src1_sel:DWORD
	v_mul_u32_u24_sdwa v55, v77, s34 dst_sel:DWORD dst_unused:UNUSED_PAD src0_sel:WORD_1 src1_sel:DWORD
	s_waitcnt lgkmcnt(0)
	v_pk_fma_f16 v68, v40, v49, v47
	v_pk_fma_f16 v69, v40, v50, v44
	;; [unrolled: 1-line block ×4, first 2 shown]
	ds_read_b128 v[44:47], v31 offset:64
	v_pk_fma_f16 v71, v43, v49, v36
	v_add_u32_e32 v36, 0x5000, v26
	v_pk_fma_f16 v56, v40, v51, v56
	v_pk_fma_f16 v67, v40, v55, v67
	;; [unrolled: 1-line block ×11, first 2 shown]
	ds_read2_b64 v[40:43], v36 offset1:32
	ds_read_b128 v[48:51], v31 offset:80
	s_waitcnt lgkmcnt(2)
	v_mul_u32_u24_sdwa v73, v44, s34 dst_sel:DWORD dst_unused:UNUSED_PAD src0_sel:WORD_0 src1_sel:DWORD
	v_mul_u32_u24_sdwa v44, v44, s34 dst_sel:DWORD dst_unused:UNUSED_PAD src0_sel:WORD_1 src1_sel:DWORD
	v_mul_u32_u24_sdwa v74, v45, s34 dst_sel:DWORD dst_unused:UNUSED_PAD src0_sel:WORD_0 src1_sel:DWORD
	v_mul_u32_u24_sdwa v45, v45, s34 dst_sel:DWORD dst_unused:UNUSED_PAD src0_sel:WORD_1 src1_sel:DWORD
	s_waitcnt lgkmcnt(1)
	v_pk_fma_f16 v68, v40, v73, v68
	v_pk_fma_f16 v69, v40, v44, v69
	v_pk_fma_f16 v56, v40, v74, v56
	v_pk_fma_f16 v67, v40, v45, v67
	v_pk_fma_f16 v52, v41, v73, v52
	v_pk_fma_f16 v57, v41, v44, v57
	v_pk_fma_f16 v58, v41, v74, v58
	v_pk_fma_f16 v53, v41, v45, v53
	v_pk_fma_f16 v65, v42, v73, v65
	v_pk_fma_f16 v70, v42, v44, v70
	v_pk_fma_f16 v66, v42, v74, v66
	v_pk_fma_f16 v54, v42, v45, v54
	v_pk_fma_f16 v71, v43, v73, v71
	v_pk_fma_f16 v37, v43, v44, v37
	v_pk_fma_f16 v44, v43, v74, v72
	v_pk_fma_f16 v45, v43, v45, v55
	ds_read2_b64 v[40:43], v36 offset0:64 offset1:96
	v_mul_u32_u24_sdwa v55, v46, s34 dst_sel:DWORD dst_unused:UNUSED_PAD src0_sel:WORD_0 src1_sel:DWORD
	v_mul_u32_u24_sdwa v46, v46, s34 dst_sel:DWORD dst_unused:UNUSED_PAD src0_sel:WORD_1 src1_sel:DWORD
	v_mul_u32_u24_sdwa v72, v47, s34 dst_sel:DWORD dst_unused:UNUSED_PAD src0_sel:WORD_0 src1_sel:DWORD
	v_mul_u32_u24_sdwa v47, v47, s34 dst_sel:DWORD dst_unused:UNUSED_PAD src0_sel:WORD_1 src1_sel:DWORD
	s_waitcnt lgkmcnt(0)
	v_pk_fma_f16 v68, v40, v55, v68
	v_pk_fma_f16 v69, v40, v46, v69
	v_pk_fma_f16 v56, v40, v72, v56
	v_pk_fma_f16 v67, v40, v47, v67
	v_pk_fma_f16 v52, v41, v55, v52
	v_pk_fma_f16 v57, v41, v46, v57
	v_pk_fma_f16 v58, v41, v72, v58
	v_pk_fma_f16 v53, v41, v47, v53
	v_pk_fma_f16 v65, v42, v55, v65
	v_pk_fma_f16 v70, v42, v46, v70
	v_pk_fma_f16 v66, v42, v72, v66
	v_pk_fma_f16 v54, v42, v47, v54
	v_pk_fma_f16 v55, v43, v55, v71
	v_pk_fma_f16 v37, v43, v46, v37
	v_pk_fma_f16 v44, v43, v72, v44
	v_pk_fma_f16 v45, v43, v47, v45
	ds_read2_b64 v[40:43], v36 offset0:128 offset1:160
	;; [unrolled: 22-line block ×3, first 2 shown]
	v_mul_u32_u24_sdwa v47, v50, s34 dst_sel:DWORD dst_unused:UNUSED_PAD src0_sel:WORD_1 src1_sel:DWORD
	v_mul_u32_u24_sdwa v49, v51, s34 dst_sel:DWORD dst_unused:UNUSED_PAD src0_sel:WORD_0 src1_sel:DWORD
	v_mul_u32_u24_sdwa v45, v50, s34 dst_sel:DWORD dst_unused:UNUSED_PAD src0_sel:WORD_0 src1_sel:DWORD
	v_mul_u32_u24_sdwa v50, v51, s34 dst_sel:DWORD dst_unused:UNUSED_PAD src0_sel:WORD_1 src1_sel:DWORD
	s_waitcnt lgkmcnt(0)
	v_pk_fma_f16 v86, v40, v49, v56
	v_pk_fma_f16 v89, v41, v47, v57
	v_lshl_add_u64 v[56:57], s[6:7], 0, v[20:21]
	v_pk_fma_f16 v95, v43, v47, v37
	v_add_u32_e32 v37, 0x5800, v26
	v_lshl_add_u64 v[56:57], v[56:57], 0, v[10:11]
	v_lshl_add_u64 v[74:75], s[6:7], 0, v[22:23]
	v_pk_fma_f16 v84, v40, v45, v68
	v_pk_fma_f16 v85, v40, v47, v69
	;; [unrolled: 1-line block ×12, first 2 shown]
	ds_read_b128 v[44:47], v31 offset:96
	v_pk_fma_f16 v97, v43, v50, v48
	ds_read2_b64 v[40:43], v37 offset1:32
	ds_read_b128 v[48:51], v31 offset:112
	ds_read2_b64 v[52:55], v37 offset0:64 offset1:96
	ds_read2_b64 v[66:69], v37 offset0:128 offset1:160
	;; [unrolled: 1-line block ×3, first 2 shown]
	s_waitcnt lgkmcnt(0)
	s_barrier
	v_lshl_add_u64 v[82:83], v[74:75], 0, v[10:11]
	global_load_dwordx4 v[74:77], v[56:57], off
	global_load_dwordx4 v[78:81], v[82:83], off
	v_mul_u32_u24_sdwa v98, v44, s34 dst_sel:DWORD dst_unused:UNUSED_PAD src0_sel:WORD_0 src1_sel:DWORD
	v_mul_u32_u24_sdwa v44, v44, s34 dst_sel:DWORD dst_unused:UNUSED_PAD src0_sel:WORD_1 src1_sel:DWORD
	v_mul_u32_u24_sdwa v56, v45, s34 dst_sel:DWORD dst_unused:UNUSED_PAD src0_sel:WORD_0 src1_sel:DWORD
	v_mul_u32_u24_sdwa v45, v45, s34 dst_sel:DWORD dst_unused:UNUSED_PAD src0_sel:WORD_1 src1_sel:DWORD
	v_pk_fma_f16 v57, v40, v98, v84
	v_pk_fma_f16 v82, v40, v44, v85
	v_pk_fma_f16 v83, v40, v56, v86
	v_pk_fma_f16 v40, v40, v45, v87
	v_pk_fma_f16 v84, v41, v98, v88
	v_pk_fma_f16 v85, v41, v44, v89
	v_pk_fma_f16 v58, v41, v56, v58
	v_pk_fma_f16 v41, v41, v45, v90
	v_pk_fma_f16 v65, v42, v98, v65
	v_pk_fma_f16 v86, v42, v44, v91
	v_pk_fma_f16 v87, v42, v56, v92
	v_pk_fma_f16 v42, v42, v45, v93
	v_pk_fma_f16 v88, v43, v98, v94
	v_pk_fma_f16 v44, v43, v44, v95
	v_pk_fma_f16 v56, v43, v56, v96
	v_pk_fma_f16 v43, v43, v45, v97
	v_mul_u32_u24_sdwa v45, v46, s34 dst_sel:DWORD dst_unused:UNUSED_PAD src0_sel:WORD_0 src1_sel:DWORD
	v_mul_u32_u24_sdwa v46, v46, s34 dst_sel:DWORD dst_unused:UNUSED_PAD src0_sel:WORD_1 src1_sel:DWORD
	v_mul_u32_u24_sdwa v89, v47, s34 dst_sel:DWORD dst_unused:UNUSED_PAD src0_sel:WORD_0 src1_sel:DWORD
	v_mul_u32_u24_sdwa v47, v47, s34 dst_sel:DWORD dst_unused:UNUSED_PAD src0_sel:WORD_1 src1_sel:DWORD
	v_pk_fma_f16 v57, v52, v45, v57
	v_pk_fma_f16 v82, v52, v46, v82
	v_pk_fma_f16 v83, v52, v89, v83
	v_pk_fma_f16 v40, v52, v47, v40
	v_pk_fma_f16 v52, v53, v45, v84
	v_pk_fma_f16 v84, v53, v46, v85
	v_pk_fma_f16 v58, v53, v89, v58
	v_pk_fma_f16 v41, v53, v47, v41
	v_pk_fma_f16 v53, v54, v45, v65
	v_pk_fma_f16 v65, v54, v46, v86
	v_pk_fma_f16 v85, v54, v89, v87
	v_pk_fma_f16 v42, v54, v47, v42
	v_pk_fma_f16 v45, v55, v45, v88
	v_pk_fma_f16 v44, v55, v46, v44
	v_pk_fma_f16 v46, v55, v89, v56
	v_pk_fma_f16 v43, v55, v47, v43
	;; [unrolled: 20-line block ×4, first 2 shown]
	s_waitcnt vmcnt(1)
	ds_write_b128 v32, v[74:77]
	s_waitcnt vmcnt(0)
	ds_write_b128 v33, v[78:81]
	s_waitcnt lgkmcnt(0)
	s_barrier
	ds_read_b128 v[40:43], v31 offset:128
	ds_read2_b64 v[44:47], v38 offset1:32
	ds_read_b128 v[48:51], v31 offset:144
	ds_read_b128 v[52:55], v31 offset:160
	;; [unrolled: 1-line block ×3, first 2 shown]
	s_waitcnt lgkmcnt(4)
	v_mul_u32_u24_sdwa v74, v40, s34 dst_sel:DWORD dst_unused:UNUSED_PAD src0_sel:WORD_0 src1_sel:DWORD
	v_mul_u32_u24_sdwa v40, v40, s34 dst_sel:DWORD dst_unused:UNUSED_PAD src0_sel:WORD_1 src1_sel:DWORD
	v_mul_u32_u24_sdwa v75, v41, s34 dst_sel:DWORD dst_unused:UNUSED_PAD src0_sel:WORD_0 src1_sel:DWORD
	v_mul_u32_u24_sdwa v41, v41, s34 dst_sel:DWORD dst_unused:UNUSED_PAD src0_sel:WORD_1 src1_sel:DWORD
	s_waitcnt lgkmcnt(3)
	v_pk_fma_f16 v76, v44, v74, v82
	v_pk_fma_f16 v56, v44, v40, v56
	v_pk_fma_f16 v57, v44, v75, v57
	v_pk_fma_f16 v70, v44, v41, v70
	v_pk_fma_f16 v77, v45, v74, v83
	v_pk_fma_f16 v78, v45, v40, v84
	v_pk_fma_f16 v58, v45, v75, v58
	v_pk_fma_f16 v71, v45, v41, v71
	v_pk_fma_f16 v79, v46, v74, v85
	v_pk_fma_f16 v65, v46, v40, v65
	v_pk_fma_f16 v80, v46, v75, v86
	v_pk_fma_f16 v72, v46, v41, v72
	v_pk_fma_f16 v74, v47, v74, v87
	v_pk_fma_f16 v40, v47, v40, v88
	v_pk_fma_f16 v75, v47, v75, v89
	v_pk_fma_f16 v41, v47, v41, v73
	ds_read2_b64 v[44:47], v38 offset0:64 offset1:96
	v_mul_u32_u24_sdwa v73, v42, s34 dst_sel:DWORD dst_unused:UNUSED_PAD src0_sel:WORD_0 src1_sel:DWORD
	v_mul_u32_u24_sdwa v42, v42, s34 dst_sel:DWORD dst_unused:UNUSED_PAD src0_sel:WORD_1 src1_sel:DWORD
	v_mul_u32_u24_sdwa v81, v43, s34 dst_sel:DWORD dst_unused:UNUSED_PAD src0_sel:WORD_0 src1_sel:DWORD
	v_mul_u32_u24_sdwa v43, v43, s34 dst_sel:DWORD dst_unused:UNUSED_PAD src0_sel:WORD_1 src1_sel:DWORD
	s_waitcnt lgkmcnt(0)
	v_pk_fma_f16 v76, v44, v73, v76
	v_pk_fma_f16 v56, v44, v42, v56
	v_pk_fma_f16 v57, v44, v81, v57
	v_pk_fma_f16 v44, v44, v43, v70
	v_pk_fma_f16 v70, v45, v73, v77
	v_pk_fma_f16 v77, v45, v42, v78
	v_pk_fma_f16 v58, v45, v81, v58
	v_pk_fma_f16 v45, v45, v43, v71
	v_pk_fma_f16 v71, v46, v73, v79
	v_pk_fma_f16 v65, v46, v42, v65
	v_pk_fma_f16 v78, v46, v81, v80
	v_pk_fma_f16 v46, v46, v43, v72
	v_pk_fma_f16 v72, v47, v73, v74
	v_pk_fma_f16 v73, v47, v42, v40
	v_pk_fma_f16 v74, v47, v81, v75
	v_pk_fma_f16 v47, v47, v43, v41
	ds_read2_b64 v[40:43], v38 offset0:128 offset1:160
	v_mul_u32_u24_sdwa v75, v48, s34 dst_sel:DWORD dst_unused:UNUSED_PAD src0_sel:WORD_0 src1_sel:DWORD
	v_mul_u32_u24_sdwa v48, v48, s34 dst_sel:DWORD dst_unused:UNUSED_PAD src0_sel:WORD_1 src1_sel:DWORD
	v_mul_u32_u24_sdwa v79, v49, s34 dst_sel:DWORD dst_unused:UNUSED_PAD src0_sel:WORD_0 src1_sel:DWORD
	v_mul_u32_u24_sdwa v49, v49, s34 dst_sel:DWORD dst_unused:UNUSED_PAD src0_sel:WORD_1 src1_sel:DWORD
	s_waitcnt lgkmcnt(0)
	v_pk_fma_f16 v76, v40, v75, v76
	v_pk_fma_f16 v56, v40, v48, v56
	v_pk_fma_f16 v57, v40, v79, v57
	v_pk_fma_f16 v44, v40, v49, v44
	v_pk_fma_f16 v70, v41, v75, v70
	v_pk_fma_f16 v77, v41, v48, v77
	v_pk_fma_f16 v58, v41, v79, v58
	v_pk_fma_f16 v45, v41, v49, v45
	v_pk_fma_f16 v71, v42, v75, v71
	v_pk_fma_f16 v65, v42, v48, v65
	v_pk_fma_f16 v78, v42, v79, v78
	v_pk_fma_f16 v46, v42, v49, v46
	v_pk_fma_f16 v72, v43, v75, v72
	v_pk_fma_f16 v48, v43, v48, v73
	v_pk_fma_f16 v73, v43, v79, v74
	v_pk_fma_f16 v47, v43, v49, v47
	ds_read2_b64 v[40:43], v38 offset0:192 offset1:224
	v_mul_u32_u24_sdwa v38, v50, s34 dst_sel:DWORD dst_unused:UNUSED_PAD src0_sel:WORD_0 src1_sel:DWORD
	v_mul_u32_u24_sdwa v49, v50, s34 dst_sel:DWORD dst_unused:UNUSED_PAD src0_sel:WORD_1 src1_sel:DWORD
	v_mul_u32_u24_sdwa v50, v51, s34 dst_sel:DWORD dst_unused:UNUSED_PAD src0_sel:WORD_0 src1_sel:DWORD
	v_mul_u32_u24_sdwa v51, v51, s34 dst_sel:DWORD dst_unused:UNUSED_PAD src0_sel:WORD_1 src1_sel:DWORD
	s_waitcnt lgkmcnt(0)
	v_pk_fma_f16 v74, v40, v38, v76
	v_pk_fma_f16 v56, v40, v49, v56
	;; [unrolled: 1-line block ×16, first 2 shown]
	ds_read2_b64 v[40:43], v39 offset1:32
	v_mul_u32_u24_sdwa v50, v52, s34 dst_sel:DWORD dst_unused:UNUSED_PAD src0_sel:WORD_0 src1_sel:DWORD
	v_mul_u32_u24_sdwa v51, v52, s34 dst_sel:DWORD dst_unused:UNUSED_PAD src0_sel:WORD_1 src1_sel:DWORD
	v_mul_u32_u24_sdwa v52, v53, s34 dst_sel:DWORD dst_unused:UNUSED_PAD src0_sel:WORD_0 src1_sel:DWORD
	v_mul_u32_u24_sdwa v53, v53, s34 dst_sel:DWORD dst_unused:UNUSED_PAD src0_sel:WORD_1 src1_sel:DWORD
	s_waitcnt lgkmcnt(0)
	v_pk_fma_f16 v72, v40, v50, v74
	v_pk_fma_f16 v56, v40, v51, v56
	;; [unrolled: 1-line block ×16, first 2 shown]
	ds_read2_b64 v[40:43], v39 offset0:64 offset1:96
	v_mul_u32_u24_sdwa v50, v54, s34 dst_sel:DWORD dst_unused:UNUSED_PAD src0_sel:WORD_0 src1_sel:DWORD
	v_mul_u32_u24_sdwa v51, v54, s34 dst_sel:DWORD dst_unused:UNUSED_PAD src0_sel:WORD_1 src1_sel:DWORD
	v_mul_u32_u24_sdwa v52, v55, s34 dst_sel:DWORD dst_unused:UNUSED_PAD src0_sel:WORD_0 src1_sel:DWORD
	v_mul_u32_u24_sdwa v53, v55, s34 dst_sel:DWORD dst_unused:UNUSED_PAD src0_sel:WORD_1 src1_sel:DWORD
	s_waitcnt lgkmcnt(0)
	v_pk_fma_f16 v54, v40, v50, v72
	v_pk_fma_f16 v55, v40, v51, v56
	;; [unrolled: 1-line block ×16, first 2 shown]
	ds_read2_b64 v[40:43], v39 offset0:128 offset1:160
	v_mul_u32_u24_sdwa v50, v66, s34 dst_sel:DWORD dst_unused:UNUSED_PAD src0_sel:WORD_0 src1_sel:DWORD
	v_mul_u32_u24_sdwa v51, v66, s34 dst_sel:DWORD dst_unused:UNUSED_PAD src0_sel:WORD_1 src1_sel:DWORD
	v_mul_u32_u24_sdwa v52, v67, s34 dst_sel:DWORD dst_unused:UNUSED_PAD src0_sel:WORD_0 src1_sel:DWORD
	v_mul_u32_u24_sdwa v53, v67, s34 dst_sel:DWORD dst_unused:UNUSED_PAD src0_sel:WORD_1 src1_sel:DWORD
	s_waitcnt lgkmcnt(0)
	v_pk_fma_f16 v54, v40, v50, v54
	v_pk_fma_f16 v55, v40, v51, v55
	;; [unrolled: 1-line block ×13, first 2 shown]
	ds_read2_b64 v[38:41], v39 offset0:192 offset1:224
	v_pk_fma_f16 v48, v43, v51, v48
	v_pk_fma_f16 v49, v43, v52, v49
	;; [unrolled: 1-line block ×3, first 2 shown]
	v_mul_u32_u24_sdwa v43, v68, s34 dst_sel:DWORD dst_unused:UNUSED_PAD src0_sel:WORD_0 src1_sel:DWORD
	v_mul_u32_u24_sdwa v50, v68, s34 dst_sel:DWORD dst_unused:UNUSED_PAD src0_sel:WORD_1 src1_sel:DWORD
	v_mul_u32_u24_sdwa v51, v69, s34 dst_sel:DWORD dst_unused:UNUSED_PAD src0_sel:WORD_0 src1_sel:DWORD
	v_mul_u32_u24_sdwa v52, v69, s34 dst_sel:DWORD dst_unused:UNUSED_PAD src0_sel:WORD_1 src1_sel:DWORD
	s_waitcnt lgkmcnt(0)
	v_pk_fma_f16 v53, v38, v43, v54
	v_pk_fma_f16 v54, v38, v50, v55
	v_pk_fma_f16 v55, v38, v51, v56
	v_pk_fma_f16 v56, v38, v52, v44
	v_pk_fma_f16 v57, v39, v43, v57
	v_pk_fma_f16 v68, v39, v52, v45
	v_pk_fma_f16 v67, v40, v43, v67
	v_pk_fma_f16 v69, v40, v51, v70
	v_pk_fma_f16 v70, v40, v52, v42
	v_pk_fma_f16 v71, v41, v43, v46
	ds_read_b128 v[42:45], v31 offset:192
	v_pk_fma_f16 v66, v39, v50, v66
	v_pk_fma_f16 v58, v39, v51, v58
	;; [unrolled: 1-line block ×6, first 2 shown]
	ds_read2_b64 v[38:41], v36 offset1:32
	ds_read_b128 v[46:49], v31 offset:208
	s_waitcnt lgkmcnt(2)
	v_mul_u32_u24_sdwa v72, v42, s34 dst_sel:DWORD dst_unused:UNUSED_PAD src0_sel:WORD_0 src1_sel:DWORD
	v_mul_u32_u24_sdwa v42, v42, s34 dst_sel:DWORD dst_unused:UNUSED_PAD src0_sel:WORD_1 src1_sel:DWORD
	v_mul_u32_u24_sdwa v73, v43, s34 dst_sel:DWORD dst_unused:UNUSED_PAD src0_sel:WORD_0 src1_sel:DWORD
	v_mul_u32_u24_sdwa v43, v43, s34 dst_sel:DWORD dst_unused:UNUSED_PAD src0_sel:WORD_1 src1_sel:DWORD
	s_waitcnt lgkmcnt(1)
	v_pk_fma_f16 v53, v38, v72, v53
	v_pk_fma_f16 v54, v38, v42, v54
	v_pk_fma_f16 v55, v38, v73, v55
	v_pk_fma_f16 v56, v38, v43, v56
	v_pk_fma_f16 v57, v39, v72, v57
	v_pk_fma_f16 v66, v39, v42, v66
	v_pk_fma_f16 v58, v39, v73, v58
	v_pk_fma_f16 v68, v39, v43, v68
	v_pk_fma_f16 v67, v40, v72, v67
	v_pk_fma_f16 v65, v40, v42, v65
	v_pk_fma_f16 v69, v40, v73, v69
	v_pk_fma_f16 v70, v40, v43, v70
	v_pk_fma_f16 v71, v41, v72, v71
	v_pk_fma_f16 v42, v41, v42, v50
	v_pk_fma_f16 v50, v41, v73, v51
	v_pk_fma_f16 v43, v41, v43, v52
	ds_read2_b64 v[38:41], v36 offset0:64 offset1:96
	v_mul_u32_u24_sdwa v51, v44, s34 dst_sel:DWORD dst_unused:UNUSED_PAD src0_sel:WORD_0 src1_sel:DWORD
	v_mul_u32_u24_sdwa v44, v44, s34 dst_sel:DWORD dst_unused:UNUSED_PAD src0_sel:WORD_1 src1_sel:DWORD
	v_mul_u32_u24_sdwa v52, v45, s34 dst_sel:DWORD dst_unused:UNUSED_PAD src0_sel:WORD_0 src1_sel:DWORD
	v_mul_u32_u24_sdwa v45, v45, s34 dst_sel:DWORD dst_unused:UNUSED_PAD src0_sel:WORD_1 src1_sel:DWORD
	s_waitcnt lgkmcnt(0)
	v_pk_fma_f16 v53, v38, v51, v53
	v_pk_fma_f16 v54, v38, v44, v54
	v_pk_fma_f16 v55, v38, v52, v55
	v_pk_fma_f16 v56, v38, v45, v56
	v_pk_fma_f16 v57, v39, v51, v57
	v_pk_fma_f16 v66, v39, v44, v66
	v_pk_fma_f16 v58, v39, v52, v58
	v_pk_fma_f16 v68, v39, v45, v68
	v_pk_fma_f16 v67, v40, v51, v67
	v_pk_fma_f16 v65, v40, v44, v65
	v_pk_fma_f16 v69, v40, v52, v69
	v_pk_fma_f16 v70, v40, v45, v70
	v_pk_fma_f16 v51, v41, v51, v71
	v_pk_fma_f16 v42, v41, v44, v42
	v_pk_fma_f16 v44, v41, v52, v50
	v_pk_fma_f16 v43, v41, v45, v43
	ds_read2_b64 v[38:41], v36 offset0:128 offset1:160
	;; [unrolled: 22-line block ×3, first 2 shown]
	v_mul_u32_u24_sdwa v36, v48, s34 dst_sel:DWORD dst_unused:UNUSED_PAD src0_sel:WORD_0 src1_sel:DWORD
	v_mul_u32_u24_sdwa v43, v48, s34 dst_sel:DWORD dst_unused:UNUSED_PAD src0_sel:WORD_1 src1_sel:DWORD
	v_mul_u32_u24_sdwa v48, v49, s34 dst_sel:DWORD dst_unused:UNUSED_PAD src0_sel:WORD_0 src1_sel:DWORD
	v_mul_u32_u24_sdwa v49, v49, s34 dst_sel:DWORD dst_unused:UNUSED_PAD src0_sel:WORD_1 src1_sel:DWORD
	s_waitcnt lgkmcnt(0)
	v_pk_fma_f16 v50, v38, v36, v52
	v_pk_fma_f16 v51, v38, v43, v53
	;; [unrolled: 1-line block ×13, first 2 shown]
	ds_read_b128 v[42:45], v31 offset:224
	v_pk_fma_f16 v67, v40, v49, v69
	v_pk_fma_f16 v69, v41, v48, v46
	;; [unrolled: 1-line block ×3, first 2 shown]
	ds_read2_b64 v[38:41], v37 offset1:32
	ds_read_b128 v[46:49], v31 offset:240
	s_waitcnt lgkmcnt(2)
	v_mul_u32_u24_sdwa v71, v42, s34 dst_sel:DWORD dst_unused:UNUSED_PAD src0_sel:WORD_0 src1_sel:DWORD
	v_mul_u32_u24_sdwa v42, v42, s34 dst_sel:DWORD dst_unused:UNUSED_PAD src0_sel:WORD_1 src1_sel:DWORD
	v_mul_u32_u24_sdwa v72, v43, s34 dst_sel:DWORD dst_unused:UNUSED_PAD src0_sel:WORD_0 src1_sel:DWORD
	v_mul_u32_u24_sdwa v43, v43, s34 dst_sel:DWORD dst_unused:UNUSED_PAD src0_sel:WORD_1 src1_sel:DWORD
	s_waitcnt lgkmcnt(1)
	v_pk_fma_f16 v50, v38, v71, v50
	v_pk_fma_f16 v51, v38, v42, v51
	;; [unrolled: 1-line block ×16, first 2 shown]
	ds_read2_b64 v[38:41], v37 offset0:64 offset1:96
	v_mul_u32_u24_sdwa v69, v44, s34 dst_sel:DWORD dst_unused:UNUSED_PAD src0_sel:WORD_0 src1_sel:DWORD
	v_mul_u32_u24_sdwa v44, v44, s34 dst_sel:DWORD dst_unused:UNUSED_PAD src0_sel:WORD_1 src1_sel:DWORD
	v_mul_u32_u24_sdwa v70, v45, s34 dst_sel:DWORD dst_unused:UNUSED_PAD src0_sel:WORD_0 src1_sel:DWORD
	v_mul_u32_u24_sdwa v45, v45, s34 dst_sel:DWORD dst_unused:UNUSED_PAD src0_sel:WORD_1 src1_sel:DWORD
	s_waitcnt lgkmcnt(0)
	v_pk_fma_f16 v50, v38, v69, v50
	v_pk_fma_f16 v51, v38, v44, v51
	;; [unrolled: 1-line block ×16, first 2 shown]
	ds_read2_b64 v[38:41], v37 offset0:128 offset1:160
	v_mul_u32_u24_sdwa v45, v46, s34 dst_sel:DWORD dst_unused:UNUSED_PAD src0_sel:WORD_0 src1_sel:DWORD
	v_mul_u32_u24_sdwa v46, v46, s34 dst_sel:DWORD dst_unused:UNUSED_PAD src0_sel:WORD_1 src1_sel:DWORD
	v_mul_u32_u24_sdwa v68, v47, s34 dst_sel:DWORD dst_unused:UNUSED_PAD src0_sel:WORD_0 src1_sel:DWORD
	v_mul_u32_u24_sdwa v47, v47, s34 dst_sel:DWORD dst_unused:UNUSED_PAD src0_sel:WORD_1 src1_sel:DWORD
	s_waitcnt lgkmcnt(0)
	v_pk_fma_f16 v50, v38, v45, v50
	v_pk_fma_f16 v51, v38, v46, v51
	;; [unrolled: 1-line block ×6, first 2 shown]
	ds_read2_b64 v[52:55], v37 offset0:192 offset1:224
	s_waitcnt lgkmcnt(0)
	s_barrier
	s_load_dword s6, s[4:5], 0x4
	v_pk_fma_f16 v56, v39, v68, v56
	v_pk_fma_f16 v57, v39, v47, v57
	;; [unrolled: 1-line block ×4, first 2 shown]
	s_waitcnt lgkmcnt(0)
	s_lshl_b32 s6, s6, 5
	v_pk_fma_f16 v66, v40, v68, v66
	v_pk_fma_f16 v67, v40, v47, v67
	v_pk_fma_f16 v72, v41, v45, v36
	v_pk_fma_f16 v42, v41, v46, v42
	v_pk_fma_f16 v68, v41, v68, v44
	v_pk_fma_f16 v73, v41, v47, v43
	v_mul_u32_u24_sdwa v37, v48, s34 dst_sel:DWORD dst_unused:UNUSED_PAD src0_sel:WORD_0 src1_sel:DWORD
	v_mul_u32_u24_sdwa v46, v48, s34 dst_sel:DWORD dst_unused:UNUSED_PAD src0_sel:WORD_1 src1_sel:DWORD
	v_mul_u32_u24_sdwa v74, v49, s34 dst_sel:DWORD dst_unused:UNUSED_PAD src0_sel:WORD_0 src1_sel:DWORD
	v_mul_u32_u24_sdwa v75, v49, s34 dst_sel:DWORD dst_unused:UNUSED_PAD src0_sel:WORD_1 src1_sel:DWORD
	s_add_i32 s2, s6, s2
	v_pk_fma_f16 v47, v52, v37, v50
	v_pk_fma_f16 v44, v52, v46, v51
	;; [unrolled: 1-line block ×15, first 2 shown]
	s_cmp_ge_i32 s2, s24
	v_pk_fma_f16 v37, v55, v75, v73
	s_cbranch_scc1 .LBB58_7
; %bb.46:                               ;   in Loop: Header=BB58_29 Depth=1
	v_mov_b32_e32 v55, v0
	v_mov_b32_e32 v54, v1
	v_mov_b32_e32 v53, v2
	v_mov_b32_e32 v52, v3
	s_branch .LBB58_29
	.section	.rodata,"a",@progbits
	.p2align	6, 0x0
	.amdhsa_kernel _ZL15flash_attn_tileILi256ELi256ELi4ELi8ELb1EEvPKcS1_S1_S1_S1_PKiPfP15HIP_vector_typeIfLj2EEffffjfiS5_IjLj3EEiiiiiiiiiiiliiliiiiil
		.amdhsa_group_segment_fixed_size 27136
		.amdhsa_private_segment_fixed_size 0
		.amdhsa_kernarg_size 464
		.amdhsa_user_sgpr_count 2
		.amdhsa_user_sgpr_dispatch_ptr 0
		.amdhsa_user_sgpr_queue_ptr 0
		.amdhsa_user_sgpr_kernarg_segment_ptr 1
		.amdhsa_user_sgpr_dispatch_id 0
		.amdhsa_user_sgpr_kernarg_preload_length 0
		.amdhsa_user_sgpr_kernarg_preload_offset 0
		.amdhsa_user_sgpr_private_segment_size 0
		.amdhsa_uses_dynamic_stack 0
		.amdhsa_enable_private_segment 0
		.amdhsa_system_sgpr_workgroup_id_x 1
		.amdhsa_system_sgpr_workgroup_id_y 1
		.amdhsa_system_sgpr_workgroup_id_z 1
		.amdhsa_system_sgpr_workgroup_info 0
		.amdhsa_system_vgpr_workitem_id 1
		.amdhsa_next_free_vgpr 99
		.amdhsa_next_free_sgpr 91
		.amdhsa_accum_offset 100
		.amdhsa_reserve_vcc 1
		.amdhsa_float_round_mode_32 0
		.amdhsa_float_round_mode_16_64 0
		.amdhsa_float_denorm_mode_32 3
		.amdhsa_float_denorm_mode_16_64 3
		.amdhsa_dx10_clamp 1
		.amdhsa_ieee_mode 1
		.amdhsa_fp16_overflow 0
		.amdhsa_tg_split 0
		.amdhsa_exception_fp_ieee_invalid_op 0
		.amdhsa_exception_fp_denorm_src 0
		.amdhsa_exception_fp_ieee_div_zero 0
		.amdhsa_exception_fp_ieee_overflow 0
		.amdhsa_exception_fp_ieee_underflow 0
		.amdhsa_exception_fp_ieee_inexact 0
		.amdhsa_exception_int_div_zero 0
	.end_amdhsa_kernel
	.section	.text._ZL15flash_attn_tileILi256ELi256ELi4ELi8ELb1EEvPKcS1_S1_S1_S1_PKiPfP15HIP_vector_typeIfLj2EEffffjfiS5_IjLj3EEiiiiiiiiiiiliiliiiiil,"axG",@progbits,_ZL15flash_attn_tileILi256ELi256ELi4ELi8ELb1EEvPKcS1_S1_S1_S1_PKiPfP15HIP_vector_typeIfLj2EEffffjfiS5_IjLj3EEiiiiiiiiiiiliiliiiiil,comdat
.Lfunc_end58:
	.size	_ZL15flash_attn_tileILi256ELi256ELi4ELi8ELb1EEvPKcS1_S1_S1_S1_PKiPfP15HIP_vector_typeIfLj2EEffffjfiS5_IjLj3EEiiiiiiiiiiiliiliiiiil, .Lfunc_end58-_ZL15flash_attn_tileILi256ELi256ELi4ELi8ELb1EEvPKcS1_S1_S1_S1_PKiPfP15HIP_vector_typeIfLj2EEffffjfiS5_IjLj3EEiiiiiiiiiiiliiliiiiil
                                        ; -- End function
	.set _ZL15flash_attn_tileILi256ELi256ELi4ELi8ELb1EEvPKcS1_S1_S1_S1_PKiPfP15HIP_vector_typeIfLj2EEffffjfiS5_IjLj3EEiiiiiiiiiiiliiliiiiil.num_vgpr, 99
	.set _ZL15flash_attn_tileILi256ELi256ELi4ELi8ELb1EEvPKcS1_S1_S1_S1_PKiPfP15HIP_vector_typeIfLj2EEffffjfiS5_IjLj3EEiiiiiiiiiiiliiliiiiil.num_agpr, 0
	.set _ZL15flash_attn_tileILi256ELi256ELi4ELi8ELb1EEvPKcS1_S1_S1_S1_PKiPfP15HIP_vector_typeIfLj2EEffffjfiS5_IjLj3EEiiiiiiiiiiiliiliiiiil.numbered_sgpr, 40
	.set _ZL15flash_attn_tileILi256ELi256ELi4ELi8ELb1EEvPKcS1_S1_S1_S1_PKiPfP15HIP_vector_typeIfLj2EEffffjfiS5_IjLj3EEiiiiiiiiiiiliiliiiiil.num_named_barrier, 0
	.set _ZL15flash_attn_tileILi256ELi256ELi4ELi8ELb1EEvPKcS1_S1_S1_S1_PKiPfP15HIP_vector_typeIfLj2EEffffjfiS5_IjLj3EEiiiiiiiiiiiliiliiiiil.private_seg_size, 0
	.set _ZL15flash_attn_tileILi256ELi256ELi4ELi8ELb1EEvPKcS1_S1_S1_S1_PKiPfP15HIP_vector_typeIfLj2EEffffjfiS5_IjLj3EEiiiiiiiiiiiliiliiiiil.uses_vcc, 1
	.set _ZL15flash_attn_tileILi256ELi256ELi4ELi8ELb1EEvPKcS1_S1_S1_S1_PKiPfP15HIP_vector_typeIfLj2EEffffjfiS5_IjLj3EEiiiiiiiiiiiliiliiiiil.uses_flat_scratch, 0
	.set _ZL15flash_attn_tileILi256ELi256ELi4ELi8ELb1EEvPKcS1_S1_S1_S1_PKiPfP15HIP_vector_typeIfLj2EEffffjfiS5_IjLj3EEiiiiiiiiiiiliiliiiiil.has_dyn_sized_stack, 0
	.set _ZL15flash_attn_tileILi256ELi256ELi4ELi8ELb1EEvPKcS1_S1_S1_S1_PKiPfP15HIP_vector_typeIfLj2EEffffjfiS5_IjLj3EEiiiiiiiiiiiliiliiiiil.has_recursion, 0
	.set _ZL15flash_attn_tileILi256ELi256ELi4ELi8ELb1EEvPKcS1_S1_S1_S1_PKiPfP15HIP_vector_typeIfLj2EEffffjfiS5_IjLj3EEiiiiiiiiiiiliiliiiiil.has_indirect_call, 0
	.section	.AMDGPU.csdata,"",@progbits
; Kernel info:
; codeLenInByte = 24648
; TotalNumSgprs: 46
; NumVgprs: 99
; NumAgprs: 0
; TotalNumVgprs: 99
; ScratchSize: 0
; MemoryBound: 0
; FloatMode: 240
; IeeeMode: 1
; LDSByteSize: 27136 bytes/workgroup (compile time only)
; SGPRBlocks: 12
; VGPRBlocks: 12
; NumSGPRsForWavesPerEU: 97
; NumVGPRsForWavesPerEU: 99
; AccumOffset: 100
; Occupancy: 4
; WaveLimiterHint : 1
; COMPUTE_PGM_RSRC2:SCRATCH_EN: 0
; COMPUTE_PGM_RSRC2:USER_SGPR: 2
; COMPUTE_PGM_RSRC2:TRAP_HANDLER: 0
; COMPUTE_PGM_RSRC2:TGID_X_EN: 1
; COMPUTE_PGM_RSRC2:TGID_Y_EN: 1
; COMPUTE_PGM_RSRC2:TGID_Z_EN: 1
; COMPUTE_PGM_RSRC2:TIDIG_COMP_CNT: 1
; COMPUTE_PGM_RSRC3_GFX90A:ACCUM_OFFSET: 24
; COMPUTE_PGM_RSRC3_GFX90A:TG_SPLIT: 0
	.section	.text._ZL15flash_attn_tileILi256ELi256ELi2ELi8ELb1EEvPKcS1_S1_S1_S1_PKiPfP15HIP_vector_typeIfLj2EEffffjfiS5_IjLj3EEiiiiiiiiiiiliiliiiiil,"axG",@progbits,_ZL15flash_attn_tileILi256ELi256ELi2ELi8ELb1EEvPKcS1_S1_S1_S1_PKiPfP15HIP_vector_typeIfLj2EEffffjfiS5_IjLj3EEiiiiiiiiiiiliiliiiiil,comdat
	.globl	_ZL15flash_attn_tileILi256ELi256ELi2ELi8ELb1EEvPKcS1_S1_S1_S1_PKiPfP15HIP_vector_typeIfLj2EEffffjfiS5_IjLj3EEiiiiiiiiiiiliiliiiiil ; -- Begin function _ZL15flash_attn_tileILi256ELi256ELi2ELi8ELb1EEvPKcS1_S1_S1_S1_PKiPfP15HIP_vector_typeIfLj2EEffffjfiS5_IjLj3EEiiiiiiiiiiiliiliiiiil
	.p2align	8
	.type	_ZL15flash_attn_tileILi256ELi256ELi2ELi8ELb1EEvPKcS1_S1_S1_S1_PKiPfP15HIP_vector_typeIfLj2EEffffjfiS5_IjLj3EEiiiiiiiiiiiliiliiiiil,@function
_ZL15flash_attn_tileILi256ELi256ELi2ELi8ELb1EEvPKcS1_S1_S1_S1_PKiPfP15HIP_vector_typeIfLj2EEffffjfiS5_IjLj3EEiiiiiiiiiiiliiliiiiil: ; @_ZL15flash_attn_tileILi256ELi256ELi2ELi8ELb1EEvPKcS1_S1_S1_S1_PKiPfP15HIP_vector_typeIfLj2EEffffjfiS5_IjLj3EEiiiiiiiiiiiliiliiiiil
; %bb.0:
	s_load_dwordx4 s[20:23], s[0:1], 0x5c
	s_load_dwordx2 s[24:25], s[0:1], 0x80
	s_load_dwordx2 s[28:29], s[0:1], 0xb8
	s_mov_b64 s[26:27], 0
	s_waitcnt lgkmcnt(0)
	s_ashr_i32 s5, s23, 31
	s_lshr_b32 s5, s5, 29
	s_add_i32 s5, s23, s5
	s_ashr_i32 s5, s5, 3
	v_cvt_f32_u32_e32 v1, s5
	s_sub_i32 s6, 0, s5
	v_rcp_iflag_f32_e32 v1, v1
	s_nop 0
	v_mul_f32_e32 v1, 0x4f7ffffe, v1
	v_cvt_u32_f32_e32 v1, v1
	s_nop 0
	v_readfirstlane_b32 s7, v1
	s_mul_i32 s6, s6, s7
	s_mul_hi_u32 s6, s7, s6
	s_add_i32 s7, s7, s6
	s_mul_hi_u32 s6, s4, s7
	s_mul_i32 s7, s6, s5
	s_sub_i32 s7, s4, s7
	s_add_i32 s8, s6, 1
	s_sub_i32 s9, s7, s5
	s_cmp_ge_u32 s7, s5
	s_cselect_b32 s6, s8, s6
	s_cselect_b32 s7, s9, s7
	s_add_i32 s8, s6, 1
	s_cmp_ge_u32 s7, s5
	s_cselect_b32 s30, s8, s6
	s_abs_i32 s5, s25
	v_cvt_f32_u32_e32 v1, s5
	s_lshl_b32 s4, s4, 3
	s_mul_i32 s8, s30, s23
	s_xor_b32 s6, s23, s25
	v_rcp_iflag_f32_e32 v1, v1
	s_sub_i32 s9, 0, s5
	s_sub_i32 s25, s4, s8
	s_abs_i32 s7, s23
	v_mul_f32_e32 v1, 0x4f7ffffe, v1
	v_cvt_u32_f32_e32 v1, v1
	s_ashr_i32 s6, s6, 31
	v_readfirstlane_b32 s4, v1
	s_mul_i32 s9, s9, s4
	s_mul_hi_u32 s8, s4, s9
	s_add_i32 s4, s4, s8
	s_mul_hi_u32 s4, s7, s4
	s_mul_i32 s8, s4, s5
	s_sub_i32 s7, s7, s8
	s_add_i32 s9, s4, 1
	s_sub_i32 s8, s7, s5
	s_cmp_ge_u32 s7, s5
	s_cselect_b32 s4, s9, s4
	s_cselect_b32 s7, s8, s7
	s_add_i32 s8, s4, 1
	s_cmp_ge_u32 s7, s5
	s_cselect_b32 s4, s8, s4
	s_xor_b32 s4, s4, s6
	s_sub_i32 s33, s4, s6
	s_abs_i32 s31, s33
	v_cvt_f32_u32_e32 v1, s31
	s_load_dwordx16 s[4:19], s[0:1], 0x0
	v_rcp_iflag_f32_e32 v1, v1
	s_waitcnt lgkmcnt(0)
	s_cmp_eq_u64 s[10:11], 0
	v_mul_f32_e32 v1, 0x4f7ffffe, v1
	v_cvt_u32_f32_e32 v1, v1
	s_nop 0
	v_readfirstlane_b32 s34, v1
	s_cbranch_scc1 .LBB59_2
; %bb.1:
	s_abs_i32 s28, s28
	v_cvt_f32_u32_e32 v1, s28
	s_sub_i32 s37, 0, s28
	s_abs_i32 s36, s30
	s_ashr_i32 s35, s30, 31
	v_rcp_iflag_f32_e32 v1, v1
	s_load_dwordx2 s[26:27], s[0:1], 0xc8
	v_mul_f32_e32 v1, 0x4f7ffffe, v1
	v_cvt_u32_f32_e32 v1, v1
	s_nop 0
	v_readfirstlane_b32 s38, v1
	s_mul_i32 s37, s37, s38
	s_mul_hi_u32 s37, s38, s37
	s_add_i32 s38, s38, s37
	s_mul_hi_u32 s37, s36, s38
	s_mul_i32 s37, s37, s28
	s_sub_i32 s36, s36, s37
	s_sub_i32 s37, s36, s28
	s_cmp_ge_u32 s36, s28
	s_cselect_b32 s36, s37, s36
	s_sub_i32 s37, s36, s28
	s_cmp_ge_u32 s36, s28
	s_cselect_b32 s28, s37, s36
	s_xor_b32 s28, s28, s35
	s_sub_i32 s28, s28, s35
	s_ashr_i32 s35, s28, 31
	s_waitcnt lgkmcnt(0)
	s_mul_hi_u32 s36, s26, s28
	s_mul_i32 s35, s26, s35
	s_mul_i32 s27, s27, s28
	s_add_i32 s35, s36, s35
	s_add_i32 s35, s35, s27
	s_mul_i32 s26, s26, s28
	s_add_u32 s26, s10, s26
	s_addc_u32 s27, s11, s35
.LBB59_2:
	s_load_dwordx4 s[36:39], s[0:1], 0x70
	v_lshrrev_b32_e32 v3, 10, v0
	v_bfe_u32 v3, v3, 2, 8
	v_lshl_add_u32 v9, s2, 1, v3
	v_mul_hi_u32 v3, s20, v9
	s_waitcnt lgkmcnt(0)
	s_mul_i32 s10, s30, s38
	s_ashr_i32 s28, s10, 31
	s_mul_i32 s11, s25, s37
	s_add_u32 s4, s4, s10
	s_addc_u32 s5, s5, s28
	s_ashr_i32 s10, s11, 31
	v_add_u32_e32 v3, v9, v3
	s_add_u32 s4, s4, s11
	v_lshrrev_b32_e32 v3, s21, v3
	s_addc_u32 s5, s5, s10
	s_ashr_i32 s11, s37, 31
	s_mov_b32 s10, s37
	v_mul_lo_u32 v3, v3, s22
	s_ashr_i32 s37, s36, 31
	v_sub_u32_e32 v3, v9, v3
	s_lshr_b64 s[20:21], s[36:37], 2
	v_mad_u64_u32 v[4:5], s[20:21], s20, v3, 0
	s_lshr_b64 s[38:39], s[10:11], 2
	v_mov_b32_e32 v6, v5
	s_lshr_b32 s10, s37, 2
	v_bfe_u32 v1, v0, 10, 10
	v_mad_u64_u32 v[6:7], s[20:21], s10, v3, v[6:7]
	v_lshlrev_b32_e32 v2, 1, v1
	v_mov_b32_e32 v5, v6
	v_and_b32_e32 v8, 0x3ff, v0
	v_mov_b32_e32 v7, 0
	v_lshl_add_u64 v[4:5], v[4:5], 2, s[4:5]
	v_lshlrev_b32_e32 v6, 4, v8
	v_and_b32_e32 v28, 6, v2
	v_lshl_add_u64 v[14:15], v[4:5], 0, v[6:7]
	v_mad_u64_u32 v[4:5], s[4:5], s38, v28, 0
	v_mov_b32_e32 v0, v5
	s_lshr_b32 s10, s11, 2
	v_mad_u64_u32 v[6:7], s[4:5], s10, v28, v[0:1]
	v_mov_b32_e32 v5, v6
	v_lshl_add_u64 v[16:17], v[4:5], 2, v[14:15]
	v_bitop3_b32 v18, v2, 7, 1 bitop3:0xc8
	global_load_dwordx4 v[4:7], v[16:17], off
	global_load_dwordx4 v[10:13], v[16:17], off offset:512
	v_mad_u64_u32 v[16:17], s[4:5], s38, v18, 0
	v_mov_b32_e32 v0, v17
	v_mad_u64_u32 v[18:19], s[4:5], s10, v18, v[0:1]
	v_mov_b32_e32 v17, v18
	v_lshl_add_u64 v[22:23], v[16:17], 2, v[14:15]
	global_load_dwordx4 v[14:17], v[22:23], off
	global_load_dwordx4 v[18:21], v[22:23], off offset:512
	s_load_dword s4, s[0:1], 0x40
	v_lshlrev_b32_e32 v30, 3, v8
	v_lshlrev_b32_e32 v0, 10, v1
	v_add_u32_e32 v22, 0x2200, v30
	v_add_u32_e32 v24, v22, v0
	v_or_b32_e32 v23, 1, v2
	v_lshl_add_u32 v22, v23, 9, v22
	s_cmp_eq_u64 s[14:15], 0
	s_waitcnt vmcnt(3) lgkmcnt(0)
	v_fma_mixlo_f16 v4, s4, v4, 0
	v_fma_mixlo_f16 v5, s4, v5, 0
	;; [unrolled: 1-line block ×4, first 2 shown]
	s_waitcnt vmcnt(2)
	v_fma_mixlo_f16 v10, s4, v10, 0
	v_fma_mixlo_f16 v11, s4, v11, 0
	;; [unrolled: 1-line block ×4, first 2 shown]
	v_lshlrev_b32_e32 v5, 16, v5
	v_and_b32_e32 v4, 0xffff, v4
	v_lshlrev_b32_e32 v7, 16, v7
	v_and_b32_e32 v6, 0xffff, v6
	;; [unrolled: 2-line block ×4, first 2 shown]
	v_or_b32_e32 v4, v5, v4
	v_or3_b32 v5, v7, v6, 0
	v_or_b32_e32 v6, v11, v10
	s_waitcnt vmcnt(1)
	v_fma_mixlo_f16 v14, s4, v14, 0
	v_fma_mixlo_f16 v15, s4, v15, 0
	s_waitcnt vmcnt(0)
	v_fma_mixlo_f16 v18, s4, v18, 0
	v_fma_mixlo_f16 v19, s4, v19, 0
	v_or3_b32 v7, v13, v12, 0
	v_or3_b32 v4, 0, 0, v4
	;; [unrolled: 1-line block ×3, first 2 shown]
	v_fma_mixlo_f16 v16, s4, v16, 0
	v_fma_mixlo_f16 v17, s4, v17, 0
	;; [unrolled: 1-line block ×3, first 2 shown]
	v_lshlrev_b32_e32 v15, 16, v15
	v_and_b32_e32 v14, 0xffff, v14
	v_lshlrev_b32_e32 v19, 16, v19
	v_and_b32_e32 v18, 0xffff, v18
	ds_write2_b64 v24, v[4:5], v[6:7] offset1:32
	v_fma_mixlo_f16 v4, s4, v21, 0
	v_lshlrev_b32_e32 v17, 16, v17
	v_and_b32_e32 v16, 0xffff, v16
	v_or_b32_e32 v10, v15, v14
	v_or_b32_e32 v12, v19, v18
	v_lshlrev_b32_e32 v4, 16, v4
	v_and_b32_e32 v5, 0xffff, v20
	v_or3_b32 v11, v17, v16, 0
	v_or3_b32 v10, 0, 0, v10
	v_or3_b32 v5, v4, v5, 0
	v_or3_b32 v4, 0, 0, v12
	ds_write2_b64 v22, v[10:11], v[4:5] offset1:32
	s_waitcnt lgkmcnt(0)
	s_barrier
	s_cbranch_scc1 .LBB59_4
; %bb.3:
	s_load_dword s4, s[0:1], 0xd0
	s_mov_b32 s5, 0
	s_waitcnt lgkmcnt(0)
	s_mul_i32 s4, s4, s30
	s_add_i32 s4, s4, s2
	s_lshl_b64 s[4:5], s[4:5], 2
	s_add_u32 s4, s14, s4
	s_addc_u32 s5, s15, s5
	s_load_dword s24, s[4:5], 0x0
.LBB59_4:
	s_lshl_b32 s2, s3, 5
	v_lshlrev_b32_e32 v29, 2, v8
	s_waitcnt lgkmcnt(0)
	s_cmp_lt_i32 s2, s24
	v_mbcnt_lo_u32_b32 v4, -1, 0
	s_cbranch_scc1 .LBB59_19
; %bb.5:
	v_mbcnt_hi_u32_b32 v19, -1, v4
	v_and_b32_e32 v5, 0x60, v19
	v_add_u32_e32 v46, 32, v5
	v_xor_b32_e32 v47, 16, v19
	v_xor_b32_e32 v48, 8, v19
	;; [unrolled: 1-line block ×5, first 2 shown]
	s_cbranch_execz .LBB59_20
; %bb.6:
	v_mov_b32_e32 v11, 0
	v_mov_b32_e32 v27, 0xfeffffff
	;; [unrolled: 1-line block ×12, first 2 shown]
.LBB59_7:
	v_cmp_lt_i32_e32 vcc, v47, v46
	s_cmp_lg_u64 s[12:13], 0
	s_cselect_b64 s[4:5], -1, 0
	v_cndmask_b32_e32 v0, v19, v47, vcc
	v_lshlrev_b32_e32 v1, 2, v0
	ds_bpermute_b32 v0, v1, v10
	ds_bpermute_b32 v1, v1, v11
	v_cmp_lt_i32_e32 vcc, v48, v46
	s_cmp_eq_u32 s3, 0
	s_cselect_b64 s[6:7], -1, 0
	v_cndmask_b32_e32 v2, v19, v48, vcc
	v_lshlrev_b32_e32 v3, 2, v2
	s_waitcnt lgkmcnt(0)
	v_pk_add_f32 v[0:1], v[10:11], v[0:1]
	ds_bpermute_b32 v2, v3, v0
	ds_bpermute_b32 v3, v3, v1
	v_cmp_lt_i32_e32 vcc, v49, v46
	s_and_b64 s[4:5], s[6:7], s[4:5]
	s_waitcnt lgkmcnt(0)
	v_pk_add_f32 v[0:1], v[0:1], v[2:3]
	v_cndmask_b32_e32 v4, v19, v49, vcc
	v_lshlrev_b32_e32 v4, 2, v4
	ds_bpermute_b32 v2, v4, v0
	ds_bpermute_b32 v3, v4, v1
	v_cmp_lt_i32_e32 vcc, v50, v46
	s_waitcnt lgkmcnt(0)
	v_pk_add_f32 v[0:1], v[0:1], v[2:3]
	v_cndmask_b32_e32 v4, v19, v50, vcc
	v_lshlrev_b32_e32 v4, 2, v4
	ds_bpermute_b32 v2, v4, v0
	ds_bpermute_b32 v3, v4, v1
	v_cmp_lt_i32_e32 vcc, v51, v46
	s_waitcnt lgkmcnt(0)
	v_pk_add_f32 v[0:1], v[0:1], v[2:3]
	v_cndmask_b32_e32 v4, v19, v51, vcc
	v_lshlrev_b32_e32 v4, 2, v4
	ds_bpermute_b32 v2, v4, v0
	ds_bpermute_b32 v3, v4, v1
	s_and_b64 vcc, exec, s[4:5]
	s_waitcnt lgkmcnt(0)
	v_pk_add_f32 v[0:1], v[0:1], v[2:3]
	s_cbranch_vccz .LBB59_9
; %bb.8:
	v_add_u32_e32 v2, s25, v28
	v_ashrrev_i32_e32 v3, 31, v2
	v_lshl_add_u64 v[2:3], v[2:3], 2, s[12:13]
	global_load_dwordx2 v[2:3], v[2:3], off
	v_max_f32_e32 v4, v26, v26
	v_max_f32_e32 v11, v27, v27
	s_mov_b32 s2, 0x3fb8aa3b
	s_mov_b32 s4, 0xc2ce8ed0
	;; [unrolled: 1-line block ×3, first 2 shown]
	v_mov_b32_e32 v13, 0x7f800000
	s_waitcnt vmcnt(0)
	v_max_f32_e32 v10, v2, v2
	v_max_f32_e32 v10, v4, v10
	;; [unrolled: 1-line block ×3, first 2 shown]
	v_sub_f32_e32 v4, v26, v10
	v_max_f32_e32 v11, v11, v12
	v_sub_f32_e32 v12, v2, v10
	v_mul_f32_e32 v2, 0x3fb8aa3b, v4
	v_sub_f32_e32 v14, v27, v11
	v_sub_f32_e32 v15, v3, v11
	v_mul_f32_e32 v3, 0x3fb8aa3b, v12
	v_fma_f32 v18, v4, s2, -v2
	v_rndne_f32_e32 v19, v2
	v_mul_f32_e32 v16, 0x3fb8aa3b, v14
	v_fma_f32 v20, v12, s2, -v3
	v_rndne_f32_e32 v21, v3
	v_fmac_f32_e32 v18, 0x32a5705f, v4
	v_sub_f32_e32 v2, v2, v19
	v_mul_f32_e32 v17, 0x3fb8aa3b, v15
	v_fma_f32 v22, v14, s2, -v16
	v_rndne_f32_e32 v23, v16
	v_fmac_f32_e32 v20, 0x32a5705f, v12
	v_sub_f32_e32 v3, v3, v21
	v_add_f32_e32 v2, v2, v18
	v_fma_f32 v24, v15, s2, -v17
	v_rndne_f32_e32 v25, v17
	v_cvt_i32_f32_e32 v19, v19
	v_fmac_f32_e32 v22, 0x32a5705f, v14
	v_sub_f32_e32 v16, v16, v23
	v_add_f32_e32 v3, v3, v20
	v_exp_f32_e32 v2, v2
	v_cvt_i32_f32_e32 v21, v21
	v_fmac_f32_e32 v24, 0x32a5705f, v15
	v_sub_f32_e32 v17, v17, v25
	v_add_f32_e32 v16, v16, v22
	v_exp_f32_e32 v3, v3
	v_cvt_i32_f32_e32 v23, v23
	v_add_f32_e32 v17, v17, v24
	v_exp_f32_e32 v16, v16
	v_cvt_i32_f32_e32 v25, v25
	v_exp_f32_e32 v17, v17
	v_ldexp_f32 v2, v2, v19
	v_cmp_ngt_f32_e32 vcc, s4, v4
	v_ldexp_f32 v3, v3, v21
	v_ldexp_f32 v16, v16, v23
	v_cndmask_b32_e32 v2, 0, v2, vcc
	v_cmp_ngt_f32_e32 vcc, s4, v12
	v_ldexp_f32 v17, v17, v25
	v_mov_b64_e32 v[26:27], v[10:11]
	v_cndmask_b32_e32 v3, 0, v3, vcc
	v_cmp_ngt_f32_e32 vcc, s4, v14
	s_nop 1
	v_cndmask_b32_e32 v16, 0, v16, vcc
	v_cmp_ngt_f32_e32 vcc, s4, v15
	s_nop 1
	v_cndmask_b32_e32 v17, 0, v17, vcc
	v_cmp_nlt_f32_e32 vcc, s5, v4
	s_nop 1
	v_cndmask_b32_e32 v2, v13, v2, vcc
	v_cmp_nlt_f32_e32 vcc, s5, v12
	v_cvt_f16_f32_e32 v4, v2
	s_nop 0
	v_cndmask_b32_e32 v12, v13, v3, vcc
	v_cmp_nlt_f32_e32 vcc, s5, v14
	s_nop 1
	v_cndmask_b32_e32 v3, v13, v16, vcc
	v_cvt_f16_f32_e32 v14, v3
	v_cmp_nlt_f32_e32 vcc, s5, v15
	s_nop 1
	v_cndmask_b32_e32 v13, v13, v17, vcc
	v_pk_fma_f32 v[0:1], v[0:1], v[2:3], v[12:13]
	v_mul_u32_u24_e32 v2, 0x10001, v4
	v_mul_u32_u24_e32 v3, 0x10001, v14
	v_pk_mul_f16 v41, v41, v2
	v_pk_mul_f16 v44, v44, v2
	;; [unrolled: 1-line block ×8, first 2 shown]
.LBB59_9:
	v_cmp_gt_i32_e32 vcc, s22, v9
	s_and_saveexec_b64 s[4:5], vcc
	s_cbranch_execz .LBB59_18
; %bb.10:
	s_load_dword s6, s[0:1], 0xd4
	v_mov_b32_e32 v4, 1.0
	s_waitcnt lgkmcnt(0)
	s_cmp_lg_u32 s6, 1
	s_cselect_b64 s[0:1], -1, 0
	s_cmp_eq_u32 s6, 1
	s_cselect_b64 s[4:5], -1, 0
	s_and_b64 vcc, exec, s[0:1]
	s_cbranch_vccnz .LBB59_12
; %bb.11:
	v_div_scale_f32 v2, s[8:9], v0, v0, 1.0
	v_rcp_f32_e32 v3, v2
	v_div_scale_f32 v4, vcc, 1.0, v0, 1.0
	v_fma_f32 v10, -v2, v3, 1.0
	v_fmac_f32_e32 v3, v10, v3
	v_mul_f32_e32 v10, v4, v3
	v_fma_f32 v11, -v2, v10, v4
	v_fmac_f32_e32 v10, v11, v3
	v_fma_f32 v2, -v2, v10, v4
	v_div_fmas_f32 v2, v2, v3, v10
	v_div_fixup_f32 v4, v2, v0, 1.0
.LBB59_12:
	s_mul_i32 s30, s30, s22
	v_add_u32_e32 v2, s30, v9
	v_mul_lo_u32 v2, v2, s23
	v_add3_u32 v2, s25, v28, v2
	v_cmp_eq_u32_e32 vcc, 0, v8
	v_cvt_f32_f16_sdwa v9, v41 dst_sel:DWORD dst_unused:UNUSED_PAD src0_sel:WORD_1
	v_cvt_f32_f16_e32 v8, v41
	v_cvt_f32_f16_sdwa v11, v44 dst_sel:DWORD dst_unused:UNUSED_PAD src0_sel:WORD_1
	v_cvt_f32_f16_e32 v10, v44
	v_mul_lo_u32 v2, s6, v2
	v_add_u32_e32 v2, s3, v2
	v_lshl_add_u32 v12, v2, 8, v29
	v_mov_b32_e32 v13, 0
	v_lshl_add_u64 v[14:15], v[12:13], 2, s[16:17]
	v_pk_mul_f32 v[8:9], v[4:5], v[8:9] op_sel_hi:[0,1]
	v_pk_mul_f32 v[10:11], v[4:5], v[10:11] op_sel_hi:[0,1]
	global_store_dwordx4 v[14:15], v[8:11], off
	v_add_u32_e32 v12, 0x80, v12
	s_and_b64 s[0:1], vcc, s[0:1]
	v_cvt_f32_f16_sdwa v9, v43 dst_sel:DWORD dst_unused:UNUSED_PAD src0_sel:WORD_1
	v_cvt_f32_f16_e32 v8, v43
	v_cvt_f32_f16_sdwa v11, v42 dst_sel:DWORD dst_unused:UNUSED_PAD src0_sel:WORD_1
	v_cvt_f32_f16_e32 v10, v42
	v_lshl_add_u64 v[12:13], v[12:13], 2, s[16:17]
	v_pk_mul_f32 v[8:9], v[4:5], v[8:9] op_sel_hi:[0,1]
	v_pk_mul_f32 v[10:11], v[4:5], v[10:11] op_sel_hi:[0,1]
	global_store_dwordx4 v[12:13], v[8:11], off
	s_and_saveexec_b64 s[2:3], s[0:1]
	s_cbranch_execz .LBB59_14
; %bb.13:
	v_ashrrev_i32_e32 v3, 31, v2
	v_lshl_add_u64 v[8:9], v[2:3], 3, s[18:19]
	v_mov_b32_e32 v10, v26
	v_mov_b32_e32 v11, v0
	global_store_dwordx2 v[8:9], v[10:11], off
.LBB59_14:
	s_or_b64 exec, exec, s[2:3]
	s_andn2_b64 vcc, exec, s[4:5]
	v_mov_b32_e32 v0, 1.0
	s_cbranch_vccnz .LBB59_16
; %bb.15:
	v_div_scale_f32 v0, s[2:3], v1, v1, 1.0
	v_rcp_f32_e32 v3, v0
	v_div_scale_f32 v4, vcc, 1.0, v1, 1.0
	v_fma_f32 v8, -v0, v3, 1.0
	v_fmac_f32_e32 v3, v8, v3
	v_mul_f32_e32 v8, v4, v3
	v_fma_f32 v9, -v0, v8, v4
	v_fmac_f32_e32 v8, v9, v3
	v_fma_f32 v0, -v0, v8, v4
	v_div_fmas_f32 v0, v0, v3, v8
	v_div_fixup_f32 v0, v0, v1, 1.0
.LBB59_16:
	v_cvt_f32_f16_sdwa v9, v40 dst_sel:DWORD dst_unused:UNUSED_PAD src0_sel:WORD_1
	v_cvt_f32_f16_e32 v8, v40
	v_cvt_f32_f16_sdwa v11, v7 dst_sel:DWORD dst_unused:UNUSED_PAD src0_sel:WORD_1
	v_cvt_f32_f16_e32 v10, v7
	v_add_u32_e32 v2, s6, v2
	v_lshl_add_u32 v12, v2, 8, v29
	v_mov_b32_e32 v13, 0
	v_lshl_add_u64 v[14:15], v[12:13], 2, s[16:17]
	v_pk_mul_f32 v[8:9], v[0:1], v[8:9] op_sel_hi:[0,1]
	v_pk_mul_f32 v[10:11], v[0:1], v[10:11] op_sel_hi:[0,1]
	global_store_dwordx4 v[14:15], v[8:11], off
	v_cvt_f32_f16_sdwa v7, v6 dst_sel:DWORD dst_unused:UNUSED_PAD src0_sel:WORD_1
	v_cvt_f32_f16_e32 v6, v6
	v_cvt_f32_f16_sdwa v9, v5 dst_sel:DWORD dst_unused:UNUSED_PAD src0_sel:WORD_1
	v_cvt_f32_f16_e32 v8, v5
	v_add_u32_e32 v12, 0x80, v12
	v_lshl_add_u64 v[10:11], v[12:13], 2, s[16:17]
	v_pk_mul_f32 v[4:5], v[0:1], v[6:7] op_sel_hi:[0,1]
	v_pk_mul_f32 v[6:7], v[0:1], v[8:9] op_sel_hi:[0,1]
	global_store_dwordx4 v[10:11], v[4:7], off
	s_and_b64 exec, exec, s[0:1]
	s_cbranch_execz .LBB59_18
; %bb.17:
	v_ashrrev_i32_e32 v3, 31, v2
	v_lshl_add_u64 v[2:3], v[2:3], 3, s[18:19]
	v_mov_b32_e32 v0, v27
	global_store_dwordx2 v[2:3], v[0:1], off
.LBB59_18:
	s_endpgm
.LBB59_19:
                                        ; implicit-def: $vgpr19
                                        ; implicit-def: $vgpr46
                                        ; implicit-def: $vgpr47
                                        ; implicit-def: $vgpr48
                                        ; implicit-def: $vgpr49
                                        ; implicit-def: $vgpr50
                                        ; implicit-def: $vgpr51
.LBB59_20:
	s_sub_i32 s4, 0, s31
	s_mul_i32 s4, s4, s34
	s_mul_hi_u32 s4, s34, s4
	s_add_i32 s34, s34, s4
	s_load_dwordx4 s[36:39], s[0:1], 0x98
	s_load_dword s10, s[0:1], 0x54
	s_load_dwordx2 s[4:5], s[0:1], 0x8c
	s_ashr_i32 s28, s33, 31
	s_abs_i32 s15, s25
	s_waitcnt lgkmcnt(0)
	s_ashr_i32 s11, s38, 2
	s_mul_hi_u32 s33, s36, s30
	s_ashr_i32 s14, s4, 2
	s_ashr_i32 s4, s30, 31
	s_mul_i32 s38, s36, s4
	s_add_i32 s33, s33, s38
	s_mul_i32 s37, s37, s30
	s_ashr_i32 s21, s25, 31
	s_ashr_i32 s29, s29, 1
	s_add_i32 s33, s33, s37
	s_mul_i32 s36, s36, s30
	s_mul_hi_u32 s20, s15, s34
	s_add_u32 s6, s6, s36
	s_addc_u32 s7, s7, s33
	s_xor_b32 s21, s21, s28
	s_mul_i32 s28, s20, s31
	s_sub_i32 s15, s15, s28
	s_add_i32 s28, s20, 1
	s_sub_i32 s33, s15, s31
	s_cmp_ge_u32 s15, s31
	s_cselect_b32 s20, s28, s20
	s_cselect_b32 s15, s33, s15
	s_add_i32 s28, s20, 1
	s_cmp_ge_u32 s15, s31
	s_load_dwordx2 s[34:35], s[0:1], 0xa8
	s_cselect_b32 s15, s28, s20
	s_xor_b32 s15, s15, s21
	s_sub_i32 s21, s15, s21
	s_mul_i32 s5, s21, s5
	s_ashr_i32 s20, s5, 31
	s_add_u32 s15, s6, s5
	s_waitcnt lgkmcnt(0)
	s_mul_hi_u32 s5, s34, s30
	s_mul_i32 s4, s34, s4
	s_addc_u32 s20, s7, s20
	s_add_i32 s4, s5, s4
	s_mul_i32 s5, s35, s30
	s_add_i32 s4, s4, s5
	s_mul_i32 s5, s34, s30
	s_add_u32 s5, s8, s5
	s_mul_i32 s21, s21, s39
	s_addc_u32 s4, s9, s4
	s_ashr_i32 s6, s21, 31
	v_lshrrev_b32_e32 v5, 4, v8
	s_add_u32 s8, s5, s21
	v_add_u32_e32 v5, v5, v2
	v_and_b32_e32 v2, 60, v29
	v_add_u32_e32 v34, 0x2200, v0
	v_mov_b32_e32 v0, 0x4200
	s_addc_u32 s9, s4, s6
	v_lshlrev_b32_e32 v6, 2, v2
	s_movk_i32 s4, 0x110
	v_lshl_add_u32 v35, v1, 7, v0
	v_mul_lo_u32 v0, s11, v1
	v_mad_u32_u24 v31, v5, s4, v6
	v_mul_lo_u32 v14, s14, v5
	v_mad_u64_u32 v[18:19], s[4:5], v3, s29, v[8:9]
	v_lshlrev_b32_e32 v12, 2, v29
	v_lshl_add_u32 v6, s11, 3, v0
	v_mov_b32_e32 v13, 0
	v_lshl_add_u32 v16, s14, 4, v14
	v_lshl_add_u32 v36, v1, 9, v12
	v_ashrrev_i32_e32 v1, 31, v0
	v_ashrrev_i32_e32 v7, 31, v6
	s_add_u32 s4, s0, 0xd0
	v_ashrrev_i32_e32 v15, 31, v14
	v_add_u32_e32 v32, 0x1100, v31
	v_ashrrev_i32_e32 v17, 31, v16
	v_mul_u32_u24_e32 v33, 0x110, v8
	v_add_u32_e32 v37, 0x1000, v36
	s_addc_u32 s5, s1, 0
	v_mov_b32_e32 v45, 0xfeffffff
	v_lshlrev_b32_e32 v20, 2, v2
	v_mov_b32_e32 v21, v13
	s_mov_b32 s21, 0x3f200000
	s_mov_b32 s28, 0x3fb8aa3b
	;; [unrolled: 1-line block ×4, first 2 shown]
	v_mov_b32_e32 v38, 0x3ca908c9
	s_brev_b32 s33, -2
	s_mov_b32 s34, 0x10001
	v_lshlrev_b64 v[22:23], 2, v[0:1]
	v_lshlrev_b64 v[24:25], 2, v[6:7]
	v_mov_b32_e32 v39, 0x7f800000
	v_mbcnt_hi_u32_b32 v19, -1, v4
	v_mov_b32_e32 v5, v13
	v_mov_b32_e32 v6, v13
	;; [unrolled: 1-line block ×11, first 2 shown]
                                        ; implicit-def: $vgpr2
                                        ; implicit-def: $vgpr2
	;; [unrolled: 1-line block ×3, first 2 shown]
.LBB59_21:                              ; =>This Inner Loop Header: Depth=1
	s_mul_hi_i32 s7, s2, s14
	s_mul_i32 s6, s2, s14
	s_lshl_b64 s[6:7], s[6:7], 2
	s_add_u32 s6, s15, s6
	s_addc_u32 s7, s20, s7
	v_lshl_add_u64 v[0:1], v[14:15], 2, s[6:7]
	v_lshl_add_u64 v[0:1], v[0:1], 0, v[20:21]
	;; [unrolled: 1-line block ×4, first 2 shown]
	global_load_dwordx4 v[46:49], v[0:1], off
	global_load_dwordx4 v[50:53], v[2:3], off
	v_mov_b32_e32 v27, 0
	v_mov_b32_e32 v26, 0
	s_waitcnt vmcnt(1)
	ds_write_b128 v31, v[46:49]
	s_waitcnt vmcnt(0)
	ds_write_b128 v32, v[50:53]
	s_waitcnt lgkmcnt(0)
	s_barrier
	ds_read_b128 v[46:49], v33
	ds_read_b128 v[50:53], v34
	ds_read_b128 v[54:57], v34 offset:512
	s_waitcnt lgkmcnt(1)
	;;#ASMSTART
	v_dot2_f32_f16 v27, v46, v50, v27
	;;#ASMEND
	s_nop 0
	;;#ASMSTART
	v_dot2_f32_f16 v27, v47, v51, v27
	;;#ASMEND
	s_nop 0
	;;#ASMSTART
	v_dot2_f32_f16 v27, v48, v52, v27
	;;#ASMEND
	s_nop 0
	;;#ASMSTART
	v_dot2_f32_f16 v27, v49, v53, v27
	;;#ASMEND
	s_waitcnt lgkmcnt(0)
	;;#ASMSTART
	v_dot2_f32_f16 v26, v46, v54, v26
	;;#ASMEND
	s_nop 0
	;;#ASMSTART
	v_dot2_f32_f16 v26, v47, v55, v26
	;;#ASMEND
	s_nop 0
	;;#ASMSTART
	v_dot2_f32_f16 v26, v48, v56, v26
	;;#ASMEND
	s_nop 0
	;;#ASMSTART
	v_dot2_f32_f16 v26, v49, v57, v26
	;;#ASMEND
	ds_read_b128 v[46:49], v33 offset:16
	ds_read_b128 v[50:53], v34 offset:16
	ds_read_b128 v[54:57], v34 offset:528
	s_waitcnt lgkmcnt(1)
	;;#ASMSTART
	v_dot2_f32_f16 v27, v46, v50, v27
	;;#ASMEND
	s_nop 0
	;;#ASMSTART
	v_dot2_f32_f16 v27, v47, v51, v27
	;;#ASMEND
	s_nop 0
	;;#ASMSTART
	v_dot2_f32_f16 v27, v48, v52, v27
	;;#ASMEND
	s_nop 0
	;;#ASMSTART
	v_dot2_f32_f16 v27, v49, v53, v27
	;;#ASMEND
	s_waitcnt lgkmcnt(0)
	;;#ASMSTART
	v_dot2_f32_f16 v26, v46, v54, v26
	;;#ASMEND
	s_nop 0
	;;#ASMSTART
	v_dot2_f32_f16 v26, v47, v55, v26
	;;#ASMEND
	s_nop 0
	;;#ASMSTART
	v_dot2_f32_f16 v26, v48, v56, v26
	;;#ASMEND
	s_nop 0
	;;#ASMSTART
	v_dot2_f32_f16 v26, v49, v57, v26
	;;#ASMEND
	ds_read_b128 v[46:49], v33 offset:32
	ds_read_b128 v[50:53], v34 offset:32
	;; [unrolled: 35-line block ×15, first 2 shown]
	ds_read_b128 v[54:57], v34 offset:752
	s_waitcnt lgkmcnt(1)
	;;#ASMSTART
	v_dot2_f32_f16 v27, v46, v50, v27
	;;#ASMEND
	s_nop 0
	;;#ASMSTART
	v_dot2_f32_f16 v27, v47, v51, v27
	;;#ASMEND
	s_nop 0
	;; [unrolled: 4-line block ×3, first 2 shown]
	;;#ASMSTART
	v_dot2_f32_f16 v27, v49, v53, v27
	;;#ASMEND
	s_waitcnt lgkmcnt(0)
	;;#ASMSTART
	v_dot2_f32_f16 v26, v46, v54, v26
	;;#ASMEND
	s_nop 0
	;;#ASMSTART
	v_dot2_f32_f16 v26, v47, v55, v26
	;;#ASMEND
	s_nop 0
	;; [unrolled: 4-line block ×3, first 2 shown]
	;;#ASMSTART
	v_dot2_f32_f16 v26, v49, v57, v26
	;;#ASMEND
	s_barrier
	global_load_dwordx4 v[46:49], v[0:1], off offset:256
	global_load_dwordx4 v[50:53], v[2:3], off offset:256
	s_waitcnt vmcnt(1)
	ds_write_b128 v31, v[46:49]
	s_waitcnt vmcnt(0)
	ds_write_b128 v32, v[50:53]
	s_waitcnt lgkmcnt(0)
	s_barrier
	ds_read_b128 v[0:3], v33
	ds_read_b128 v[46:49], v34 offset:256
	ds_read_b128 v[50:53], v34 offset:768
	s_waitcnt lgkmcnt(1)
	;;#ASMSTART
	v_dot2_f32_f16 v27, v0, v46, v27
	;;#ASMEND
	s_nop 0
	;;#ASMSTART
	v_dot2_f32_f16 v27, v1, v47, v27
	;;#ASMEND
	s_nop 0
	;;#ASMSTART
	v_dot2_f32_f16 v27, v2, v48, v27
	;;#ASMEND
	s_nop 0
	;;#ASMSTART
	v_dot2_f32_f16 v27, v3, v49, v27
	;;#ASMEND
	s_waitcnt lgkmcnt(0)
	;;#ASMSTART
	v_dot2_f32_f16 v26, v0, v50, v26
	;;#ASMEND
	s_nop 0
	;;#ASMSTART
	v_dot2_f32_f16 v26, v1, v51, v26
	;;#ASMEND
	s_nop 0
	;;#ASMSTART
	v_dot2_f32_f16 v26, v2, v52, v26
	;;#ASMEND
	s_nop 0
	;;#ASMSTART
	v_dot2_f32_f16 v26, v3, v53, v26
	;;#ASMEND
	ds_read_b128 v[0:3], v33 offset:16
	ds_read_b128 v[46:49], v34 offset:272
	ds_read_b128 v[50:53], v34 offset:784
	s_waitcnt lgkmcnt(1)
	;;#ASMSTART
	v_dot2_f32_f16 v27, v0, v46, v27
	;;#ASMEND
	s_nop 0
	;;#ASMSTART
	v_dot2_f32_f16 v27, v1, v47, v27
	;;#ASMEND
	s_nop 0
	;;#ASMSTART
	v_dot2_f32_f16 v27, v2, v48, v27
	;;#ASMEND
	s_nop 0
	;;#ASMSTART
	v_dot2_f32_f16 v27, v3, v49, v27
	;;#ASMEND
	s_waitcnt lgkmcnt(0)
	;;#ASMSTART
	v_dot2_f32_f16 v26, v0, v50, v26
	;;#ASMEND
	s_nop 0
	;;#ASMSTART
	v_dot2_f32_f16 v26, v1, v51, v26
	;;#ASMEND
	s_nop 0
	;;#ASMSTART
	v_dot2_f32_f16 v26, v2, v52, v26
	;;#ASMEND
	s_nop 0
	;;#ASMSTART
	v_dot2_f32_f16 v26, v3, v53, v26
	;;#ASMEND
	ds_read_b128 v[0:3], v33 offset:32
	ds_read_b128 v[46:49], v34 offset:288
	ds_read_b128 v[50:53], v34 offset:800
	s_waitcnt lgkmcnt(1)
	;;#ASMSTART
	v_dot2_f32_f16 v27, v0, v46, v27
	;;#ASMEND
	s_nop 0
	;;#ASMSTART
	v_dot2_f32_f16 v27, v1, v47, v27
	;;#ASMEND
	s_nop 0
	;;#ASMSTART
	v_dot2_f32_f16 v27, v2, v48, v27
	;;#ASMEND
	s_nop 0
	;;#ASMSTART
	v_dot2_f32_f16 v27, v3, v49, v27
	;;#ASMEND
	s_waitcnt lgkmcnt(0)
	;;#ASMSTART
	v_dot2_f32_f16 v26, v0, v50, v26
	;;#ASMEND
	s_nop 0
	;;#ASMSTART
	v_dot2_f32_f16 v26, v1, v51, v26
	;;#ASMEND
	s_nop 0
	;;#ASMSTART
	v_dot2_f32_f16 v26, v2, v52, v26
	;;#ASMEND
	s_nop 0
	;;#ASMSTART
	v_dot2_f32_f16 v26, v3, v53, v26
	;;#ASMEND
	ds_read_b128 v[0:3], v33 offset:48
	ds_read_b128 v[46:49], v34 offset:304
	ds_read_b128 v[50:53], v34 offset:816
	s_waitcnt lgkmcnt(1)
	;;#ASMSTART
	v_dot2_f32_f16 v27, v0, v46, v27
	;;#ASMEND
	s_nop 0
	;;#ASMSTART
	v_dot2_f32_f16 v27, v1, v47, v27
	;;#ASMEND
	s_nop 0
	;;#ASMSTART
	v_dot2_f32_f16 v27, v2, v48, v27
	;;#ASMEND
	s_nop 0
	;;#ASMSTART
	v_dot2_f32_f16 v27, v3, v49, v27
	;;#ASMEND
	s_waitcnt lgkmcnt(0)
	;;#ASMSTART
	v_dot2_f32_f16 v26, v0, v50, v26
	;;#ASMEND
	s_nop 0
	;;#ASMSTART
	v_dot2_f32_f16 v26, v1, v51, v26
	;;#ASMEND
	s_nop 0
	;;#ASMSTART
	v_dot2_f32_f16 v26, v2, v52, v26
	;;#ASMEND
	s_nop 0
	;;#ASMSTART
	v_dot2_f32_f16 v26, v3, v53, v26
	;;#ASMEND
	ds_read_b128 v[0:3], v33 offset:64
	ds_read_b128 v[46:49], v34 offset:320
	ds_read_b128 v[50:53], v34 offset:832
	s_waitcnt lgkmcnt(1)
	;;#ASMSTART
	v_dot2_f32_f16 v27, v0, v46, v27
	;;#ASMEND
	s_nop 0
	;;#ASMSTART
	v_dot2_f32_f16 v27, v1, v47, v27
	;;#ASMEND
	s_nop 0
	;;#ASMSTART
	v_dot2_f32_f16 v27, v2, v48, v27
	;;#ASMEND
	s_nop 0
	;;#ASMSTART
	v_dot2_f32_f16 v27, v3, v49, v27
	;;#ASMEND
	s_waitcnt lgkmcnt(0)
	;;#ASMSTART
	v_dot2_f32_f16 v26, v0, v50, v26
	;;#ASMEND
	s_nop 0
	;;#ASMSTART
	v_dot2_f32_f16 v26, v1, v51, v26
	;;#ASMEND
	s_nop 0
	;;#ASMSTART
	v_dot2_f32_f16 v26, v2, v52, v26
	;;#ASMEND
	s_nop 0
	;;#ASMSTART
	v_dot2_f32_f16 v26, v3, v53, v26
	;;#ASMEND
	ds_read_b128 v[0:3], v33 offset:80
	ds_read_b128 v[46:49], v34 offset:336
	ds_read_b128 v[50:53], v34 offset:848
	s_waitcnt lgkmcnt(1)
	;;#ASMSTART
	v_dot2_f32_f16 v27, v0, v46, v27
	;;#ASMEND
	s_nop 0
	;;#ASMSTART
	v_dot2_f32_f16 v27, v1, v47, v27
	;;#ASMEND
	s_nop 0
	;;#ASMSTART
	v_dot2_f32_f16 v27, v2, v48, v27
	;;#ASMEND
	s_nop 0
	;;#ASMSTART
	v_dot2_f32_f16 v27, v3, v49, v27
	;;#ASMEND
	s_waitcnt lgkmcnt(0)
	;;#ASMSTART
	v_dot2_f32_f16 v26, v0, v50, v26
	;;#ASMEND
	s_nop 0
	;;#ASMSTART
	v_dot2_f32_f16 v26, v1, v51, v26
	;;#ASMEND
	s_nop 0
	;;#ASMSTART
	v_dot2_f32_f16 v26, v2, v52, v26
	;;#ASMEND
	s_nop 0
	;;#ASMSTART
	v_dot2_f32_f16 v26, v3, v53, v26
	;;#ASMEND
	ds_read_b128 v[0:3], v33 offset:96
	ds_read_b128 v[46:49], v34 offset:352
	ds_read_b128 v[50:53], v34 offset:864
	s_waitcnt lgkmcnt(1)
	;;#ASMSTART
	v_dot2_f32_f16 v27, v0, v46, v27
	;;#ASMEND
	s_nop 0
	;;#ASMSTART
	v_dot2_f32_f16 v27, v1, v47, v27
	;;#ASMEND
	s_nop 0
	;;#ASMSTART
	v_dot2_f32_f16 v27, v2, v48, v27
	;;#ASMEND
	s_nop 0
	;;#ASMSTART
	v_dot2_f32_f16 v27, v3, v49, v27
	;;#ASMEND
	s_waitcnt lgkmcnt(0)
	;;#ASMSTART
	v_dot2_f32_f16 v26, v0, v50, v26
	;;#ASMEND
	s_nop 0
	;;#ASMSTART
	v_dot2_f32_f16 v26, v1, v51, v26
	;;#ASMEND
	s_nop 0
	;;#ASMSTART
	v_dot2_f32_f16 v26, v2, v52, v26
	;;#ASMEND
	s_nop 0
	;;#ASMSTART
	v_dot2_f32_f16 v26, v3, v53, v26
	;;#ASMEND
	ds_read_b128 v[0:3], v33 offset:112
	ds_read_b128 v[46:49], v34 offset:368
	ds_read_b128 v[50:53], v34 offset:880
	s_waitcnt lgkmcnt(1)
	;;#ASMSTART
	v_dot2_f32_f16 v27, v0, v46, v27
	;;#ASMEND
	s_nop 0
	;;#ASMSTART
	v_dot2_f32_f16 v27, v1, v47, v27
	;;#ASMEND
	s_nop 0
	;;#ASMSTART
	v_dot2_f32_f16 v27, v2, v48, v27
	;;#ASMEND
	s_nop 0
	;;#ASMSTART
	v_dot2_f32_f16 v27, v3, v49, v27
	;;#ASMEND
	s_waitcnt lgkmcnt(0)
	;;#ASMSTART
	v_dot2_f32_f16 v26, v0, v50, v26
	;;#ASMEND
	s_nop 0
	;;#ASMSTART
	v_dot2_f32_f16 v26, v1, v51, v26
	;;#ASMEND
	s_nop 0
	;;#ASMSTART
	v_dot2_f32_f16 v26, v2, v52, v26
	;;#ASMEND
	s_nop 0
	;;#ASMSTART
	v_dot2_f32_f16 v26, v3, v53, v26
	;;#ASMEND
	ds_read_b128 v[0:3], v33 offset:128
	ds_read_b128 v[46:49], v34 offset:384
	ds_read_b128 v[50:53], v34 offset:896
	s_waitcnt lgkmcnt(1)
	;;#ASMSTART
	v_dot2_f32_f16 v27, v0, v46, v27
	;;#ASMEND
	s_nop 0
	;;#ASMSTART
	v_dot2_f32_f16 v27, v1, v47, v27
	;;#ASMEND
	s_nop 0
	;;#ASMSTART
	v_dot2_f32_f16 v27, v2, v48, v27
	;;#ASMEND
	s_nop 0
	;;#ASMSTART
	v_dot2_f32_f16 v27, v3, v49, v27
	;;#ASMEND
	s_waitcnt lgkmcnt(0)
	;;#ASMSTART
	v_dot2_f32_f16 v26, v0, v50, v26
	;;#ASMEND
	s_nop 0
	;;#ASMSTART
	v_dot2_f32_f16 v26, v1, v51, v26
	;;#ASMEND
	s_nop 0
	;;#ASMSTART
	v_dot2_f32_f16 v26, v2, v52, v26
	;;#ASMEND
	s_nop 0
	;;#ASMSTART
	v_dot2_f32_f16 v26, v3, v53, v26
	;;#ASMEND
	ds_read_b128 v[0:3], v33 offset:144
	ds_read_b128 v[46:49], v34 offset:400
	ds_read_b128 v[50:53], v34 offset:912
	s_waitcnt lgkmcnt(1)
	;;#ASMSTART
	v_dot2_f32_f16 v27, v0, v46, v27
	;;#ASMEND
	s_nop 0
	;;#ASMSTART
	v_dot2_f32_f16 v27, v1, v47, v27
	;;#ASMEND
	s_nop 0
	;;#ASMSTART
	v_dot2_f32_f16 v27, v2, v48, v27
	;;#ASMEND
	s_nop 0
	;;#ASMSTART
	v_dot2_f32_f16 v27, v3, v49, v27
	;;#ASMEND
	s_waitcnt lgkmcnt(0)
	;;#ASMSTART
	v_dot2_f32_f16 v26, v0, v50, v26
	;;#ASMEND
	s_nop 0
	;;#ASMSTART
	v_dot2_f32_f16 v26, v1, v51, v26
	;;#ASMEND
	s_nop 0
	;;#ASMSTART
	v_dot2_f32_f16 v26, v2, v52, v26
	;;#ASMEND
	s_nop 0
	;;#ASMSTART
	v_dot2_f32_f16 v26, v3, v53, v26
	;;#ASMEND
	ds_read_b128 v[0:3], v33 offset:160
	ds_read_b128 v[46:49], v34 offset:416
	ds_read_b128 v[50:53], v34 offset:928
	s_waitcnt lgkmcnt(1)
	;;#ASMSTART
	v_dot2_f32_f16 v27, v0, v46, v27
	;;#ASMEND
	s_nop 0
	;;#ASMSTART
	v_dot2_f32_f16 v27, v1, v47, v27
	;;#ASMEND
	s_nop 0
	;;#ASMSTART
	v_dot2_f32_f16 v27, v2, v48, v27
	;;#ASMEND
	s_nop 0
	;;#ASMSTART
	v_dot2_f32_f16 v27, v3, v49, v27
	;;#ASMEND
	s_waitcnt lgkmcnt(0)
	;;#ASMSTART
	v_dot2_f32_f16 v26, v0, v50, v26
	;;#ASMEND
	s_nop 0
	;;#ASMSTART
	v_dot2_f32_f16 v26, v1, v51, v26
	;;#ASMEND
	s_nop 0
	;;#ASMSTART
	v_dot2_f32_f16 v26, v2, v52, v26
	;;#ASMEND
	s_nop 0
	;;#ASMSTART
	v_dot2_f32_f16 v26, v3, v53, v26
	;;#ASMEND
	ds_read_b128 v[0:3], v33 offset:176
	ds_read_b128 v[46:49], v34 offset:432
	ds_read_b128 v[50:53], v34 offset:944
	s_waitcnt lgkmcnt(1)
	;;#ASMSTART
	v_dot2_f32_f16 v27, v0, v46, v27
	;;#ASMEND
	s_nop 0
	;;#ASMSTART
	v_dot2_f32_f16 v27, v1, v47, v27
	;;#ASMEND
	s_nop 0
	;;#ASMSTART
	v_dot2_f32_f16 v27, v2, v48, v27
	;;#ASMEND
	s_nop 0
	;;#ASMSTART
	v_dot2_f32_f16 v27, v3, v49, v27
	;;#ASMEND
	s_waitcnt lgkmcnt(0)
	;;#ASMSTART
	v_dot2_f32_f16 v26, v0, v50, v26
	;;#ASMEND
	s_nop 0
	;;#ASMSTART
	v_dot2_f32_f16 v26, v1, v51, v26
	;;#ASMEND
	s_nop 0
	;;#ASMSTART
	v_dot2_f32_f16 v26, v2, v52, v26
	;;#ASMEND
	s_nop 0
	;;#ASMSTART
	v_dot2_f32_f16 v26, v3, v53, v26
	;;#ASMEND
	ds_read_b128 v[0:3], v33 offset:192
	ds_read_b128 v[46:49], v34 offset:448
	ds_read_b128 v[50:53], v34 offset:960
	s_waitcnt lgkmcnt(1)
	;;#ASMSTART
	v_dot2_f32_f16 v27, v0, v46, v27
	;;#ASMEND
	s_nop 0
	;;#ASMSTART
	v_dot2_f32_f16 v27, v1, v47, v27
	;;#ASMEND
	s_nop 0
	;;#ASMSTART
	v_dot2_f32_f16 v27, v2, v48, v27
	;;#ASMEND
	s_nop 0
	;;#ASMSTART
	v_dot2_f32_f16 v27, v3, v49, v27
	;;#ASMEND
	s_waitcnt lgkmcnt(0)
	;;#ASMSTART
	v_dot2_f32_f16 v26, v0, v50, v26
	;;#ASMEND
	s_nop 0
	;;#ASMSTART
	v_dot2_f32_f16 v26, v1, v51, v26
	;;#ASMEND
	s_nop 0
	;;#ASMSTART
	v_dot2_f32_f16 v26, v2, v52, v26
	;;#ASMEND
	s_nop 0
	;;#ASMSTART
	v_dot2_f32_f16 v26, v3, v53, v26
	;;#ASMEND
	ds_read_b128 v[0:3], v33 offset:208
	ds_read_b128 v[46:49], v34 offset:464
	ds_read_b128 v[50:53], v34 offset:976
	s_waitcnt lgkmcnt(1)
	;;#ASMSTART
	v_dot2_f32_f16 v27, v0, v46, v27
	;;#ASMEND
	s_nop 0
	;;#ASMSTART
	v_dot2_f32_f16 v27, v1, v47, v27
	;;#ASMEND
	s_nop 0
	;;#ASMSTART
	v_dot2_f32_f16 v27, v2, v48, v27
	;;#ASMEND
	s_nop 0
	;;#ASMSTART
	v_dot2_f32_f16 v27, v3, v49, v27
	;;#ASMEND
	s_waitcnt lgkmcnt(0)
	;;#ASMSTART
	v_dot2_f32_f16 v26, v0, v50, v26
	;;#ASMEND
	s_nop 0
	;;#ASMSTART
	v_dot2_f32_f16 v26, v1, v51, v26
	;;#ASMEND
	s_nop 0
	;;#ASMSTART
	v_dot2_f32_f16 v26, v2, v52, v26
	;;#ASMEND
	s_nop 0
	;;#ASMSTART
	v_dot2_f32_f16 v26, v3, v53, v26
	;;#ASMEND
	ds_read_b128 v[0:3], v33 offset:224
	ds_read_b128 v[46:49], v34 offset:480
	ds_read_b128 v[50:53], v34 offset:992
	s_waitcnt lgkmcnt(1)
	;;#ASMSTART
	v_dot2_f32_f16 v27, v0, v46, v27
	;;#ASMEND
	s_nop 0
	;;#ASMSTART
	v_dot2_f32_f16 v27, v1, v47, v27
	;;#ASMEND
	s_nop 0
	;; [unrolled: 4-line block ×3, first 2 shown]
	;;#ASMSTART
	v_dot2_f32_f16 v27, v3, v49, v27
	;;#ASMEND
	s_waitcnt lgkmcnt(0)
	;;#ASMSTART
	v_dot2_f32_f16 v26, v0, v50, v26
	;;#ASMEND
	v_add_u32_e32 v50, s2, v18
	;;#ASMSTART
	v_dot2_f32_f16 v26, v1, v51, v26
	;;#ASMEND
	v_ashrrev_i32_e32 v51, 31, v50
	;;#ASMSTART
	v_dot2_f32_f16 v26, v2, v52, v26
	;;#ASMEND
	v_lshl_add_u64 v[54:55], v[50:51], 1, s[26:27]
	;;#ASMSTART
	v_dot2_f32_f16 v26, v3, v53, v26
	;;#ASMEND
	ds_read_b128 v[0:3], v33 offset:240
	ds_read_b128 v[46:49], v34 offset:496
	;; [unrolled: 1-line block ×3, first 2 shown]
	s_waitcnt lgkmcnt(1)
	;;#ASMSTART
	v_dot2_f32_f16 v27, v0, v46, v27
	;;#ASMEND
	s_nop 0
	;;#ASMSTART
	v_dot2_f32_f16 v27, v1, v47, v27
	;;#ASMEND
	s_nop 0
	;; [unrolled: 4-line block ×3, first 2 shown]
	;;#ASMSTART
	v_dot2_f32_f16 v27, v3, v49, v27
	;;#ASMEND
	s_waitcnt lgkmcnt(0)
	;;#ASMSTART
	v_dot2_f32_f16 v26, v0, v50, v26
	;;#ASMEND
                                        ; implicit-def: $vgpr0
	s_nop 0
	;;#ASMSTART
	v_dot2_f32_f16 v26, v1, v51, v26
	;;#ASMEND
	v_cmp_nlt_f32_e64 s[6:7], |v27|, s21
	;;#ASMSTART
	v_dot2_f32_f16 v26, v2, v52, v26
	;;#ASMEND
	s_nop 0
	;;#ASMSTART
	v_dot2_f32_f16 v26, v3, v53, v26
	;;#ASMEND
	global_load_ushort v53, v[54:55], off
	s_and_saveexec_b64 s[36:37], s[6:7]
	s_xor_b64 s[6:7], exec, s[36:37]
	s_cbranch_execz .LBB59_23
; %bb.22:                               ;   in Loop: Header=BB59_21 Depth=1
	v_add_f32_e64 v0, |v27|, |v27|
	v_mul_f32_e32 v1, 0x3fb8aa3b, v0
	v_rndne_f32_e32 v2, v1
	v_sub_f32_e32 v3, v1, v2
	v_fma_f32 v1, v0, s28, -v1
	v_fmac_f32_e32 v1, 0x32a5705f, v0
	v_add_f32_e32 v1, v3, v1
	v_cvt_i32_f32_e32 v2, v2
	v_exp_f32_e32 v1, v1
	v_cmp_ngt_f32_e32 vcc, s29, v0
	v_ldexp_f32 v1, v1, v2
	s_nop 0
	v_cndmask_b32_e32 v1, 0, v1, vcc
	v_cmp_nlt_f32_e32 vcc, s31, v0
	s_nop 1
	v_cndmask_b32_e32 v0, v39, v1, vcc
	v_add_f32_e32 v0, 1.0, v0
	v_rcp_f32_e32 v0, v0
	s_nop 0
	v_fma_f32 v0, v0, -2.0, 1.0
.LBB59_23:                              ;   in Loop: Header=BB59_21 Depth=1
	s_andn2_saveexec_b64 s[6:7], s[6:7]
; %bb.24:                               ;   in Loop: Header=BB59_21 Depth=1
	v_mul_f32_e32 v0, v27, v27
	v_fmamk_f32 v1, v0, 0xbbbac73d, v38
	v_fmaak_f32 v1, v0, v1, 0xbd5c1c4e
	v_fmaak_f32 v1, v0, v1, 0x3e088382
	;; [unrolled: 1-line block ×3, first 2 shown]
	v_mul_f32_e64 v1, |v27|, v1
	v_fma_f32 v0, v0, v1, |v27|
; %bb.25:                               ;   in Loop: Header=BB59_21 Depth=1
	s_or_b64 exec, exec, s[6:7]
	v_and_b32_e32 v1, 0x60, v19
	v_add_u32_e32 v46, 32, v1
	v_xor_b32_e32 v47, 16, v19
	v_cmp_lt_i32_e32 vcc, v47, v46
	v_bfi_b32 v0, s33, v0, v27
	s_waitcnt vmcnt(0)
	v_fma_mix_f32 v0, s10, v0, v53 op_sel_hi:[0,0,1]
	v_cndmask_b32_e32 v1, v19, v47, vcc
	v_lshlrev_b32_e32 v54, 2, v1
	v_add_f32_e32 v1, 0x40051340, v0
	v_max_f32_e32 v2, v45, v45
	v_max_f32_e32 v1, v2, v1
	ds_bpermute_b32 v2, v54, v1
	v_xor_b32_e32 v48, 8, v19
	v_cmp_lt_i32_e32 vcc, v48, v46
	v_xor_b32_e32 v49, 4, v19
	v_xor_b32_e32 v50, 2, v19
	v_cndmask_b32_e32 v3, v19, v48, vcc
	s_waitcnt lgkmcnt(0)
	v_max_f32_e32 v2, v2, v2
	v_lshlrev_b32_e32 v52, 2, v3
	v_max_f32_e32 v1, v1, v2
	ds_bpermute_b32 v2, v52, v1
	v_cmp_lt_i32_e32 vcc, v49, v46
	v_xor_b32_e32 v51, 1, v19
	v_cmp_nlt_f32_e64 s[6:7], |v26|, s21
	v_cndmask_b32_e32 v3, v19, v49, vcc
	s_waitcnt lgkmcnt(0)
	v_max_f32_e32 v2, v2, v2
	v_lshlrev_b32_e32 v27, 2, v3
	v_max_f32_e32 v1, v1, v2
	ds_bpermute_b32 v3, v27, v1
	v_cmp_lt_i32_e32 vcc, v50, v46
                                        ; implicit-def: $vgpr56
	s_waitcnt lgkmcnt(0)
	v_max_f32_e32 v3, v3, v3
	v_cndmask_b32_e32 v2, v19, v50, vcc
	v_lshlrev_b32_e32 v2, 2, v2
	v_max_f32_e32 v3, v1, v3
	ds_bpermute_b32 v55, v2, v3
	v_cmp_lt_i32_e32 vcc, v51, v46
	s_waitcnt lgkmcnt(0)
	v_max_f32_e32 v55, v55, v55
	v_cndmask_b32_e32 v1, v19, v51, vcc
	v_lshlrev_b32_e32 v1, 2, v1
	v_max_f32_e32 v3, v3, v55
	ds_bpermute_b32 v55, v1, v3
	s_and_saveexec_b64 s[36:37], s[6:7]
	s_xor_b64 s[6:7], exec, s[36:37]
	s_cbranch_execz .LBB59_27
; %bb.26:                               ;   in Loop: Header=BB59_21 Depth=1
	v_add_f32_e64 v56, |v26|, |v26|
	v_mul_f32_e32 v57, 0x3fb8aa3b, v56
	v_rndne_f32_e32 v58, v57
	v_sub_f32_e32 v59, v57, v58
	v_fma_f32 v57, v56, s28, -v57
	v_fmac_f32_e32 v57, 0x32a5705f, v56
	v_add_f32_e32 v57, v59, v57
	v_cvt_i32_f32_e32 v58, v58
	v_exp_f32_e32 v57, v57
	v_cmp_ngt_f32_e32 vcc, s29, v56
	v_ldexp_f32 v57, v57, v58
	s_nop 0
	v_cndmask_b32_e32 v57, 0, v57, vcc
	v_cmp_nlt_f32_e32 vcc, s31, v56
	s_nop 1
	v_cndmask_b32_e32 v56, v39, v57, vcc
	v_add_f32_e32 v56, 1.0, v56
	v_rcp_f32_e32 v56, v56
	s_nop 0
	v_fma_f32 v56, v56, -2.0, 1.0
.LBB59_27:                              ;   in Loop: Header=BB59_21 Depth=1
	s_andn2_saveexec_b64 s[6:7], s[6:7]
; %bb.28:                               ;   in Loop: Header=BB59_21 Depth=1
	v_mul_f32_e32 v56, v26, v26
	v_fmamk_f32 v57, v56, 0xbbbac73d, v38
	v_fmaak_f32 v57, v56, v57, 0xbd5c1c4e
	v_fmaak_f32 v57, v56, v57, 0x3e088382
	;; [unrolled: 1-line block ×3, first 2 shown]
	v_mul_f32_e64 v57, |v26|, v57
	v_fma_f32 v56, v56, v57, |v26|
; %bb.29:                               ;   in Loop: Header=BB59_21 Depth=1
	s_or_b64 exec, exec, s[6:7]
	v_cvt_f32_f16_e32 v62, v53
	v_bfi_b32 v26, s33, v56, v26
	v_max_f32_e32 v53, v4, v4
	s_waitcnt lgkmcnt(0)
	v_max_f32_e32 v63, v55, v55
	v_fmac_f32_e32 v62, s10, v26
	v_add_f32_e32 v26, 0x40051340, v62
	v_max_f32_e32 v26, v53, v26
	ds_bpermute_b32 v53, v54, v26
	s_mul_hi_i32 s7, s2, s11
	s_mul_i32 s6, s2, s11
	s_lshl_b64 s[6:7], s[6:7], 2
	s_add_u32 s6, s8, s6
	s_waitcnt lgkmcnt(0)
	v_max_f32_e32 v53, v53, v53
	v_max_f32_e32 v26, v26, v53
	ds_bpermute_b32 v52, v52, v26
	s_addc_u32 s7, s9, s7
	s_waitcnt lgkmcnt(0)
	s_barrier
	v_max_f32_e32 v52, v52, v52
	v_max_f32_e32 v54, v26, v52
	ds_bpermute_b32 v55, v27, v54
	v_lshl_add_u64 v[26:27], s[6:7], 0, v[22:23]
	v_lshl_add_u64 v[52:53], s[6:7], 0, v[24:25]
	;; [unrolled: 1-line block ×4, first 2 shown]
	s_waitcnt lgkmcnt(0)
	v_max_f32_e32 v52, v55, v55
	v_max_f32_e32 v64, v54, v52
	global_load_dwordx4 v[52:55], v[26:27], off
	global_load_dwordx4 v[56:59], v[60:61], off
	ds_bpermute_b32 v2, v2, v64
	v_max_f32_e32 v3, v3, v3
	v_max_f32_e32 v26, v3, v63
	v_sub_f32_e32 v3, v45, v26
	v_mul_f32_e32 v27, 0x3fb8aa3b, v3
	s_waitcnt lgkmcnt(0)
	v_max_f32_e32 v2, v2, v2
	v_max_f32_e32 v2, v64, v2
	ds_bpermute_b32 v1, v1, v2
	v_fma_f32 v45, v3, s28, -v27
	v_rndne_f32_e32 v60, v27
	v_fmac_f32_e32 v45, 0x32a5705f, v3
	v_sub_f32_e32 v27, v27, v60
	v_add_f32_e32 v27, v27, v45
	v_exp_f32_e32 v45, v27
	v_cvt_i32_f32_e32 v60, v60
	s_waitcnt lgkmcnt(0)
	v_max_f32_e32 v1, v1, v1
	v_max_f32_e32 v27, v2, v1
	v_sub_f32_e32 v2, v0, v26
	v_mul_f32_e32 v0, 0x3fb8aa3b, v2
	v_ldexp_f32 v1, v45, v60
	v_fma_f32 v45, v2, s28, -v0
	v_rndne_f32_e32 v60, v0
	v_fmac_f32_e32 v45, 0x32a5705f, v2
	v_sub_f32_e32 v0, v0, v60
	v_add_f32_e32 v0, v0, v45
	v_exp_f32_e32 v45, v0
	v_cvt_i32_f32_e32 v60, v60
	v_cmp_ngt_f32_e32 vcc, s29, v3
	v_add_u32_e32 v90, 0x800, v30
	s_or_b32 s6, s2, 16
	v_cndmask_b32_e32 v0, 0, v1, vcc
	v_cmp_nlt_f32_e32 vcc, s31, v3
	v_ldexp_f32 v1, v45, v60
	s_mul_hi_i32 s7, s6, s11
	v_cndmask_b32_e32 v0, v39, v0, vcc
	v_cvt_f16_f32_e32 v3, v0
	v_cmp_ngt_f32_e32 vcc, s29, v2
	s_mul_i32 s6, s6, s11
	s_lshl_b64 s[6:7], s[6:7], 2
	v_cndmask_b32_e32 v1, 0, v1, vcc
	v_cmp_nlt_f32_e32 vcc, s31, v2
	v_mul_u32_u24_e32 v60, 0x10001, v3
	v_pk_mul_f16 v64, v42, v60
	v_cndmask_b32_e32 v2, v39, v1, vcc
	v_sub_f32_e32 v1, v4, v27
	v_mul_f32_e32 v3, 0x3fb8aa3b, v1
	v_fma_f32 v4, v1, s28, -v3
	v_rndne_f32_e32 v45, v3
	v_fmac_f32_e32 v4, 0x32a5705f, v1
	v_sub_f32_e32 v3, v3, v45
	v_add_f32_e32 v3, v3, v4
	v_exp_f32_e32 v3, v3
	v_cvt_i32_f32_e32 v4, v45
	v_pk_mul_f16 v61, v44, v60
	v_pk_mul_f16 v63, v43, v60
	v_cmp_ngt_f32_e32 vcc, s29, v1
	v_ldexp_f32 v3, v3, v4
	v_sub_f32_e32 v4, v62, v27
	v_mul_f32_e32 v42, 0x3fb8aa3b, v4
	v_fma_f32 v43, v4, s28, -v42
	v_rndne_f32_e32 v44, v42
	v_fmac_f32_e32 v43, 0x32a5705f, v4
	v_sub_f32_e32 v42, v42, v44
	v_add_f32_e32 v42, v42, v43
	v_exp_f32_e32 v42, v42
	v_cvt_i32_f32_e32 v43, v44
	v_cndmask_b32_e32 v3, 0, v3, vcc
	v_cmp_nlt_f32_e32 vcc, s31, v1
	s_add_u32 s6, s8, s6
	s_addc_u32 s7, s9, s7
	v_cndmask_b32_e32 v1, v39, v3, vcc
	v_ldexp_f32 v3, v42, v43
	v_cvt_f16_f32_e32 v42, v1
	v_cmp_ngt_f32_e32 vcc, s29, v4
	v_add_u32_e32 v97, 0x1000, v30
	v_add_u32_e32 v101, 0x1800, v30
	v_cndmask_b32_e32 v3, 0, v3, vcc
	v_cmp_nlt_f32_e32 vcc, s31, v4
	v_mul_u32_u24_e32 v62, 0x10001, v42
	v_pk_mul_f16 v65, v7, v62
	v_cndmask_b32_e32 v3, v39, v3, vcc
	v_pk_fma_f32 v[10:11], v[10:11], v[0:1], v[2:3]
	v_add_u32_e32 v0, v35, v29
	v_cvt_pk_f16_f32 v1, v2, v3
	v_pk_mul_f16 v66, v6, v62
	v_pk_mul_f16 v67, v5, v62
	ds_write_b32 v0, v1
	s_waitcnt vmcnt(1)
	ds_write_b128 v36, v[52:55]
	s_waitcnt vmcnt(0)
	ds_write_b128 v37, v[56:59]
	s_waitcnt lgkmcnt(0)
	s_barrier
	ds_read_b128 v[42:45], v35
	ds_read2_b64 v[52:55], v30 offset1:32
	ds_read_b128 v[56:59], v35 offset:16
	ds_read_b128 v[4:7], v35 offset:32
	;; [unrolled: 1-line block ×3, first 2 shown]
	s_waitcnt lgkmcnt(4)
	v_mul_u32_u24_sdwa v68, v42, s34 dst_sel:DWORD dst_unused:UNUSED_PAD src0_sel:WORD_0 src1_sel:DWORD
	v_mul_u32_u24_sdwa v42, v42, s34 dst_sel:DWORD dst_unused:UNUSED_PAD src0_sel:WORD_1 src1_sel:DWORD
	s_waitcnt lgkmcnt(3)
	v_pk_mul_f16 v69, v52, v68
	v_pk_mul_f16 v52, v52, v42
	v_pk_fma_f16 v41, v41, v60, v69
	v_pk_fma_f16 v40, v40, v62, v52
	;; [unrolled: 1-line block ×5, first 2 shown]
	ds_read2_b64 v[60:63], v30 offset0:64 offset1:96
	v_pk_fma_f16 v54, v54, v42, v66
	v_pk_fma_f16 v64, v55, v68, v64
	;; [unrolled: 1-line block ×3, first 2 shown]
	v_mul_u32_u24_sdwa v66, v43, s34 dst_sel:DWORD dst_unused:UNUSED_PAD src0_sel:WORD_0 src1_sel:DWORD
	v_mul_u32_u24_sdwa v67, v43, s34 dst_sel:DWORD dst_unused:UNUSED_PAD src0_sel:WORD_1 src1_sel:DWORD
	s_waitcnt lgkmcnt(0)
	v_pk_fma_f16 v68, v60, v66, v41
	v_pk_fma_f16 v60, v60, v67, v40
	ds_read2_b64 v[40:43], v30 offset0:128 offset1:160
	v_pk_fma_f16 v52, v61, v66, v52
	v_pk_fma_f16 v53, v61, v67, v53
	;; [unrolled: 1-line block ×5, first 2 shown]
	v_mul_u32_u24_sdwa v64, v44, s34 dst_sel:DWORD dst_unused:UNUSED_PAD src0_sel:WORD_0 src1_sel:DWORD
	v_mul_u32_u24_sdwa v44, v44, s34 dst_sel:DWORD dst_unused:UNUSED_PAD src0_sel:WORD_1 src1_sel:DWORD
	v_pk_fma_f16 v63, v63, v67, v55
	s_waitcnt lgkmcnt(0)
	v_pk_fma_f16 v65, v40, v64, v68
	v_pk_fma_f16 v40, v40, v44, v60
	;; [unrolled: 1-line block ×6, first 2 shown]
	ds_read2_b64 v[52:55], v30 offset0:192 offset1:224
	v_pk_fma_f16 v44, v43, v44, v63
	v_mul_u32_u24_sdwa v63, v45, s34 dst_sel:DWORD dst_unused:UNUSED_PAD src0_sel:WORD_0 src1_sel:DWORD
	v_mul_u32_u24_sdwa v45, v45, s34 dst_sel:DWORD dst_unused:UNUSED_PAD src0_sel:WORD_1 src1_sel:DWORD
	v_pk_fma_f16 v62, v43, v64, v62
	s_waitcnt lgkmcnt(0)
	v_pk_fma_f16 v64, v52, v63, v65
	v_pk_fma_f16 v52, v52, v45, v40
	;; [unrolled: 1-line block ×6, first 2 shown]
	ds_read2_b64 v[40:43], v90 offset1:32
	v_pk_fma_f16 v44, v55, v45, v44
	v_mul_u32_u24_sdwa v45, v56, s34 dst_sel:DWORD dst_unused:UNUSED_PAD src0_sel:WORD_0 src1_sel:DWORD
	v_mul_u32_u24_sdwa v56, v56, s34 dst_sel:DWORD dst_unused:UNUSED_PAD src0_sel:WORD_1 src1_sel:DWORD
	v_pk_fma_f16 v62, v55, v63, v62
	s_waitcnt lgkmcnt(0)
	v_pk_fma_f16 v63, v40, v45, v64
	v_pk_fma_f16 v40, v40, v56, v52
	v_pk_fma_f16 v60, v41, v45, v60
	v_pk_fma_f16 v41, v41, v56, v53
	v_pk_fma_f16 v61, v42, v45, v61
	v_pk_fma_f16 v42, v42, v56, v54
	ds_read2_b64 v[52:55], v90 offset0:64 offset1:96
	v_pk_fma_f16 v44, v43, v56, v44
	v_mul_u32_u24_sdwa v56, v57, s34 dst_sel:DWORD dst_unused:UNUSED_PAD src0_sel:WORD_0 src1_sel:DWORD
	v_mul_u32_u24_sdwa v57, v57, s34 dst_sel:DWORD dst_unused:UNUSED_PAD src0_sel:WORD_1 src1_sel:DWORD
	v_pk_fma_f16 v45, v43, v45, v62
	s_waitcnt lgkmcnt(0)
	v_pk_fma_f16 v62, v52, v56, v63
	v_pk_fma_f16 v52, v52, v57, v40
	;; [unrolled: 1-line block ×6, first 2 shown]
	ds_read2_b64 v[40:43], v90 offset0:128 offset1:160
	v_pk_fma_f16 v45, v55, v56, v45
	v_pk_fma_f16 v44, v55, v57, v44
	v_mul_u32_u24_sdwa v56, v58, s34 dst_sel:DWORD dst_unused:UNUSED_PAD src0_sel:WORD_0 src1_sel:DWORD
	v_mul_u32_u24_sdwa v57, v58, s34 dst_sel:DWORD dst_unused:UNUSED_PAD src0_sel:WORD_1 src1_sel:DWORD
	s_waitcnt lgkmcnt(0)
	v_pk_fma_f16 v58, v40, v56, v62
	v_pk_fma_f16 v40, v40, v57, v52
	;; [unrolled: 1-line block ×6, first 2 shown]
	ds_read2_b64 v[52:55], v90 offset0:192 offset1:224
	v_pk_fma_f16 v45, v43, v56, v45
	v_pk_fma_f16 v44, v43, v57, v44
	v_mul_u32_u24_sdwa v56, v59, s34 dst_sel:DWORD dst_unused:UNUSED_PAD src0_sel:WORD_0 src1_sel:DWORD
	v_mul_u32_u24_sdwa v57, v59, s34 dst_sel:DWORD dst_unused:UNUSED_PAD src0_sel:WORD_1 src1_sel:DWORD
	s_waitcnt lgkmcnt(0)
	v_pk_fma_f16 v98, v55, v56, v45
	v_pk_fma_f16 v99, v55, v57, v44
	v_lshl_add_u64 v[44:45], s[6:7], 0, v[22:23]
	v_lshl_add_u64 v[44:45], v[44:45], 0, v[12:13]
	;; [unrolled: 1-line block ×3, first 2 shown]
	v_pk_fma_f16 v91, v52, v56, v58
	v_pk_fma_f16 v92, v52, v57, v40
	v_pk_fma_f16 v93, v53, v56, v60
	v_pk_fma_f16 v94, v53, v57, v41
	v_pk_fma_f16 v95, v54, v56, v61
	v_pk_fma_f16 v96, v54, v57, v42
	ds_read2_b64 v[40:43], v97 offset1:32
	ds_read2_b64 v[52:55], v97 offset0:64 offset1:96
	ds_read2_b64 v[56:59], v97 offset0:128 offset1:160
	;; [unrolled: 1-line block ×3, first 2 shown]
	ds_read2_b64 v[64:67], v101 offset1:32
	ds_read2_b64 v[68:71], v101 offset0:64 offset1:96
	ds_read2_b64 v[72:75], v101 offset0:128 offset1:160
	;; [unrolled: 1-line block ×3, first 2 shown]
	s_waitcnt lgkmcnt(0)
	s_barrier
	v_lshl_add_u64 v[88:89], v[80:81], 0, v[12:13]
	global_load_dwordx4 v[80:83], v[44:45], off
	global_load_dwordx4 v[84:87], v[88:89], off
	v_mul_u32_u24_sdwa v100, v4, s34 dst_sel:DWORD dst_unused:UNUSED_PAD src0_sel:WORD_0 src1_sel:DWORD
	v_mul_u32_u24_sdwa v4, v4, s34 dst_sel:DWORD dst_unused:UNUSED_PAD src0_sel:WORD_1 src1_sel:DWORD
	v_pk_fma_f16 v44, v40, v100, v91
	v_pk_fma_f16 v40, v40, v4, v92
	v_pk_fma_f16 v45, v41, v100, v93
	v_pk_fma_f16 v41, v41, v4, v94
	v_pk_fma_f16 v88, v42, v100, v95
	v_pk_fma_f16 v42, v42, v4, v96
	v_pk_fma_f16 v89, v43, v100, v98
	v_pk_fma_f16 v4, v43, v4, v99
	v_mul_u32_u24_sdwa v43, v5, s34 dst_sel:DWORD dst_unused:UNUSED_PAD src0_sel:WORD_0 src1_sel:DWORD
	v_mul_u32_u24_sdwa v5, v5, s34 dst_sel:DWORD dst_unused:UNUSED_PAD src0_sel:WORD_1 src1_sel:DWORD
	v_pk_fma_f16 v44, v52, v43, v44
	v_pk_fma_f16 v40, v52, v5, v40
	v_pk_fma_f16 v45, v53, v43, v45
	v_pk_fma_f16 v41, v53, v5, v41
	v_pk_fma_f16 v52, v54, v43, v88
	v_pk_fma_f16 v42, v54, v5, v42
	v_pk_fma_f16 v43, v55, v43, v89
	v_pk_fma_f16 v4, v55, v5, v4
	;; [unrolled: 10-line block ×8, first 2 shown]
	s_waitcnt vmcnt(1)
	ds_write_b128 v36, v[80:83]
	s_waitcnt vmcnt(0)
	ds_write_b128 v37, v[84:87]
	s_waitcnt lgkmcnt(0)
	s_barrier
	ds_read_b128 v[0:3], v35 offset:64
	ds_read2_b64 v[4:7], v30 offset1:32
	ds_read_b128 v[40:43], v35 offset:80
	ds_read_b128 v[52:55], v35 offset:96
	;; [unrolled: 1-line block ×3, first 2 shown]
	s_waitcnt lgkmcnt(4)
	v_mul_u32_u24_sdwa v66, v0, s34 dst_sel:DWORD dst_unused:UNUSED_PAD src0_sel:WORD_0 src1_sel:DWORD
	v_mul_u32_u24_sdwa v0, v0, s34 dst_sel:DWORD dst_unused:UNUSED_PAD src0_sel:WORD_1 src1_sel:DWORD
	s_waitcnt lgkmcnt(3)
	v_pk_fma_f16 v44, v4, v66, v44
	v_pk_fma_f16 v4, v4, v0, v45
	;; [unrolled: 1-line block ×6, first 2 shown]
	ds_read2_b64 v[60:63], v30 offset0:64 offset1:96
	v_pk_fma_f16 v0, v7, v0, v65
	v_mul_u32_u24_sdwa v65, v1, s34 dst_sel:DWORD dst_unused:UNUSED_PAD src0_sel:WORD_0 src1_sel:DWORD
	v_mul_u32_u24_sdwa v1, v1, s34 dst_sel:DWORD dst_unused:UNUSED_PAD src0_sel:WORD_1 src1_sel:DWORD
	v_pk_fma_f16 v64, v7, v66, v64
	s_waitcnt lgkmcnt(0)
	v_pk_fma_f16 v44, v60, v65, v44
	v_pk_fma_f16 v60, v60, v1, v4
	;; [unrolled: 1-line block ×6, first 2 shown]
	ds_read2_b64 v[4:7], v30 offset0:128 offset1:160
	v_pk_fma_f16 v0, v63, v1, v0
	v_mul_u32_u24_sdwa v1, v2, s34 dst_sel:DWORD dst_unused:UNUSED_PAD src0_sel:WORD_0 src1_sel:DWORD
	v_mul_u32_u24_sdwa v2, v2, s34 dst_sel:DWORD dst_unused:UNUSED_PAD src0_sel:WORD_1 src1_sel:DWORD
	v_pk_fma_f16 v64, v63, v65, v64
	s_waitcnt lgkmcnt(0)
	v_pk_fma_f16 v44, v4, v1, v44
	v_pk_fma_f16 v4, v4, v2, v60
	;; [unrolled: 1-line block ×6, first 2 shown]
	ds_read2_b64 v[60:63], v30 offset0:192 offset1:224
	v_pk_fma_f16 v64, v7, v1, v64
	v_pk_fma_f16 v7, v7, v2, v0
	v_mul_u32_u24_sdwa v66, v3, s34 dst_sel:DWORD dst_unused:UNUSED_PAD src0_sel:WORD_0 src1_sel:DWORD
	v_mul_u32_u24_sdwa v67, v3, s34 dst_sel:DWORD dst_unused:UNUSED_PAD src0_sel:WORD_1 src1_sel:DWORD
	ds_read2_b64 v[0:3], v90 offset1:32
	s_waitcnt lgkmcnt(1)
	v_pk_fma_f16 v44, v60, v66, v44
	v_pk_fma_f16 v4, v60, v67, v4
	;; [unrolled: 1-line block ×8, first 2 shown]
	v_mul_u32_u24_sdwa v63, v40, s34 dst_sel:DWORD dst_unused:UNUSED_PAD src0_sel:WORD_0 src1_sel:DWORD
	v_mul_u32_u24_sdwa v40, v40, s34 dst_sel:DWORD dst_unused:UNUSED_PAD src0_sel:WORD_1 src1_sel:DWORD
	s_waitcnt lgkmcnt(0)
	v_pk_fma_f16 v44, v0, v63, v44
	v_pk_fma_f16 v0, v0, v40, v4
	v_pk_fma_f16 v45, v1, v63, v45
	v_pk_fma_f16 v1, v1, v40, v5
	v_pk_fma_f16 v60, v2, v63, v60
	v_pk_fma_f16 v2, v2, v40, v6
	ds_read2_b64 v[4:7], v90 offset0:64 offset1:96
	v_pk_fma_f16 v40, v3, v40, v62
	v_mul_u32_u24_sdwa v62, v41, s34 dst_sel:DWORD dst_unused:UNUSED_PAD src0_sel:WORD_0 src1_sel:DWORD
	v_mul_u32_u24_sdwa v41, v41, s34 dst_sel:DWORD dst_unused:UNUSED_PAD src0_sel:WORD_1 src1_sel:DWORD
	v_pk_fma_f16 v61, v3, v63, v61
	s_waitcnt lgkmcnt(0)
	v_pk_fma_f16 v44, v4, v62, v44
	v_pk_fma_f16 v4, v4, v41, v0
	v_pk_fma_f16 v45, v5, v62, v45
	v_pk_fma_f16 v5, v5, v41, v1
	v_pk_fma_f16 v60, v6, v62, v60
	v_pk_fma_f16 v6, v6, v41, v2
	ds_read2_b64 v[0:3], v90 offset0:128 offset1:160
	v_pk_fma_f16 v40, v7, v41, v40
	v_mul_u32_u24_sdwa v41, v42, s34 dst_sel:DWORD dst_unused:UNUSED_PAD src0_sel:WORD_0 src1_sel:DWORD
	v_mul_u32_u24_sdwa v42, v42, s34 dst_sel:DWORD dst_unused:UNUSED_PAD src0_sel:WORD_1 src1_sel:DWORD
	v_pk_fma_f16 v61, v7, v62, v61
	;; [unrolled: 12-line block ×3, first 2 shown]
	s_waitcnt lgkmcnt(0)
	v_pk_fma_f16 v44, v4, v42, v44
	v_pk_fma_f16 v4, v4, v43, v0
	;; [unrolled: 1-line block ×6, first 2 shown]
	ds_read2_b64 v[0:3], v97 offset1:32
	v_pk_fma_f16 v41, v7, v42, v41
	v_pk_fma_f16 v40, v7, v43, v40
	v_mul_u32_u24_sdwa v42, v52, s34 dst_sel:DWORD dst_unused:UNUSED_PAD src0_sel:WORD_0 src1_sel:DWORD
	v_mul_u32_u24_sdwa v43, v52, s34 dst_sel:DWORD dst_unused:UNUSED_PAD src0_sel:WORD_1 src1_sel:DWORD
	s_waitcnt lgkmcnt(0)
	v_pk_fma_f16 v44, v0, v42, v44
	v_pk_fma_f16 v0, v0, v43, v4
	v_pk_fma_f16 v45, v1, v42, v45
	v_pk_fma_f16 v1, v1, v43, v5
	v_pk_fma_f16 v52, v2, v42, v60
	v_pk_fma_f16 v2, v2, v43, v6
	ds_read2_b64 v[4:7], v97 offset0:64 offset1:96
	v_pk_fma_f16 v41, v3, v42, v41
	v_pk_fma_f16 v40, v3, v43, v40
	v_mul_u32_u24_sdwa v42, v53, s34 dst_sel:DWORD dst_unused:UNUSED_PAD src0_sel:WORD_0 src1_sel:DWORD
	v_mul_u32_u24_sdwa v43, v53, s34 dst_sel:DWORD dst_unused:UNUSED_PAD src0_sel:WORD_1 src1_sel:DWORD
	s_waitcnt lgkmcnt(0)
	v_pk_fma_f16 v44, v4, v42, v44
	v_pk_fma_f16 v4, v4, v43, v0
	v_pk_fma_f16 v45, v5, v42, v45
	v_pk_fma_f16 v5, v5, v43, v1
	v_pk_fma_f16 v52, v6, v42, v52
	v_pk_fma_f16 v6, v6, v43, v2
	ds_read2_b64 v[0:3], v97 offset0:128 offset1:160
	;; [unrolled: 12-line block ×3, first 2 shown]
	v_pk_fma_f16 v41, v3, v42, v41
	v_pk_fma_f16 v40, v3, v43, v40
	v_mul_u32_u24_sdwa v42, v55, s34 dst_sel:DWORD dst_unused:UNUSED_PAD src0_sel:WORD_0 src1_sel:DWORD
	v_mul_u32_u24_sdwa v43, v55, s34 dst_sel:DWORD dst_unused:UNUSED_PAD src0_sel:WORD_1 src1_sel:DWORD
	s_waitcnt lgkmcnt(0)
	v_pk_fma_f16 v44, v4, v42, v44
	v_pk_fma_f16 v4, v4, v43, v0
	;; [unrolled: 1-line block ×6, first 2 shown]
	ds_read2_b64 v[0:3], v101 offset1:32
	v_pk_fma_f16 v41, v7, v42, v41
	v_pk_fma_f16 v40, v7, v43, v40
	v_mul_u32_u24_sdwa v42, v56, s34 dst_sel:DWORD dst_unused:UNUSED_PAD src0_sel:WORD_0 src1_sel:DWORD
	v_mul_u32_u24_sdwa v43, v56, s34 dst_sel:DWORD dst_unused:UNUSED_PAD src0_sel:WORD_1 src1_sel:DWORD
	s_waitcnt lgkmcnt(0)
	v_pk_fma_f16 v44, v0, v42, v44
	v_pk_fma_f16 v0, v0, v43, v4
	;; [unrolled: 1-line block ×6, first 2 shown]
	ds_read2_b64 v[4:7], v101 offset0:64 offset1:96
	v_pk_fma_f16 v41, v3, v42, v41
	v_pk_fma_f16 v40, v3, v43, v40
	v_mul_u32_u24_sdwa v42, v57, s34 dst_sel:DWORD dst_unused:UNUSED_PAD src0_sel:WORD_0 src1_sel:DWORD
	v_mul_u32_u24_sdwa v43, v57, s34 dst_sel:DWORD dst_unused:UNUSED_PAD src0_sel:WORD_1 src1_sel:DWORD
	s_waitcnt lgkmcnt(0)
	v_pk_fma_f16 v44, v4, v42, v44
	v_pk_fma_f16 v4, v4, v43, v0
	;; [unrolled: 1-line block ×6, first 2 shown]
	ds_read2_b64 v[0:3], v101 offset0:128 offset1:160
	v_pk_fma_f16 v41, v7, v42, v41
	v_pk_fma_f16 v7, v7, v43, v40
	v_mul_u32_u24_sdwa v40, v58, s34 dst_sel:DWORD dst_unused:UNUSED_PAD src0_sel:WORD_0 src1_sel:DWORD
	v_mul_u32_u24_sdwa v42, v58, s34 dst_sel:DWORD dst_unused:UNUSED_PAD src0_sel:WORD_1 src1_sel:DWORD
	s_waitcnt lgkmcnt(0)
	v_pk_fma_f16 v43, v0, v40, v44
	v_pk_fma_f16 v0, v0, v42, v4
	;; [unrolled: 1-line block ×5, first 2 shown]
	ds_read2_b64 v[52:55], v101 offset0:192 offset1:224
	s_waitcnt lgkmcnt(0)
	s_barrier
	s_load_dword s6, s[4:5], 0x4
	v_pk_fma_f16 v2, v2, v42, v6
	v_pk_fma_f16 v45, v3, v40, v41
	v_pk_fma_f16 v3, v3, v42, v7
	v_mul_u32_u24_sdwa v42, v59, s34 dst_sel:DWORD dst_unused:UNUSED_PAD src0_sel:WORD_0 src1_sel:DWORD
	s_waitcnt lgkmcnt(0)
	s_lshl_b32 s6, s6, 5
	v_mul_u32_u24_sdwa v56, v59, s34 dst_sel:DWORD dst_unused:UNUSED_PAD src0_sel:WORD_1 src1_sel:DWORD
	s_add_i32 s2, s6, s2
	v_pk_fma_f16 v41, v52, v42, v43
	v_pk_fma_f16 v40, v52, v56, v0
	;; [unrolled: 1-line block ×7, first 2 shown]
	s_cmp_ge_i32 s2, s24
	v_pk_fma_f16 v5, v55, v56, v3
	s_cbranch_scc1 .LBB59_7
; %bb.30:                               ;   in Loop: Header=BB59_21 Depth=1
	v_mov_b32_e32 v45, v26
	v_mov_b32_e32 v4, v27
	s_branch .LBB59_21
	.section	.rodata,"a",@progbits
	.p2align	6, 0x0
	.amdhsa_kernel _ZL15flash_attn_tileILi256ELi256ELi2ELi8ELb1EEvPKcS1_S1_S1_S1_PKiPfP15HIP_vector_typeIfLj2EEffffjfiS5_IjLj3EEiiiiiiiiiiiliiliiiiil
		.amdhsa_group_segment_fixed_size 17920
		.amdhsa_private_segment_fixed_size 0
		.amdhsa_kernarg_size 464
		.amdhsa_user_sgpr_count 2
		.amdhsa_user_sgpr_dispatch_ptr 0
		.amdhsa_user_sgpr_queue_ptr 0
		.amdhsa_user_sgpr_kernarg_segment_ptr 1
		.amdhsa_user_sgpr_dispatch_id 0
		.amdhsa_user_sgpr_kernarg_preload_length 0
		.amdhsa_user_sgpr_kernarg_preload_offset 0
		.amdhsa_user_sgpr_private_segment_size 0
		.amdhsa_uses_dynamic_stack 0
		.amdhsa_enable_private_segment 0
		.amdhsa_system_sgpr_workgroup_id_x 1
		.amdhsa_system_sgpr_workgroup_id_y 1
		.amdhsa_system_sgpr_workgroup_id_z 1
		.amdhsa_system_sgpr_workgroup_info 0
		.amdhsa_system_vgpr_workitem_id 1
		.amdhsa_next_free_vgpr 102
		.amdhsa_next_free_sgpr 40
		.amdhsa_accum_offset 104
		.amdhsa_reserve_vcc 1
		.amdhsa_float_round_mode_32 0
		.amdhsa_float_round_mode_16_64 0
		.amdhsa_float_denorm_mode_32 3
		.amdhsa_float_denorm_mode_16_64 3
		.amdhsa_dx10_clamp 1
		.amdhsa_ieee_mode 1
		.amdhsa_fp16_overflow 0
		.amdhsa_tg_split 0
		.amdhsa_exception_fp_ieee_invalid_op 0
		.amdhsa_exception_fp_denorm_src 0
		.amdhsa_exception_fp_ieee_div_zero 0
		.amdhsa_exception_fp_ieee_overflow 0
		.amdhsa_exception_fp_ieee_underflow 0
		.amdhsa_exception_fp_ieee_inexact 0
		.amdhsa_exception_int_div_zero 0
	.end_amdhsa_kernel
	.section	.text._ZL15flash_attn_tileILi256ELi256ELi2ELi8ELb1EEvPKcS1_S1_S1_S1_PKiPfP15HIP_vector_typeIfLj2EEffffjfiS5_IjLj3EEiiiiiiiiiiiliiliiiiil,"axG",@progbits,_ZL15flash_attn_tileILi256ELi256ELi2ELi8ELb1EEvPKcS1_S1_S1_S1_PKiPfP15HIP_vector_typeIfLj2EEffffjfiS5_IjLj3EEiiiiiiiiiiiliiliiiiil,comdat
.Lfunc_end59:
	.size	_ZL15flash_attn_tileILi256ELi256ELi2ELi8ELb1EEvPKcS1_S1_S1_S1_PKiPfP15HIP_vector_typeIfLj2EEffffjfiS5_IjLj3EEiiiiiiiiiiiliiliiiiil, .Lfunc_end59-_ZL15flash_attn_tileILi256ELi256ELi2ELi8ELb1EEvPKcS1_S1_S1_S1_PKiPfP15HIP_vector_typeIfLj2EEffffjfiS5_IjLj3EEiiiiiiiiiiiliiliiiiil
                                        ; -- End function
	.set _ZL15flash_attn_tileILi256ELi256ELi2ELi8ELb1EEvPKcS1_S1_S1_S1_PKiPfP15HIP_vector_typeIfLj2EEffffjfiS5_IjLj3EEiiiiiiiiiiiliiliiiiil.num_vgpr, 102
	.set _ZL15flash_attn_tileILi256ELi256ELi2ELi8ELb1EEvPKcS1_S1_S1_S1_PKiPfP15HIP_vector_typeIfLj2EEffffjfiS5_IjLj3EEiiiiiiiiiiiliiliiiiil.num_agpr, 0
	.set _ZL15flash_attn_tileILi256ELi256ELi2ELi8ELb1EEvPKcS1_S1_S1_S1_PKiPfP15HIP_vector_typeIfLj2EEffffjfiS5_IjLj3EEiiiiiiiiiiiliiliiiiil.numbered_sgpr, 40
	.set _ZL15flash_attn_tileILi256ELi256ELi2ELi8ELb1EEvPKcS1_S1_S1_S1_PKiPfP15HIP_vector_typeIfLj2EEffffjfiS5_IjLj3EEiiiiiiiiiiiliiliiiiil.num_named_barrier, 0
	.set _ZL15flash_attn_tileILi256ELi256ELi2ELi8ELb1EEvPKcS1_S1_S1_S1_PKiPfP15HIP_vector_typeIfLj2EEffffjfiS5_IjLj3EEiiiiiiiiiiiliiliiiiil.private_seg_size, 0
	.set _ZL15flash_attn_tileILi256ELi256ELi2ELi8ELb1EEvPKcS1_S1_S1_S1_PKiPfP15HIP_vector_typeIfLj2EEffffjfiS5_IjLj3EEiiiiiiiiiiiliiliiiiil.uses_vcc, 1
	.set _ZL15flash_attn_tileILi256ELi256ELi2ELi8ELb1EEvPKcS1_S1_S1_S1_PKiPfP15HIP_vector_typeIfLj2EEffffjfiS5_IjLj3EEiiiiiiiiiiiliiliiiiil.uses_flat_scratch, 0
	.set _ZL15flash_attn_tileILi256ELi256ELi2ELi8ELb1EEvPKcS1_S1_S1_S1_PKiPfP15HIP_vector_typeIfLj2EEffffjfiS5_IjLj3EEiiiiiiiiiiiliiliiiiil.has_dyn_sized_stack, 0
	.set _ZL15flash_attn_tileILi256ELi256ELi2ELi8ELb1EEvPKcS1_S1_S1_S1_PKiPfP15HIP_vector_typeIfLj2EEffffjfiS5_IjLj3EEiiiiiiiiiiiliiliiiiil.has_recursion, 0
	.set _ZL15flash_attn_tileILi256ELi256ELi2ELi8ELb1EEvPKcS1_S1_S1_S1_PKiPfP15HIP_vector_typeIfLj2EEffffjfiS5_IjLj3EEiiiiiiiiiiiliiliiiiil.has_indirect_call, 0
	.section	.AMDGPU.csdata,"",@progbits
; Kernel info:
; codeLenInByte = 13640
; TotalNumSgprs: 46
; NumVgprs: 102
; NumAgprs: 0
; TotalNumVgprs: 102
; ScratchSize: 0
; MemoryBound: 0
; FloatMode: 240
; IeeeMode: 1
; LDSByteSize: 17920 bytes/workgroup (compile time only)
; SGPRBlocks: 5
; VGPRBlocks: 12
; NumSGPRsForWavesPerEU: 46
; NumVGPRsForWavesPerEU: 102
; AccumOffset: 104
; Occupancy: 4
; WaveLimiterHint : 1
; COMPUTE_PGM_RSRC2:SCRATCH_EN: 0
; COMPUTE_PGM_RSRC2:USER_SGPR: 2
; COMPUTE_PGM_RSRC2:TRAP_HANDLER: 0
; COMPUTE_PGM_RSRC2:TGID_X_EN: 1
; COMPUTE_PGM_RSRC2:TGID_Y_EN: 1
; COMPUTE_PGM_RSRC2:TGID_Z_EN: 1
; COMPUTE_PGM_RSRC2:TIDIG_COMP_CNT: 1
; COMPUTE_PGM_RSRC3_GFX90A:ACCUM_OFFSET: 25
; COMPUTE_PGM_RSRC3_GFX90A:TG_SPLIT: 0
	.section	.text._ZL15flash_attn_tileILi256ELi256ELi1ELi8ELb1EEvPKcS1_S1_S1_S1_PKiPfP15HIP_vector_typeIfLj2EEffffjfiS5_IjLj3EEiiiiiiiiiiiliiliiiiil,"axG",@progbits,_ZL15flash_attn_tileILi256ELi256ELi1ELi8ELb1EEvPKcS1_S1_S1_S1_PKiPfP15HIP_vector_typeIfLj2EEffffjfiS5_IjLj3EEiiiiiiiiiiiliiliiiiil,comdat
	.globl	_ZL15flash_attn_tileILi256ELi256ELi1ELi8ELb1EEvPKcS1_S1_S1_S1_PKiPfP15HIP_vector_typeIfLj2EEffffjfiS5_IjLj3EEiiiiiiiiiiiliiliiiiil ; -- Begin function _ZL15flash_attn_tileILi256ELi256ELi1ELi8ELb1EEvPKcS1_S1_S1_S1_PKiPfP15HIP_vector_typeIfLj2EEffffjfiS5_IjLj3EEiiiiiiiiiiiliiliiiiil
	.p2align	8
	.type	_ZL15flash_attn_tileILi256ELi256ELi1ELi8ELb1EEvPKcS1_S1_S1_S1_PKiPfP15HIP_vector_typeIfLj2EEffffjfiS5_IjLj3EEiiiiiiiiiiiliiliiiiil,@function
_ZL15flash_attn_tileILi256ELi256ELi1ELi8ELb1EEvPKcS1_S1_S1_S1_PKiPfP15HIP_vector_typeIfLj2EEffffjfiS5_IjLj3EEiiiiiiiiiiiliiliiiiil: ; @_ZL15flash_attn_tileILi256ELi256ELi1ELi8ELb1EEvPKcS1_S1_S1_S1_PKiPfP15HIP_vector_typeIfLj2EEffffjfiS5_IjLj3EEiiiiiiiiiiiliiliiiiil
; %bb.0:
	s_load_dwordx4 s[20:23], s[0:1], 0x5c
	s_load_dwordx2 s[28:29], s[0:1], 0x80
	s_load_dwordx2 s[34:35], s[0:1], 0xb8
	s_mov_b64 s[30:31], 0
	s_waitcnt lgkmcnt(0)
	s_ashr_i32 s5, s23, 31
	s_lshr_b32 s5, s5, 29
	s_add_i32 s5, s23, s5
	s_ashr_i32 s5, s5, 3
	v_cvt_f32_u32_e32 v1, s5
	s_sub_i32 s6, 0, s5
	v_rcp_iflag_f32_e32 v1, v1
	s_nop 0
	v_mul_f32_e32 v1, 0x4f7ffffe, v1
	v_cvt_u32_f32_e32 v1, v1
	s_nop 0
	v_readfirstlane_b32 s7, v1
	s_mul_i32 s6, s6, s7
	s_mul_hi_u32 s6, s7, s6
	s_add_i32 s7, s7, s6
	s_mul_hi_u32 s6, s4, s7
	s_mul_i32 s7, s6, s5
	s_sub_i32 s7, s4, s7
	s_add_i32 s8, s6, 1
	s_sub_i32 s9, s7, s5
	s_cmp_ge_u32 s7, s5
	s_cselect_b32 s6, s8, s6
	s_cselect_b32 s7, s9, s7
	s_add_i32 s8, s6, 1
	s_cmp_ge_u32 s7, s5
	s_cselect_b32 s33, s8, s6
	s_abs_i32 s5, s29
	v_cvt_f32_u32_e32 v1, s5
	s_lshl_b32 s4, s4, 3
	s_mul_i32 s8, s33, s23
	s_xor_b32 s6, s23, s29
	v_rcp_iflag_f32_e32 v1, v1
	s_sub_i32 s9, 0, s5
	s_sub_i32 s29, s4, s8
	s_abs_i32 s7, s23
	v_mul_f32_e32 v1, 0x4f7ffffe, v1
	v_cvt_u32_f32_e32 v1, v1
	s_ashr_i32 s6, s6, 31
	v_readfirstlane_b32 s4, v1
	s_mul_i32 s9, s9, s4
	s_mul_hi_u32 s8, s4, s9
	s_add_i32 s4, s4, s8
	s_mul_hi_u32 s4, s7, s4
	s_mul_i32 s8, s4, s5
	s_sub_i32 s7, s7, s8
	s_add_i32 s9, s4, 1
	s_sub_i32 s8, s7, s5
	s_cmp_ge_u32 s7, s5
	s_cselect_b32 s4, s9, s4
	s_cselect_b32 s7, s8, s7
	s_add_i32 s8, s4, 1
	s_cmp_ge_u32 s7, s5
	s_cselect_b32 s4, s8, s4
	s_xor_b32 s4, s4, s6
	s_sub_i32 s37, s4, s6
	s_abs_i32 s36, s37
	v_cvt_f32_u32_e32 v1, s36
	s_load_dwordx16 s[4:19], s[0:1], 0x0
	v_rcp_iflag_f32_e32 v1, v1
	s_waitcnt lgkmcnt(0)
	s_cmp_eq_u64 s[10:11], 0
	v_mul_f32_e32 v1, 0x4f7ffffe, v1
	v_cvt_u32_f32_e32 v1, v1
	s_nop 0
	v_readfirstlane_b32 s38, v1
	s_cbranch_scc1 .LBB60_2
; %bb.1:
	s_abs_i32 s26, s34
	v_cvt_f32_u32_e32 v1, s26
	s_sub_i32 s31, 0, s26
	s_abs_i32 s30, s33
	s_ashr_i32 s27, s33, 31
	v_rcp_iflag_f32_e32 v1, v1
	s_load_dwordx2 s[24:25], s[0:1], 0xc8
	v_mul_f32_e32 v1, 0x4f7ffffe, v1
	v_cvt_u32_f32_e32 v1, v1
	s_nop 0
	v_readfirstlane_b32 s34, v1
	s_mul_i32 s31, s31, s34
	s_mul_hi_u32 s31, s34, s31
	s_add_i32 s34, s34, s31
	s_mul_hi_u32 s31, s30, s34
	s_mul_i32 s31, s31, s26
	s_sub_i32 s30, s30, s31
	s_sub_i32 s31, s30, s26
	s_cmp_ge_u32 s30, s26
	s_cselect_b32 s30, s31, s30
	s_sub_i32 s31, s30, s26
	s_cmp_ge_u32 s30, s26
	s_cselect_b32 s26, s31, s30
	s_xor_b32 s26, s26, s27
	s_sub_i32 s26, s26, s27
	s_ashr_i32 s27, s26, 31
	s_waitcnt lgkmcnt(0)
	s_mul_hi_u32 s30, s24, s26
	s_mul_i32 s27, s24, s27
	s_mul_i32 s25, s25, s26
	s_add_i32 s27, s30, s27
	s_add_i32 s27, s27, s25
	s_mul_i32 s24, s24, s26
	s_add_u32 s30, s10, s24
	s_addc_u32 s31, s11, s27
.LBB60_2:
	s_load_dwordx4 s[24:27], s[0:1], 0x70
	v_lshrrev_b32_e32 v1, 10, v0
	v_bfe_u32 v1, v1, 3, 7
	v_add_u32_e32 v9, s2, v1
	v_bfe_u32 v33, v0, 10, 3
	s_waitcnt lgkmcnt(0)
	s_mul_i32 s10, s33, s26
	s_ashr_i32 s26, s10, 31
	s_mul_i32 s11, s29, s25
	s_add_u32 s4, s4, s10
	s_addc_u32 s5, s5, s26
	s_ashr_i32 s10, s11, 31
	s_add_u32 s4, s4, s11
	s_addc_u32 s5, s5, s10
	s_ashr_i32 s11, s25, 31
	s_mov_b32 s10, s25
	s_lshr_b64 s[26:27], s[10:11], 2
	v_mul_hi_u32 v1, s20, v9
	s_lshr_b32 s25, s11, 2
	v_mad_u64_u32 v[2:3], s[10:11], s26, v33, 0
	v_add_u32_e32 v1, v9, v1
	v_mov_b32_e32 v4, v3
	v_lshrrev_b32_e32 v1, s21, v1
	v_mad_u64_u32 v[4:5], s[10:11], s25, v33, v[4:5]
	v_mul_lo_u32 v1, v1, s22
	s_ashr_i32 s25, s24, 31
	v_sub_u32_e32 v1, v9, v1
	s_lshr_b64 s[10:11], s[24:25], 2
	v_mov_b32_e32 v3, v4
	v_mad_u64_u32 v[4:5], s[10:11], s10, v1, 0
	v_mov_b32_e32 v6, v5
	s_lshr_b32 s10, s25, 2
	v_mad_u64_u32 v[6:7], s[10:11], s10, v1, v[6:7]
	v_mov_b32_e32 v5, v6
	v_and_b32_e32 v8, 0x3ff, v0
	v_lshl_add_u64 v[2:3], v[2:3], 2, s[4:5]
	v_mov_b32_e32 v7, 0
	v_lshl_add_u64 v[2:3], v[4:5], 2, v[2:3]
	v_lshlrev_b32_e32 v6, 4, v8
	v_lshl_add_u64 v[2:3], v[2:3], 0, v[6:7]
	global_load_dwordx4 v[4:7], v[2:3], off
	global_load_dwordx4 v[10:13], v[2:3], off offset:512
	s_load_dword s4, s[0:1], 0x40
	v_bfe_u32 v0, v0, 10, 10
	v_lshlrev_b32_e32 v2, 9, v0
	v_lshlrev_b32_e32 v35, 3, v8
	v_add_u32_e32 v36, 0x4400, v2
	v_add_u32_e32 v3, v36, v35
	s_cmp_eq_u64 s[14:15], 0
	s_waitcnt vmcnt(1) lgkmcnt(0)
	v_fma_mixlo_f16 v4, s4, v4, 0
	v_fma_mixlo_f16 v5, s4, v5, 0
	;; [unrolled: 1-line block ×4, first 2 shown]
	s_waitcnt vmcnt(0)
	v_fma_mixlo_f16 v10, s4, v10, 0
	v_fma_mixlo_f16 v11, s4, v11, 0
	;; [unrolled: 1-line block ×4, first 2 shown]
	v_lshlrev_b32_e32 v5, 16, v5
	v_and_b32_e32 v4, 0xffff, v4
	v_lshlrev_b32_e32 v7, 16, v7
	v_and_b32_e32 v6, 0xffff, v6
	;; [unrolled: 2-line block ×4, first 2 shown]
	v_or_b32_e32 v4, v5, v4
	v_or3_b32 v5, v7, v6, 0
	v_or_b32_e32 v6, v11, v10
	v_or3_b32 v7, v13, v12, 0
	v_or3_b32 v4, 0, 0, v4
	;; [unrolled: 1-line block ×3, first 2 shown]
	ds_write2_b64 v3, v[4:5], v[6:7] offset1:32
	s_waitcnt lgkmcnt(0)
	s_barrier
	s_cbranch_scc1 .LBB60_4
; %bb.3:
	s_load_dword s4, s[0:1], 0xd0
	s_mov_b32 s5, 0
	s_waitcnt lgkmcnt(0)
	s_mul_i32 s4, s4, s33
	s_add_i32 s4, s4, s2
	s_lshl_b64 s[4:5], s[4:5], 2
	s_add_u32 s4, s14, s4
	s_addc_u32 s5, s15, s5
	s_load_dword s28, s[4:5], 0x0
.LBB60_4:
	s_lshl_b32 s2, s3, 6
	v_lshlrev_b32_e32 v34, 2, v8
	s_waitcnt lgkmcnt(0)
	s_cmp_lt_i32 s2, s28
	v_mbcnt_lo_u32_b32 v3, -1, 0
	s_cbranch_scc1 .LBB60_9
; %bb.5:
	v_mbcnt_hi_u32_b32 v21, -1, v3
	v_and_b32_e32 v4, 0x60, v21
	v_add_u32_e32 v56, 32, v4
	v_xor_b32_e32 v58, 16, v21
	v_xor_b32_e32 v57, 8, v21
	v_xor_b32_e32 v59, 4, v21
	v_xor_b32_e32 v60, 2, v21
	v_xor_b32_e32 v61, 1, v21
	s_cbranch_execz .LBB60_10
; %bb.6:
	v_mov_b32_e32 v54, 0
	v_mov_b32_e32 v62, 0
	;; [unrolled: 1-line block ×6, first 2 shown]
.LBB60_7:
	v_cmp_lt_i32_e32 vcc, v58, v56
	s_cmp_lg_u64 s[12:13], 0
	s_cselect_b64 s[4:5], -1, 0
	v_cndmask_b32_e32 v0, v21, v58, vcc
	v_lshlrev_b32_e32 v0, 2, v0
	ds_bpermute_b32 v0, v0, v62
	v_cmp_lt_i32_e32 vcc, v57, v56
	s_cmp_eq_u32 s3, 0
	s_cselect_b64 s[6:7], -1, 0
	v_cndmask_b32_e32 v1, v21, v57, vcc
	v_lshlrev_b32_e32 v1, 2, v1
	s_waitcnt lgkmcnt(0)
	v_add_f32_e32 v0, v62, v0
	ds_bpermute_b32 v1, v1, v0
	v_cmp_lt_i32_e32 vcc, v59, v56
	s_and_b64 s[4:5], s[6:7], s[4:5]
	s_waitcnt lgkmcnt(0)
	v_add_f32_e32 v0, v0, v1
	v_cndmask_b32_e32 v2, v21, v59, vcc
	v_lshlrev_b32_e32 v2, 2, v2
	ds_bpermute_b32 v1, v2, v0
	v_cmp_lt_i32_e32 vcc, v60, v56
	s_waitcnt lgkmcnt(0)
	v_add_f32_e32 v1, v0, v1
	v_cndmask_b32_e32 v2, v21, v60, vcc
	v_lshlrev_b32_e32 v2, 2, v2
	ds_bpermute_b32 v2, v2, v1
	v_cmp_lt_i32_e32 vcc, v61, v56
	v_add_u32_e32 v0, s29, v33
	s_waitcnt lgkmcnt(0)
	v_add_f32_e32 v1, v1, v2
	v_cndmask_b32_e32 v3, v21, v61, vcc
	v_lshlrev_b32_e32 v3, 2, v3
	ds_bpermute_b32 v2, v3, v1
	s_and_b64 vcc, exec, s[4:5]
	s_waitcnt lgkmcnt(0)
	v_add_f32_e32 v33, v1, v2
	s_cbranch_vccz .LBB60_21
; %bb.8:
	v_ashrrev_i32_e32 v1, 31, v0
	v_lshl_add_u64 v[2:3], v[0:1], 2, s[12:13]
	global_load_dword v1, v[2:3], off
	v_max_f32_e32 v2, v32, v32
	s_mov_b32 s2, 0x3fb8aa3b
	s_mov_b32 s4, 0xc2ce8ed0
	s_waitcnt vmcnt(0)
	v_max_f32_e32 v3, v1, v1
	v_max_f32_e32 v2, v2, v3
	v_sub_f32_e32 v3, v32, v2
	v_sub_f32_e32 v1, v1, v2
	v_mul_f32_e32 v4, 0x3fb8aa3b, v3
	v_mul_f32_e32 v5, 0x3fb8aa3b, v1
	v_fma_f32 v6, v3, s2, -v4
	v_rndne_f32_e32 v7, v4
	v_fma_f32 v10, v1, s2, -v5
	v_rndne_f32_e32 v11, v5
	v_fmac_f32_e32 v6, 0x32a5705f, v3
	v_sub_f32_e32 v4, v4, v7
	v_fmac_f32_e32 v10, 0x32a5705f, v1
	v_sub_f32_e32 v5, v5, v11
	v_add_f32_e32 v4, v4, v6
	v_cvt_i32_f32_e32 v7, v7
	v_add_f32_e32 v5, v5, v10
	v_exp_f32_e32 v4, v4
	v_cvt_i32_f32_e32 v11, v11
	v_exp_f32_e32 v5, v5
	v_cmp_ngt_f32_e32 vcc, s4, v3
	v_ldexp_f32 v4, v4, v7
	s_mov_b32 s2, 0x42b17218
	v_ldexp_f32 v5, v5, v11
	v_cndmask_b32_e32 v4, 0, v4, vcc
	v_cmp_ngt_f32_e32 vcc, s4, v1
	v_mov_b32_e32 v6, 0x7f800000
	s_nop 0
	v_cndmask_b32_e32 v5, 0, v5, vcc
	v_cmp_nlt_f32_e32 vcc, s2, v3
	s_nop 1
	v_cndmask_b32_e32 v4, v6, v4, vcc
	v_cvt_f16_f32_e32 v7, v4
	v_cmp_nlt_f32_e32 vcc, s2, v1
	v_mul_u32_u24_e32 v1, 0x10001, v7
	s_nop 0
	v_cndmask_b32_e32 v3, v6, v5, vcc
	v_fmac_f32_e32 v3, v33, v4
	v_pk_mul_f16 v54, v54, v1
	v_pk_mul_f16 v53, v53, v1
	;; [unrolled: 1-line block ×4, first 2 shown]
	v_mov_b64_e32 v[32:33], v[2:3]
	s_branch .LBB60_22
.LBB60_9:
                                        ; implicit-def: $vgpr21
                                        ; implicit-def: $vgpr56
                                        ; implicit-def: $vgpr58
                                        ; implicit-def: $vgpr57
                                        ; implicit-def: $vgpr59
                                        ; implicit-def: $vgpr60
                                        ; implicit-def: $vgpr61
.LBB60_10:
	s_sub_i32 s4, 0, s36
	s_mul_i32 s4, s4, s38
	s_mul_hi_u32 s4, s38, s4
	s_add_i32 s38, s38, s4
	s_load_dwordx4 s[24:27], s[0:1], 0x98
	s_load_dword s10, s[0:1], 0x54
	s_load_dwordx2 s[4:5], s[0:1], 0x8c
	s_ashr_i32 s34, s37, 31
	s_abs_i32 s15, s29
	s_waitcnt lgkmcnt(0)
	s_ashr_i32 s11, s26, 2
	s_ashr_i32 s26, s35, 1
	;; [unrolled: 1-line block ×4, first 2 shown]
	s_mul_hi_u32 s35, s24, s33
	s_mul_i32 s37, s24, s4
	s_add_i32 s35, s35, s37
	s_mul_i32 s25, s25, s33
	s_mul_hi_u32 s20, s15, s38
	s_ashr_i32 s21, s29, 31
	s_add_i32 s35, s35, s25
	s_mul_i32 s24, s24, s33
	s_add_u32 s6, s6, s24
	s_mul_i32 s24, s20, s36
	s_addc_u32 s7, s7, s35
	s_sub_i32 s15, s15, s24
	s_xor_b32 s21, s21, s34
	s_add_i32 s24, s20, 1
	s_sub_i32 s25, s15, s36
	s_cmp_ge_u32 s15, s36
	s_cselect_b32 s20, s24, s20
	s_cselect_b32 s15, s25, s15
	s_add_i32 s24, s20, 1
	s_cmp_ge_u32 s15, s36
	s_load_dwordx2 s[38:39], s[0:1], 0xa8
	s_cselect_b32 s15, s24, s20
	s_xor_b32 s15, s15, s21
	s_sub_i32 s21, s15, s21
	s_mul_i32 s5, s21, s5
	s_ashr_i32 s20, s5, 31
	s_add_u32 s15, s6, s5
	s_waitcnt lgkmcnt(0)
	s_mul_hi_u32 s5, s38, s33
	s_mul_i32 s4, s38, s4
	s_addc_u32 s20, s7, s20
	s_add_i32 s4, s5, s4
	s_mul_i32 s5, s39, s33
	s_add_i32 s4, s4, s5
	s_mul_i32 s5, s38, s33
	s_add_u32 s5, s8, s5
	s_mul_i32 s21, s21, s27
	s_addc_u32 s4, s9, s4
	s_ashr_i32 s6, s21, 31
	v_lshrrev_b32_e32 v4, 4, v8
	s_add_u32 s8, s5, s21
	v_lshl_add_u32 v5, v0, 1, v4
	v_and_b32_e32 v4, 60, v34
	s_addc_u32 s9, s4, s6
	v_lshlrev_b32_e32 v6, 2, v4
	s_movk_i32 s4, 0x110
	v_mad_u32_u24 v37, v5, s4, v6
	v_mul_lo_u32 v12, s14, v5
	s_lshl_b32 s4, s14, 4
	v_add_u32_e32 v14, s4, v12
	v_add_u32_e32 v16, s4, v14
	;; [unrolled: 1-line block ×3, first 2 shown]
	v_mad_u64_u32 v[20:21], s[4:5], v1, s26, v[8:9]
	v_mov_b32_e32 v1, 0x5400
	v_lshlrev_b32_e32 v10, 2, v34
	v_mul_lo_u32 v6, s11, v0
	s_lshl_b32 s4, s11, 3
	v_lshl_add_u32 v42, v0, 7, v1
	v_add_u32_e32 v44, v2, v10
	v_lshl_add_u32 v2, v0, 9, v10
	v_add_u32_e32 v0, s4, v6
	v_add_u32_e32 v28, s4, v0
	;; [unrolled: 1-line block ×3, first 2 shown]
	v_mov_b32_e32 v11, 0
	v_ashrrev_i32_e32 v7, 31, v6
	v_ashrrev_i32_e32 v1, 31, v0
	;; [unrolled: 1-line block ×4, first 2 shown]
	s_add_u32 s4, s0, 0xd0
	v_ashrrev_i32_e32 v13, 31, v12
	v_add_u32_e32 v38, 0x1100, v37
	v_ashrrev_i32_e32 v15, 31, v14
	v_add_u32_e32 v39, 0x2200, v37
	;; [unrolled: 2-line block ×3, first 2 shown]
	v_ashrrev_i32_e32 v19, 31, v18
	v_mul_u32_u24_e32 v41, 0x110, v8
	v_lshl_add_u32 v43, v8, 1, v42
	v_add_u32_e32 v45, 0x1000, v2
	v_add_u32_e32 v46, 0x2000, v2
	;; [unrolled: 1-line block ×3, first 2 shown]
	s_addc_u32 s5, s1, 0
	v_mov_b32_e32 v55, 0xfeffffff
	v_lshlrev_b32_e32 v22, 2, v4
	v_mov_b32_e32 v23, v11
	s_mov_b32 s21, 0x3f200000
	s_mov_b32 s24, 0x3fb8aa3b
	;; [unrolled: 1-line block ×4, first 2 shown]
	v_mov_b32_e32 v48, 0x3ca908c9
	s_brev_b32 s27, -2
	s_mov_b32 s34, 0x10001
	v_lshlrev_b64 v[24:25], 2, v[6:7]
	v_lshlrev_b64 v[26:27], 2, v[0:1]
	;; [unrolled: 1-line block ×4, first 2 shown]
	v_mov_b32_e32 v49, 0x7f800000
	v_mbcnt_hi_u32_b32 v21, -1, v3
	v_mov_b32_e32 v51, v11
	v_mov_b32_e32 v52, v11
	;; [unrolled: 1-line block ×5, first 2 shown]
                                        ; implicit-def: $vgpr2
                                        ; implicit-def: $vgpr2
	;; [unrolled: 1-line block ×3, first 2 shown]
.LBB60_11:                              ; =>This Inner Loop Header: Depth=1
	s_mul_hi_i32 s7, s2, s14
	s_mul_i32 s6, s2, s14
	s_lshl_b64 s[6:7], s[6:7], 2
	s_add_u32 s6, s15, s6
	s_addc_u32 s7, s20, s7
	v_lshl_add_u64 v[0:1], v[12:13], 2, s[6:7]
	v_lshl_add_u64 v[4:5], v[16:17], 2, s[6:7]
	;; [unrolled: 1-line block ×7, first 2 shown]
	global_load_dwordx4 v[56:59], v[0:1], off
	global_load_dwordx4 v[60:63], v[2:3], off
	v_lshl_add_u64 v[6:7], v[6:7], 0, v[22:23]
	global_load_dwordx4 v[64:67], v[4:5], off
	global_load_dwordx4 v[68:71], v[6:7], off
	v_mov_b32_e32 v32, 0
	s_waitcnt vmcnt(3)
	ds_write_b128 v37, v[56:59]
	s_waitcnt vmcnt(2)
	ds_write_b128 v38, v[60:63]
	;; [unrolled: 2-line block ×4, first 2 shown]
	s_waitcnt lgkmcnt(0)
	s_barrier
	ds_read_b128 v[58:61], v41
	ds_read_b128 v[62:65], v36
	ds_read_b128 v[66:69], v41 offset:8704
	s_waitcnt lgkmcnt(1)
	;;#ASMSTART
	v_dot2_f32_f16 v32, v58, v62, v32
	;;#ASMEND
	s_nop 0
	;;#ASMSTART
	v_dot2_f32_f16 v32, v59, v63, v32
	;;#ASMEND
	v_mov_b32_e32 v56, 0
	;;#ASMSTART
	v_dot2_f32_f16 v32, v60, v64, v32
	;;#ASMEND
	s_nop 0
	;;#ASMSTART
	v_dot2_f32_f16 v32, v61, v65, v32
	;;#ASMEND
	s_waitcnt lgkmcnt(0)
	;;#ASMSTART
	v_dot2_f32_f16 v56, v66, v62, v56
	;;#ASMEND
	s_nop 0
	;;#ASMSTART
	v_dot2_f32_f16 v56, v67, v63, v56
	;;#ASMEND
	s_nop 0
	;;#ASMSTART
	v_dot2_f32_f16 v56, v68, v64, v56
	;;#ASMEND
	s_nop 0
	;;#ASMSTART
	v_dot2_f32_f16 v56, v69, v65, v56
	;;#ASMEND
	ds_read_b128 v[58:61], v41 offset:16
	ds_read_b128 v[62:65], v36 offset:16
	ds_read_b128 v[66:69], v41 offset:8720
	s_waitcnt lgkmcnt(1)
	;;#ASMSTART
	v_dot2_f32_f16 v32, v58, v62, v32
	;;#ASMEND
	s_nop 0
	;;#ASMSTART
	v_dot2_f32_f16 v32, v59, v63, v32
	;;#ASMEND
	s_nop 0
	;;#ASMSTART
	v_dot2_f32_f16 v32, v60, v64, v32
	;;#ASMEND
	s_nop 0
	;;#ASMSTART
	v_dot2_f32_f16 v32, v61, v65, v32
	;;#ASMEND
	s_waitcnt lgkmcnt(0)
	;;#ASMSTART
	v_dot2_f32_f16 v56, v66, v62, v56
	;;#ASMEND
	s_nop 0
	;;#ASMSTART
	v_dot2_f32_f16 v56, v67, v63, v56
	;;#ASMEND
	s_nop 0
	;;#ASMSTART
	v_dot2_f32_f16 v56, v68, v64, v56
	;;#ASMEND
	s_nop 0
	;;#ASMSTART
	v_dot2_f32_f16 v56, v69, v65, v56
	;;#ASMEND
	ds_read_b128 v[58:61], v41 offset:32
	ds_read_b128 v[62:65], v36 offset:32
	ds_read_b128 v[66:69], v41 offset:8736
	s_waitcnt lgkmcnt(1)
	;;#ASMSTART
	v_dot2_f32_f16 v32, v58, v62, v32
	;;#ASMEND
	s_nop 0
	;;#ASMSTART
	v_dot2_f32_f16 v32, v59, v63, v32
	;;#ASMEND
	s_nop 0
	;; [unrolled: 35-line block ×15, first 2 shown]
	;;#ASMSTART
	v_dot2_f32_f16 v32, v60, v64, v32
	;;#ASMEND
	s_nop 0
	;;#ASMSTART
	v_dot2_f32_f16 v32, v61, v65, v32
	;;#ASMEND
	s_waitcnt lgkmcnt(0)
	;;#ASMSTART
	v_dot2_f32_f16 v56, v66, v62, v56
	;;#ASMEND
	s_nop 0
	;;#ASMSTART
	v_dot2_f32_f16 v56, v67, v63, v56
	;;#ASMEND
	s_nop 0
	;; [unrolled: 4-line block ×3, first 2 shown]
	;;#ASMSTART
	v_dot2_f32_f16 v56, v69, v65, v56
	;;#ASMEND
	s_barrier
	global_load_dwordx4 v[58:61], v[0:1], off offset:256
	global_load_dwordx4 v[62:65], v[2:3], off offset:256
	;; [unrolled: 1-line block ×4, first 2 shown]
	s_waitcnt vmcnt(3)
	ds_write_b128 v37, v[58:61]
	s_waitcnt vmcnt(2)
	ds_write_b128 v38, v[62:65]
	;; [unrolled: 2-line block ×4, first 2 shown]
	s_waitcnt lgkmcnt(0)
	s_barrier
	ds_read_b128 v[0:3], v41
	ds_read_b128 v[4:7], v36 offset:256
	ds_read_b128 v[58:61], v41 offset:8704
	s_waitcnt lgkmcnt(1)
	;;#ASMSTART
	v_dot2_f32_f16 v32, v0, v4, v32
	;;#ASMEND
	s_nop 0
	;;#ASMSTART
	v_dot2_f32_f16 v32, v1, v5, v32
	;;#ASMEND
	s_nop 0
	;;#ASMSTART
	v_dot2_f32_f16 v32, v2, v6, v32
	;;#ASMEND
	s_nop 0
	;;#ASMSTART
	v_dot2_f32_f16 v32, v3, v7, v32
	;;#ASMEND
	s_waitcnt lgkmcnt(0)
	;;#ASMSTART
	v_dot2_f32_f16 v56, v58, v4, v56
	;;#ASMEND
	s_nop 0
	;;#ASMSTART
	v_dot2_f32_f16 v56, v59, v5, v56
	;;#ASMEND
	s_nop 0
	;;#ASMSTART
	v_dot2_f32_f16 v56, v60, v6, v56
	;;#ASMEND
	s_nop 0
	;;#ASMSTART
	v_dot2_f32_f16 v56, v61, v7, v56
	;;#ASMEND
	ds_read_b128 v[0:3], v41 offset:16
	ds_read_b128 v[4:7], v36 offset:272
	ds_read_b128 v[58:61], v41 offset:8720
	s_waitcnt lgkmcnt(1)
	;;#ASMSTART
	v_dot2_f32_f16 v32, v0, v4, v32
	;;#ASMEND
	s_nop 0
	;;#ASMSTART
	v_dot2_f32_f16 v32, v1, v5, v32
	;;#ASMEND
	s_nop 0
	;;#ASMSTART
	v_dot2_f32_f16 v32, v2, v6, v32
	;;#ASMEND
	s_nop 0
	;;#ASMSTART
	v_dot2_f32_f16 v32, v3, v7, v32
	;;#ASMEND
	s_waitcnt lgkmcnt(0)
	;;#ASMSTART
	v_dot2_f32_f16 v56, v58, v4, v56
	;;#ASMEND
	s_nop 0
	;;#ASMSTART
	v_dot2_f32_f16 v56, v59, v5, v56
	;;#ASMEND
	s_nop 0
	;;#ASMSTART
	v_dot2_f32_f16 v56, v60, v6, v56
	;;#ASMEND
	s_nop 0
	;;#ASMSTART
	v_dot2_f32_f16 v56, v61, v7, v56
	;;#ASMEND
	ds_read_b128 v[0:3], v41 offset:32
	;; [unrolled: 35-line block ×15, first 2 shown]
	ds_read_b128 v[4:7], v36 offset:496
	ds_read_b128 v[58:61], v41 offset:8944
	s_waitcnt lgkmcnt(1)
	;;#ASMSTART
	v_dot2_f32_f16 v32, v0, v4, v32
	;;#ASMEND
	s_nop 0
	;;#ASMSTART
	v_dot2_f32_f16 v32, v1, v5, v32
	;;#ASMEND
	s_nop 0
	;; [unrolled: 4-line block ×3, first 2 shown]
	;;#ASMSTART
	v_dot2_f32_f16 v32, v3, v7, v32
	;;#ASMEND
	s_waitcnt lgkmcnt(0)
	;;#ASMSTART
	v_dot2_f32_f16 v56, v58, v4, v56
	;;#ASMEND
                                        ; implicit-def: $vgpr3
	s_nop 0
	;;#ASMSTART
	v_dot2_f32_f16 v56, v59, v5, v56
	;;#ASMEND
	v_cmp_nlt_f32_e64 s[6:7], |v32|, s21
	;;#ASMSTART
	v_dot2_f32_f16 v56, v60, v6, v56
	;;#ASMEND
	s_nop 0
	;;#ASMSTART
	v_dot2_f32_f16 v56, v61, v7, v56
	;;#ASMEND
	s_and_saveexec_b64 s[36:37], s[6:7]
	s_xor_b64 s[6:7], exec, s[36:37]
	s_cbranch_execz .LBB60_13
; %bb.12:                               ;   in Loop: Header=BB60_11 Depth=1
	v_add_f32_e64 v0, |v32|, |v32|
	v_mul_f32_e32 v1, 0x3fb8aa3b, v0
	v_rndne_f32_e32 v2, v1
	v_sub_f32_e32 v3, v1, v2
	v_fma_f32 v1, v0, s24, -v1
	v_fmac_f32_e32 v1, 0x32a5705f, v0
	v_add_f32_e32 v1, v3, v1
	v_cvt_i32_f32_e32 v2, v2
	v_exp_f32_e32 v1, v1
	v_cmp_ngt_f32_e32 vcc, s25, v0
	v_ldexp_f32 v1, v1, v2
	s_nop 0
	v_cndmask_b32_e32 v1, 0, v1, vcc
	v_cmp_nlt_f32_e32 vcc, s26, v0
	s_nop 1
	v_cndmask_b32_e32 v0, v49, v1, vcc
	v_add_f32_e32 v0, 1.0, v0
	v_rcp_f32_e32 v0, v0
	s_nop 0
	v_fma_f32 v3, v0, -2.0, 1.0
.LBB60_13:                              ;   in Loop: Header=BB60_11 Depth=1
	s_andn2_saveexec_b64 s[6:7], s[6:7]
; %bb.14:                               ;   in Loop: Header=BB60_11 Depth=1
	v_mul_f32_e32 v0, v32, v32
	v_fmamk_f32 v1, v0, 0xbbbac73d, v48
	v_fmaak_f32 v1, v0, v1, 0xbd5c1c4e
	v_fmaak_f32 v1, v0, v1, 0x3e088382
	;; [unrolled: 1-line block ×3, first 2 shown]
	v_mul_f32_e64 v1, |v32|, v1
	v_fma_f32 v3, v0, v1, |v32|
; %bb.15:                               ;   in Loop: Header=BB60_11 Depth=1
	s_or_b64 exec, exec, s[6:7]
	v_add_u32_e32 v0, s2, v20
	v_ashrrev_i32_e32 v1, 31, v0
	v_lshl_add_u64 v[0:1], v[0:1], 1, s[30:31]
	global_load_ushort v2, v[0:1], off
	v_cmp_nlt_f32_e64 s[6:7], |v56|, s21
                                        ; implicit-def: $vgpr4
	s_and_saveexec_b64 s[36:37], s[6:7]
	s_xor_b64 s[6:7], exec, s[36:37]
	s_cbranch_execz .LBB60_17
; %bb.16:                               ;   in Loop: Header=BB60_11 Depth=1
	v_add_f32_e64 v4, |v56|, |v56|
	v_mul_f32_e32 v5, 0x3fb8aa3b, v4
	v_rndne_f32_e32 v6, v5
	v_sub_f32_e32 v7, v5, v6
	v_fma_f32 v5, v4, s24, -v5
	v_fmac_f32_e32 v5, 0x32a5705f, v4
	v_add_f32_e32 v5, v7, v5
	v_cvt_i32_f32_e32 v6, v6
	v_exp_f32_e32 v5, v5
	v_cmp_ngt_f32_e32 vcc, s25, v4
	v_ldexp_f32 v5, v5, v6
	s_nop 0
	v_cndmask_b32_e32 v5, 0, v5, vcc
	v_cmp_nlt_f32_e32 vcc, s26, v4
	s_nop 1
	v_cndmask_b32_e32 v4, v49, v5, vcc
	v_add_f32_e32 v4, 1.0, v4
	v_rcp_f32_e32 v4, v4
	s_nop 0
	v_fma_f32 v4, v4, -2.0, 1.0
.LBB60_17:                              ;   in Loop: Header=BB60_11 Depth=1
	s_andn2_saveexec_b64 s[6:7], s[6:7]
; %bb.18:                               ;   in Loop: Header=BB60_11 Depth=1
	v_mul_f32_e32 v4, v56, v56
	v_fmamk_f32 v5, v4, 0xbbbac73d, v48
	v_fmaak_f32 v5, v4, v5, 0xbd5c1c4e
	v_fmaak_f32 v5, v4, v5, 0x3e088382
	;; [unrolled: 1-line block ×3, first 2 shown]
	v_mul_f32_e64 v5, |v56|, v5
	v_fma_f32 v4, v4, v5, |v56|
; %bb.19:                               ;   in Loop: Header=BB60_11 Depth=1
	s_or_b64 exec, exec, s[6:7]
	global_load_ushort v64, v[0:1], off offset:64
	v_and_b32_e32 v1, 0x60, v21
	v_bfi_b32 v0, s27, v3, v32
	v_xor_b32_e32 v57, 8, v21
	v_bfi_b32 v32, s27, v4, v56
	s_mul_hi_i32 s7, s2, s11
	s_mul_i32 s6, s2, s11
	v_add_u32_e32 v56, 32, v1
	v_xor_b32_e32 v58, 16, v21
	s_lshl_b64 s[6:7], s[6:7], 2
	v_cmp_lt_i32_e32 vcc, v57, v56
	s_waitcnt vmcnt(1)
	v_fma_mix_f32 v74, s10, v0, v2 op_sel_hi:[0,0,1]
	s_add_u32 s6, s8, s6
	v_cndmask_b32_e32 v0, v21, v57, vcc
	v_cmp_lt_i32_e32 vcc, v58, v56
	s_addc_u32 s7, s9, s7
	v_lshlrev_b32_e32 v67, 2, v0
	v_cndmask_b32_e32 v1, v21, v58, vcc
	v_lshlrev_b32_e32 v66, 2, v1
	v_lshl_add_u64 v[0:1], s[6:7], 0, v[24:25]
	v_add_f32_e32 v65, 0x40051340, v74
	v_lshl_add_u64 v[60:61], v[0:1], 0, v[10:11]
	v_lshl_add_u64 v[2:3], s[6:7], 0, v[26:27]
	;; [unrolled: 1-line block ×4, first 2 shown]
	s_barrier
	v_lshl_add_u64 v[62:63], v[2:3], 0, v[10:11]
	v_lshl_add_u64 v[70:71], v[4:5], 0, v[10:11]
	;; [unrolled: 1-line block ×3, first 2 shown]
	v_xor_b32_e32 v59, 4, v21
	v_cmp_lt_i32_e32 vcc, v59, v56
	v_add_u32_e32 v105, 0x800, v35
	v_add_u32_e32 v106, 0x1000, v35
	;; [unrolled: 1-line block ×6, first 2 shown]
	s_or_b32 s6, s2, 32
	s_mul_hi_i32 s7, s6, s11
	s_mul_i32 s6, s6, s11
	s_lshl_b64 s[6:7], s[6:7], 2
	s_add_u32 s6, s8, s6
	s_addc_u32 s7, s9, s7
	v_add_u32_e32 v114, 0x3800, v35
	s_waitcnt vmcnt(0)
	v_fma_mix_f32 v75, s10, v32, v64 op_sel_hi:[0,0,1]
	v_add_f32_e32 v0, 0x40051340, v75
	v_max3_f32 v32, v55, v65, v0
	ds_bpermute_b32 v64, v66, v32
	global_load_dwordx4 v[0:3], v[60:61], off
	global_load_dwordx4 v[4:7], v[62:63], off
	v_cndmask_b32_e32 v61, v21, v59, vcc
	v_lshlrev_b32_e32 v61, 2, v61
	s_waitcnt lgkmcnt(0)
	v_max_f32_e32 v60, v64, v64
	v_max_f32_e32 v32, v32, v60
	ds_bpermute_b32 v60, v67, v32
	global_load_dwordx4 v[62:65], v[70:71], off
	global_load_dwordx4 v[66:69], v[72:73], off
	s_waitcnt lgkmcnt(0)
	v_max_f32_e32 v60, v60, v60
	v_max_f32_e32 v32, v32, v60
	ds_bpermute_b32 v61, v61, v32
	v_xor_b32_e32 v60, 2, v21
	v_cmp_lt_i32_e32 vcc, v60, v56
	s_waitcnt lgkmcnt(0)
	v_max_f32_e32 v61, v61, v61
	v_cndmask_b32_e32 v70, v21, v60, vcc
	v_lshlrev_b32_e32 v70, 2, v70
	v_max_f32_e32 v32, v32, v61
	ds_bpermute_b32 v70, v70, v32
	v_xor_b32_e32 v61, 1, v21
	v_cmp_lt_i32_e32 vcc, v61, v56
	s_waitcnt lgkmcnt(0)
	v_max_f32_e32 v70, v70, v70
	v_cndmask_b32_e32 v71, v21, v61, vcc
	v_lshlrev_b32_e32 v71, 2, v71
	v_max_f32_e32 v32, v32, v70
	ds_bpermute_b32 v70, v71, v32
	s_waitcnt lgkmcnt(0)
	v_max_f32_e32 v70, v70, v70
	v_max_f32_e32 v32, v32, v70
	v_sub_f32_e32 v70, v74, v32
	v_sub_f32_e32 v71, v75, v32
	v_mul_f32_e32 v72, 0x3fb8aa3b, v70
	v_sub_f32_e32 v55, v55, v32
	v_mul_f32_e32 v73, 0x3fb8aa3b, v71
	v_fma_f32 v75, v70, s24, -v72
	v_rndne_f32_e32 v76, v72
	v_mul_f32_e32 v74, 0x3fb8aa3b, v55
	v_fma_f32 v77, v71, s24, -v73
	v_rndne_f32_e32 v78, v73
	v_fmac_f32_e32 v75, 0x32a5705f, v70
	v_sub_f32_e32 v72, v72, v76
	v_fma_f32 v79, v55, s24, -v74
	v_rndne_f32_e32 v80, v74
	v_fmac_f32_e32 v77, 0x32a5705f, v71
	v_sub_f32_e32 v73, v73, v78
	v_add_f32_e32 v72, v72, v75
	v_cvt_i32_f32_e32 v76, v76
	v_fmac_f32_e32 v79, 0x32a5705f, v55
	v_sub_f32_e32 v74, v74, v80
	v_add_f32_e32 v73, v73, v77
	v_exp_f32_e32 v72, v72
	v_cvt_i32_f32_e32 v78, v78
	v_add_f32_e32 v74, v74, v79
	v_exp_f32_e32 v73, v73
	v_cvt_i32_f32_e32 v80, v80
	v_exp_f32_e32 v74, v74
	v_ldexp_f32 v72, v72, v76
	v_cmp_ngt_f32_e32 vcc, s25, v70
	v_ldexp_f32 v73, v73, v78
	v_ldexp_f32 v74, v74, v80
	v_cndmask_b32_e32 v72, 0, v72, vcc
	v_cmp_ngt_f32_e32 vcc, s25, v71
	s_nop 1
	v_cndmask_b32_e32 v73, 0, v73, vcc
	v_cmp_ngt_f32_e32 vcc, s25, v55
	s_nop 1
	v_cndmask_b32_e32 v74, 0, v74, vcc
	v_cmp_nlt_f32_e32 vcc, s26, v70
	s_nop 1
	v_cndmask_b32_e32 v102, v49, v72, vcc
	v_cmp_nlt_f32_e32 vcc, s26, v71
	v_cvt_f16_f32_e32 v70, v102
	s_nop 0
	v_cndmask_b32_e32 v103, v49, v73, vcc
	v_cmp_nlt_f32_e32 vcc, s26, v55
	v_cvt_f16_f32_e32 v71, v103
	ds_write_b16 v43, v70
	ds_write_b16 v43, v71 offset:64
	s_waitcnt vmcnt(3)
	ds_write_b128 v44, v[0:3]
	s_waitcnt vmcnt(2)
	ds_write_b128 v45, v[4:7]
	;; [unrolled: 2-line block ×4, first 2 shown]
	v_cndmask_b32_e32 v104, v49, v74, vcc
	v_cvt_f16_f32_e32 v55, v104
	s_waitcnt lgkmcnt(0)
	s_barrier
	ds_read2_b64 v[62:65], v35 offset1:32
	ds_read_b128 v[66:69], v42
	ds_read_b128 v[70:73], v42 offset:16
	ds_read_b128 v[4:7], v42 offset:32
	;; [unrolled: 1-line block ×3, first 2 shown]
	ds_read2_b64 v[74:77], v35 offset0:64 offset1:96
	ds_read2_b64 v[78:81], v35 offset0:128 offset1:160
	;; [unrolled: 1-line block ×3, first 2 shown]
	s_waitcnt lgkmcnt(6)
	v_mul_u32_u24_sdwa v86, v66, s34 dst_sel:DWORD dst_unused:UNUSED_PAD src0_sel:WORD_0 src1_sel:DWORD
	v_mul_u32_u24_e32 v55, 0x10001, v55
	v_pk_mul_f16 v62, v62, v86
	v_pk_mul_f16 v52, v52, v55
	v_mul_u32_u24_sdwa v66, v66, s34 dst_sel:DWORD dst_unused:UNUSED_PAD src0_sel:WORD_1 src1_sel:DWORD
	v_pk_mul_f16 v63, v63, v86
	v_pk_fma_f16 v54, v54, v55, v62
	v_mul_u32_u24_sdwa v87, v67, s34 dst_sel:DWORD dst_unused:UNUSED_PAD src0_sel:WORD_0 src1_sel:DWORD
	v_pk_fma_f16 v52, v64, v86, v52
	v_pk_fma_f16 v53, v53, v55, v63
	s_waitcnt lgkmcnt(2)
	v_pk_fma_f16 v54, v74, v66, v54
	v_pk_mul_f16 v51, v51, v55
	v_pk_fma_f16 v52, v76, v66, v52
	v_pk_fma_f16 v53, v75, v66, v53
	s_waitcnt lgkmcnt(1)
	v_pk_fma_f16 v54, v78, v87, v54
	v_mul_u32_u24_sdwa v64, v67, s34 dst_sel:DWORD dst_unused:UNUSED_PAD src0_sel:WORD_1 src1_sel:DWORD
	v_pk_fma_f16 v51, v65, v86, v51
	v_pk_fma_f16 v62, v79, v87, v53
	v_pk_fma_f16 v63, v80, v87, v52
	s_waitcnt lgkmcnt(0)
	v_pk_fma_f16 v65, v82, v64, v54
	ds_read2_b64 v[52:55], v105 offset1:32
	v_pk_fma_f16 v51, v77, v66, v51
	v_mul_u32_u24_sdwa v74, v68, s34 dst_sel:DWORD dst_unused:UNUSED_PAD src0_sel:WORD_0 src1_sel:DWORD
	v_pk_fma_f16 v51, v81, v87, v51
	v_pk_fma_f16 v66, v83, v64, v62
	;; [unrolled: 1-line block ×4, first 2 shown]
	s_waitcnt lgkmcnt(0)
	v_pk_fma_f16 v52, v52, v74, v65
	ds_read2_b64 v[62:65], v105 offset0:64 offset1:96
	v_mul_u32_u24_sdwa v68, v68, s34 dst_sel:DWORD dst_unused:UNUSED_PAD src0_sel:WORD_1 src1_sel:DWORD
	v_pk_fma_f16 v66, v53, v74, v66
	v_pk_fma_f16 v67, v54, v74, v67
	;; [unrolled: 1-line block ×3, first 2 shown]
	s_waitcnt lgkmcnt(0)
	v_pk_fma_f16 v62, v62, v68, v52
	ds_read2_b64 v[52:55], v105 offset0:128 offset1:160
	v_pk_fma_f16 v66, v63, v68, v66
	v_pk_fma_f16 v67, v64, v68, v67
	;; [unrolled: 1-line block ×3, first 2 shown]
	v_mul_u32_u24_sdwa v68, v69, s34 dst_sel:DWORD dst_unused:UNUSED_PAD src0_sel:WORD_0 src1_sel:DWORD
	s_waitcnt lgkmcnt(0)
	v_pk_fma_f16 v52, v52, v68, v62
	ds_read2_b64 v[62:65], v105 offset0:192 offset1:224
	v_pk_fma_f16 v66, v53, v68, v66
	v_pk_fma_f16 v67, v54, v68, v67
	;; [unrolled: 1-line block ×3, first 2 shown]
	v_mul_u32_u24_sdwa v68, v69, s34 dst_sel:DWORD dst_unused:UNUSED_PAD src0_sel:WORD_1 src1_sel:DWORD
	s_waitcnt lgkmcnt(0)
	v_pk_fma_f16 v62, v62, v68, v52
	ds_read2_b64 v[52:55], v106 offset1:32
	v_pk_fma_f16 v66, v63, v68, v66
	v_pk_fma_f16 v67, v64, v68, v67
	;; [unrolled: 1-line block ×3, first 2 shown]
	v_mul_u32_u24_sdwa v68, v70, s34 dst_sel:DWORD dst_unused:UNUSED_PAD src0_sel:WORD_0 src1_sel:DWORD
	s_waitcnt lgkmcnt(0)
	v_pk_fma_f16 v52, v52, v68, v62
	ds_read2_b64 v[62:65], v106 offset0:64 offset1:96
	v_pk_fma_f16 v66, v53, v68, v66
	v_pk_fma_f16 v67, v54, v68, v67
	;; [unrolled: 1-line block ×3, first 2 shown]
	v_mul_u32_u24_sdwa v68, v70, s34 dst_sel:DWORD dst_unused:UNUSED_PAD src0_sel:WORD_1 src1_sel:DWORD
	s_waitcnt lgkmcnt(0)
	v_pk_fma_f16 v62, v62, v68, v52
	ds_read2_b64 v[52:55], v106 offset0:128 offset1:160
	v_pk_fma_f16 v66, v63, v68, v66
	v_pk_fma_f16 v67, v64, v68, v67
	;; [unrolled: 1-line block ×3, first 2 shown]
	v_mul_u32_u24_sdwa v68, v71, s34 dst_sel:DWORD dst_unused:UNUSED_PAD src0_sel:WORD_0 src1_sel:DWORD
	s_waitcnt lgkmcnt(0)
	v_pk_fma_f16 v52, v52, v68, v62
	ds_read2_b64 v[62:65], v106 offset0:192 offset1:224
	v_pk_fma_f16 v66, v53, v68, v66
	v_pk_fma_f16 v67, v54, v68, v67
	;; [unrolled: 1-line block ×3, first 2 shown]
	v_mul_u32_u24_sdwa v68, v71, s34 dst_sel:DWORD dst_unused:UNUSED_PAD src0_sel:WORD_1 src1_sel:DWORD
	s_waitcnt lgkmcnt(0)
	v_pk_fma_f16 v62, v62, v68, v52
	ds_read2_b64 v[52:55], v107 offset1:32
	v_pk_fma_f16 v66, v63, v68, v66
	v_pk_fma_f16 v67, v64, v68, v67
	;; [unrolled: 1-line block ×3, first 2 shown]
	v_mul_u32_u24_sdwa v68, v72, s34 dst_sel:DWORD dst_unused:UNUSED_PAD src0_sel:WORD_0 src1_sel:DWORD
	s_waitcnt lgkmcnt(0)
	v_pk_fma_f16 v52, v52, v68, v62
	ds_read2_b64 v[62:65], v107 offset0:64 offset1:96
	v_pk_fma_f16 v66, v53, v68, v66
	v_pk_fma_f16 v67, v54, v68, v67
	v_pk_fma_f16 v51, v55, v68, v51
	v_mul_u32_u24_sdwa v68, v72, s34 dst_sel:DWORD dst_unused:UNUSED_PAD src0_sel:WORD_1 src1_sel:DWORD
	s_waitcnt lgkmcnt(0)
	v_pk_fma_f16 v62, v62, v68, v52
	ds_read2_b64 v[52:55], v107 offset0:128 offset1:160
	v_pk_fma_f16 v66, v63, v68, v66
	v_pk_fma_f16 v67, v64, v68, v67
	;; [unrolled: 1-line block ×3, first 2 shown]
	v_mul_u32_u24_sdwa v68, v73, s34 dst_sel:DWORD dst_unused:UNUSED_PAD src0_sel:WORD_0 src1_sel:DWORD
	s_waitcnt lgkmcnt(0)
	v_pk_fma_f16 v52, v52, v68, v62
	ds_read2_b64 v[62:65], v107 offset0:192 offset1:224
	v_pk_fma_f16 v66, v53, v68, v66
	v_pk_fma_f16 v67, v54, v68, v67
	;; [unrolled: 1-line block ×3, first 2 shown]
	v_mul_u32_u24_sdwa v68, v73, s34 dst_sel:DWORD dst_unused:UNUSED_PAD src0_sel:WORD_1 src1_sel:DWORD
	s_waitcnt lgkmcnt(0)
	v_pk_fma_f16 v62, v62, v68, v52
	ds_read2_b64 v[52:55], v108 offset1:32
	v_pk_fma_f16 v66, v63, v68, v66
	v_pk_fma_f16 v67, v64, v68, v67
	;; [unrolled: 1-line block ×3, first 2 shown]
	v_mul_u32_u24_sdwa v68, v4, s34 dst_sel:DWORD dst_unused:UNUSED_PAD src0_sel:WORD_0 src1_sel:DWORD
	s_waitcnt lgkmcnt(0)
	v_pk_fma_f16 v52, v52, v68, v62
	ds_read2_b64 v[62:65], v108 offset0:64 offset1:96
	v_mul_u32_u24_sdwa v4, v4, s34 dst_sel:DWORD dst_unused:UNUSED_PAD src0_sel:WORD_1 src1_sel:DWORD
	v_pk_fma_f16 v66, v53, v68, v66
	v_pk_fma_f16 v67, v54, v68, v67
	;; [unrolled: 1-line block ×3, first 2 shown]
	s_waitcnt lgkmcnt(0)
	v_pk_fma_f16 v62, v62, v4, v52
	ds_read2_b64 v[52:55], v108 offset0:128 offset1:160
	v_pk_fma_f16 v66, v63, v4, v66
	v_pk_fma_f16 v67, v64, v4, v67
	v_pk_fma_f16 v4, v65, v4, v51
	v_mul_u32_u24_sdwa v51, v5, s34 dst_sel:DWORD dst_unused:UNUSED_PAD src0_sel:WORD_0 src1_sel:DWORD
	s_waitcnt lgkmcnt(0)
	v_pk_fma_f16 v52, v52, v51, v62
	ds_read2_b64 v[62:65], v108 offset0:192 offset1:224
	v_mul_u32_u24_sdwa v5, v5, s34 dst_sel:DWORD dst_unused:UNUSED_PAD src0_sel:WORD_1 src1_sel:DWORD
	v_pk_fma_f16 v66, v53, v51, v66
	v_pk_fma_f16 v67, v54, v51, v67
	;; [unrolled: 1-line block ×3, first 2 shown]
	s_waitcnt lgkmcnt(0)
	v_pk_fma_f16 v51, v62, v5, v52
	ds_read2_b64 v[52:55], v109 offset1:32
	v_pk_fma_f16 v66, v63, v5, v66
	v_pk_fma_f16 v67, v64, v5, v67
	;; [unrolled: 1-line block ×3, first 2 shown]
	ds_read2_b64 v[62:65], v109 offset0:64 offset1:96
	v_mul_u32_u24_sdwa v5, v6, s34 dst_sel:DWORD dst_unused:UNUSED_PAD src0_sel:WORD_0 src1_sel:DWORD
	s_waitcnt lgkmcnt(1)
	v_pk_fma_f16 v51, v52, v5, v51
	v_pk_fma_f16 v66, v53, v5, v66
	;; [unrolled: 1-line block ×4, first 2 shown]
	v_mul_u32_u24_sdwa v5, v6, s34 dst_sel:DWORD dst_unused:UNUSED_PAD src0_sel:WORD_1 src1_sel:DWORD
	ds_read2_b64 v[52:55], v109 offset0:128 offset1:160
	s_waitcnt lgkmcnt(1)
	v_pk_fma_f16 v6, v62, v5, v51
	v_pk_fma_f16 v51, v63, v5, v66
	;; [unrolled: 1-line block ×4, first 2 shown]
	ds_read2_b64 v[62:65], v109 offset0:192 offset1:224
	v_mul_u32_u24_sdwa v5, v7, s34 dst_sel:DWORD dst_unused:UNUSED_PAD src0_sel:WORD_0 src1_sel:DWORD
	s_waitcnt lgkmcnt(1)
	v_pk_fma_f16 v6, v52, v5, v6
	v_pk_fma_f16 v52, v54, v5, v66
	v_mul_u32_u24_sdwa v54, v7, s34 dst_sel:DWORD dst_unused:UNUSED_PAD src0_sel:WORD_1 src1_sel:DWORD
	v_pk_fma_f16 v51, v53, v5, v51
	v_pk_fma_f16 v53, v55, v5, v4
	s_waitcnt lgkmcnt(0)
	v_pk_fma_f16 v55, v62, v54, v6
	ds_read2_b64 v[4:7], v110 offset1:32
	v_pk_fma_f16 v51, v63, v54, v51
	v_pk_fma_f16 v62, v64, v54, v52
	;; [unrolled: 1-line block ×3, first 2 shown]
	v_mul_u32_u24_sdwa v64, v0, s34 dst_sel:DWORD dst_unused:UNUSED_PAD src0_sel:WORD_0 src1_sel:DWORD
	s_waitcnt lgkmcnt(0)
	v_pk_fma_f16 v112, v6, v64, v62
	v_pk_fma_f16 v113, v7, v64, v63
	v_lshl_add_u64 v[62:63], s[6:7], 0, v[24:25]
	v_lshl_add_u64 v[62:63], v[62:63], 0, v[10:11]
	;; [unrolled: 1-line block ×3, first 2 shown]
	v_pk_fma_f16 v111, v4, v64, v55
	ds_read2_b64 v[52:55], v110 offset0:64 offset1:96
	v_pk_fma_f16 v51, v5, v64, v51
	ds_read2_b64 v[4:7], v110 offset0:128 offset1:160
	ds_read2_b64 v[64:67], v110 offset0:192 offset1:224
	ds_read2_b64 v[68:71], v114 offset1:32
	ds_read2_b64 v[72:75], v114 offset0:64 offset1:96
	ds_read2_b64 v[76:79], v114 offset0:128 offset1:160
	;; [unrolled: 1-line block ×3, first 2 shown]
	s_waitcnt lgkmcnt(0)
	s_barrier
	v_lshl_add_u64 v[92:93], v[84:85], 0, v[10:11]
	global_load_dwordx4 v[84:87], v[62:63], off
	global_load_dwordx4 v[88:91], v[92:93], off
	v_lshl_add_u64 v[62:63], s[6:7], 0, v[28:29]
	v_lshl_add_u64 v[62:63], v[62:63], 0, v[10:11]
	;; [unrolled: 1-line block ×4, first 2 shown]
	global_load_dwordx4 v[92:95], v[62:63], off
	global_load_dwordx4 v[96:99], v[100:101], off
	v_mul_u32_u24_sdwa v0, v0, s34 dst_sel:DWORD dst_unused:UNUSED_PAD src0_sel:WORD_1 src1_sel:DWORD
	v_pk_fma_f16 v52, v52, v0, v111
	v_pk_fma_f16 v51, v53, v0, v51
	;; [unrolled: 1-line block ×4, first 2 shown]
	v_mul_u32_u24_sdwa v54, v1, s34 dst_sel:DWORD dst_unused:UNUSED_PAD src0_sel:WORD_0 src1_sel:DWORD
	v_pk_fma_f16 v4, v4, v54, v52
	v_pk_fma_f16 v5, v5, v54, v51
	;; [unrolled: 1-line block ×4, first 2 shown]
	v_mul_u32_u24_sdwa v1, v1, s34 dst_sel:DWORD dst_unused:UNUSED_PAD src0_sel:WORD_1 src1_sel:DWORD
	v_pk_fma_f16 v4, v64, v1, v4
	v_pk_fma_f16 v5, v65, v1, v5
	;; [unrolled: 1-line block ×4, first 2 shown]
	v_mul_u32_u24_sdwa v1, v2, s34 dst_sel:DWORD dst_unused:UNUSED_PAD src0_sel:WORD_0 src1_sel:DWORD
	v_pk_fma_f16 v4, v68, v1, v4
	v_pk_fma_f16 v5, v69, v1, v5
	v_pk_fma_f16 v6, v70, v1, v6
	v_pk_fma_f16 v0, v71, v1, v0
	v_mul_u32_u24_sdwa v1, v2, s34 dst_sel:DWORD dst_unused:UNUSED_PAD src0_sel:WORD_1 src1_sel:DWORD
	v_pk_fma_f16 v2, v72, v1, v4
	v_pk_fma_f16 v4, v73, v1, v5
	;; [unrolled: 1-line block ×4, first 2 shown]
	v_mul_u32_u24_sdwa v1, v3, s34 dst_sel:DWORD dst_unused:UNUSED_PAD src0_sel:WORD_0 src1_sel:DWORD
	v_add_f32_e32 v62, v102, v103
	v_pk_fma_f16 v2, v76, v1, v2
	v_pk_fma_f16 v4, v77, v1, v4
	;; [unrolled: 1-line block ×4, first 2 shown]
	v_mul_u32_u24_sdwa v1, v3, s34 dst_sel:DWORD dst_unused:UNUSED_PAD src0_sel:WORD_1 src1_sel:DWORD
	v_fmac_f32_e32 v62, v50, v104
	v_pk_fma_f16 v54, v80, v1, v2
	v_pk_fma_f16 v55, v81, v1, v4
	;; [unrolled: 1-line block ×4, first 2 shown]
	s_waitcnt vmcnt(3)
	ds_write_b128 v44, v[84:87]
	s_waitcnt vmcnt(2)
	ds_write_b128 v45, v[88:91]
	;; [unrolled: 2-line block ×4, first 2 shown]
	s_waitcnt lgkmcnt(0)
	s_barrier
	ds_read_b128 v[50:53], v42 offset:64
	ds_read2_b64 v[64:67], v35 offset1:32
	ds_read_b128 v[68:71], v42 offset:80
	ds_read_b128 v[4:7], v42 offset:96
	;; [unrolled: 1-line block ×3, first 2 shown]
	ds_read2_b64 v[72:75], v35 offset0:64 offset1:96
	s_waitcnt lgkmcnt(5)
	v_mul_u32_u24_sdwa v77, v50, s34 dst_sel:DWORD dst_unused:UNUSED_PAD src0_sel:WORD_0 src1_sel:DWORD
	s_waitcnt lgkmcnt(4)
	v_pk_fma_f16 v54, v64, v77, v54
	v_pk_fma_f16 v55, v65, v77, v55
	v_pk_fma_f16 v63, v66, v77, v63
	v_pk_fma_f16 v76, v67, v77, v76
	v_mul_u32_u24_sdwa v50, v50, s34 dst_sel:DWORD dst_unused:UNUSED_PAD src0_sel:WORD_1 src1_sel:DWORD
	ds_read2_b64 v[64:67], v35 offset0:128 offset1:160
	s_waitcnt lgkmcnt(1)
	v_pk_fma_f16 v54, v72, v50, v54
	v_pk_fma_f16 v55, v73, v50, v55
	v_pk_fma_f16 v63, v74, v50, v63
	v_pk_fma_f16 v50, v75, v50, v76
	ds_read2_b64 v[72:75], v35 offset0:192 offset1:224
	v_mul_u32_u24_sdwa v76, v51, s34 dst_sel:DWORD dst_unused:UNUSED_PAD src0_sel:WORD_0 src1_sel:DWORD
	s_waitcnt lgkmcnt(1)
	v_pk_fma_f16 v54, v64, v76, v54
	v_pk_fma_f16 v55, v65, v76, v55
	v_pk_fma_f16 v63, v66, v76, v63
	v_pk_fma_f16 v50, v67, v76, v50
	v_mul_u32_u24_sdwa v51, v51, s34 dst_sel:DWORD dst_unused:UNUSED_PAD src0_sel:WORD_1 src1_sel:DWORD
	ds_read2_b64 v[64:67], v105 offset1:32
	s_waitcnt lgkmcnt(1)
	v_pk_fma_f16 v54, v72, v51, v54
	v_pk_fma_f16 v55, v73, v51, v55
	;; [unrolled: 1-line block ×4, first 2 shown]
	ds_read2_b64 v[72:75], v105 offset0:64 offset1:96
	v_mul_u32_u24_sdwa v51, v52, s34 dst_sel:DWORD dst_unused:UNUSED_PAD src0_sel:WORD_0 src1_sel:DWORD
	s_waitcnt lgkmcnt(1)
	v_pk_fma_f16 v54, v64, v51, v54
	v_pk_fma_f16 v55, v65, v51, v55
	;; [unrolled: 1-line block ×4, first 2 shown]
	v_mul_u32_u24_sdwa v51, v52, s34 dst_sel:DWORD dst_unused:UNUSED_PAD src0_sel:WORD_1 src1_sel:DWORD
	ds_read2_b64 v[64:67], v105 offset0:128 offset1:160
	s_waitcnt lgkmcnt(1)
	v_pk_fma_f16 v52, v72, v51, v54
	v_pk_fma_f16 v54, v73, v51, v55
	;; [unrolled: 1-line block ×4, first 2 shown]
	ds_read2_b64 v[72:75], v105 offset0:192 offset1:224
	v_mul_u32_u24_sdwa v51, v53, s34 dst_sel:DWORD dst_unused:UNUSED_PAD src0_sel:WORD_0 src1_sel:DWORD
	s_waitcnt lgkmcnt(1)
	v_pk_fma_f16 v52, v64, v51, v52
	v_mul_u32_u24_sdwa v64, v53, s34 dst_sel:DWORD dst_unused:UNUSED_PAD src0_sel:WORD_1 src1_sel:DWORD
	v_pk_fma_f16 v54, v65, v51, v54
	v_pk_fma_f16 v55, v66, v51, v55
	;; [unrolled: 1-line block ×3, first 2 shown]
	s_waitcnt lgkmcnt(0)
	v_pk_fma_f16 v65, v72, v64, v52
	ds_read2_b64 v[50:53], v106 offset1:32
	v_mul_u32_u24_sdwa v72, v68, s34 dst_sel:DWORD dst_unused:UNUSED_PAD src0_sel:WORD_0 src1_sel:DWORD
	v_pk_fma_f16 v54, v73, v64, v54
	v_pk_fma_f16 v55, v74, v64, v55
	;; [unrolled: 1-line block ×3, first 2 shown]
	s_waitcnt lgkmcnt(0)
	v_pk_fma_f16 v50, v50, v72, v65
	ds_read2_b64 v[64:67], v106 offset0:64 offset1:96
	v_mul_u32_u24_sdwa v68, v68, s34 dst_sel:DWORD dst_unused:UNUSED_PAD src0_sel:WORD_1 src1_sel:DWORD
	v_pk_fma_f16 v54, v51, v72, v54
	v_pk_fma_f16 v55, v52, v72, v55
	;; [unrolled: 1-line block ×3, first 2 shown]
	s_waitcnt lgkmcnt(0)
	v_pk_fma_f16 v64, v64, v68, v50
	ds_read2_b64 v[50:53], v106 offset0:128 offset1:160
	v_pk_fma_f16 v54, v65, v68, v54
	v_pk_fma_f16 v55, v66, v68, v55
	;; [unrolled: 1-line block ×3, first 2 shown]
	v_mul_u32_u24_sdwa v68, v69, s34 dst_sel:DWORD dst_unused:UNUSED_PAD src0_sel:WORD_0 src1_sel:DWORD
	s_waitcnt lgkmcnt(0)
	v_pk_fma_f16 v50, v50, v68, v64
	ds_read2_b64 v[64:67], v106 offset0:192 offset1:224
	v_pk_fma_f16 v54, v51, v68, v54
	v_pk_fma_f16 v55, v52, v68, v55
	;; [unrolled: 1-line block ×3, first 2 shown]
	v_mul_u32_u24_sdwa v68, v69, s34 dst_sel:DWORD dst_unused:UNUSED_PAD src0_sel:WORD_1 src1_sel:DWORD
	s_waitcnt lgkmcnt(0)
	v_pk_fma_f16 v64, v64, v68, v50
	ds_read2_b64 v[50:53], v107 offset1:32
	v_pk_fma_f16 v54, v65, v68, v54
	v_pk_fma_f16 v55, v66, v68, v55
	v_pk_fma_f16 v63, v67, v68, v63
	v_mul_u32_u24_sdwa v68, v70, s34 dst_sel:DWORD dst_unused:UNUSED_PAD src0_sel:WORD_0 src1_sel:DWORD
	s_waitcnt lgkmcnt(0)
	v_pk_fma_f16 v50, v50, v68, v64
	ds_read2_b64 v[64:67], v107 offset0:64 offset1:96
	v_pk_fma_f16 v54, v51, v68, v54
	v_pk_fma_f16 v55, v52, v68, v55
	;; [unrolled: 1-line block ×3, first 2 shown]
	v_mul_u32_u24_sdwa v68, v70, s34 dst_sel:DWORD dst_unused:UNUSED_PAD src0_sel:WORD_1 src1_sel:DWORD
	s_waitcnt lgkmcnt(0)
	v_pk_fma_f16 v64, v64, v68, v50
	ds_read2_b64 v[50:53], v107 offset0:128 offset1:160
	v_pk_fma_f16 v54, v65, v68, v54
	v_pk_fma_f16 v55, v66, v68, v55
	;; [unrolled: 1-line block ×3, first 2 shown]
	v_mul_u32_u24_sdwa v68, v71, s34 dst_sel:DWORD dst_unused:UNUSED_PAD src0_sel:WORD_0 src1_sel:DWORD
	s_waitcnt lgkmcnt(0)
	v_pk_fma_f16 v50, v50, v68, v64
	ds_read2_b64 v[64:67], v107 offset0:192 offset1:224
	v_pk_fma_f16 v54, v51, v68, v54
	v_pk_fma_f16 v55, v52, v68, v55
	;; [unrolled: 1-line block ×3, first 2 shown]
	v_mul_u32_u24_sdwa v68, v71, s34 dst_sel:DWORD dst_unused:UNUSED_PAD src0_sel:WORD_1 src1_sel:DWORD
	s_waitcnt lgkmcnt(0)
	v_pk_fma_f16 v64, v64, v68, v50
	ds_read2_b64 v[50:53], v108 offset1:32
	v_pk_fma_f16 v54, v65, v68, v54
	v_pk_fma_f16 v55, v66, v68, v55
	;; [unrolled: 1-line block ×3, first 2 shown]
	v_mul_u32_u24_sdwa v68, v4, s34 dst_sel:DWORD dst_unused:UNUSED_PAD src0_sel:WORD_0 src1_sel:DWORD
	s_waitcnt lgkmcnt(0)
	v_pk_fma_f16 v50, v50, v68, v64
	ds_read2_b64 v[64:67], v108 offset0:64 offset1:96
	v_mul_u32_u24_sdwa v4, v4, s34 dst_sel:DWORD dst_unused:UNUSED_PAD src0_sel:WORD_1 src1_sel:DWORD
	v_pk_fma_f16 v54, v51, v68, v54
	v_pk_fma_f16 v55, v52, v68, v55
	;; [unrolled: 1-line block ×3, first 2 shown]
	s_waitcnt lgkmcnt(0)
	v_pk_fma_f16 v64, v64, v4, v50
	ds_read2_b64 v[50:53], v108 offset0:128 offset1:160
	v_pk_fma_f16 v54, v65, v4, v54
	v_pk_fma_f16 v55, v66, v4, v55
	;; [unrolled: 1-line block ×3, first 2 shown]
	v_mul_u32_u24_sdwa v63, v5, s34 dst_sel:DWORD dst_unused:UNUSED_PAD src0_sel:WORD_0 src1_sel:DWORD
	s_waitcnt lgkmcnt(0)
	v_pk_fma_f16 v50, v50, v63, v64
	ds_read2_b64 v[64:67], v108 offset0:192 offset1:224
	v_mul_u32_u24_sdwa v5, v5, s34 dst_sel:DWORD dst_unused:UNUSED_PAD src0_sel:WORD_1 src1_sel:DWORD
	v_pk_fma_f16 v54, v51, v63, v54
	v_pk_fma_f16 v55, v52, v63, v55
	;; [unrolled: 1-line block ×3, first 2 shown]
	s_waitcnt lgkmcnt(0)
	v_pk_fma_f16 v63, v64, v5, v50
	ds_read2_b64 v[50:53], v109 offset1:32
	v_pk_fma_f16 v54, v65, v5, v54
	v_pk_fma_f16 v55, v66, v5, v55
	;; [unrolled: 1-line block ×3, first 2 shown]
	ds_read2_b64 v[64:67], v109 offset0:64 offset1:96
	v_mul_u32_u24_sdwa v5, v6, s34 dst_sel:DWORD dst_unused:UNUSED_PAD src0_sel:WORD_0 src1_sel:DWORD
	s_waitcnt lgkmcnt(1)
	v_pk_fma_f16 v50, v50, v5, v63
	v_pk_fma_f16 v54, v51, v5, v54
	;; [unrolled: 1-line block ×4, first 2 shown]
	v_mul_u32_u24_sdwa v5, v6, s34 dst_sel:DWORD dst_unused:UNUSED_PAD src0_sel:WORD_1 src1_sel:DWORD
	s_waitcnt lgkmcnt(0)
	v_pk_fma_f16 v6, v64, v5, v50
	ds_read2_b64 v[50:53], v109 offset0:128 offset1:160
	v_pk_fma_f16 v54, v65, v5, v54
	v_pk_fma_f16 v55, v66, v5, v55
	;; [unrolled: 1-line block ×3, first 2 shown]
	ds_read2_b64 v[64:67], v109 offset0:192 offset1:224
	v_mul_u32_u24_sdwa v5, v7, s34 dst_sel:DWORD dst_unused:UNUSED_PAD src0_sel:WORD_0 src1_sel:DWORD
	s_waitcnt lgkmcnt(1)
	v_pk_fma_f16 v6, v50, v5, v6
	v_pk_fma_f16 v50, v51, v5, v54
	;; [unrolled: 1-line block ×4, first 2 shown]
	v_mul_u32_u24_sdwa v53, v7, s34 dst_sel:DWORD dst_unused:UNUSED_PAD src0_sel:WORD_1 src1_sel:DWORD
	s_waitcnt lgkmcnt(0)
	v_pk_fma_f16 v54, v64, v53, v6
	ds_read2_b64 v[4:7], v110 offset1:32
	v_pk_fma_f16 v55, v65, v53, v50
	v_pk_fma_f16 v63, v66, v53, v51
	;; [unrolled: 1-line block ×3, first 2 shown]
	ds_read2_b64 v[50:53], v110 offset0:64 offset1:96
	v_mul_u32_u24_sdwa v65, v0, s34 dst_sel:DWORD dst_unused:UNUSED_PAD src0_sel:WORD_0 src1_sel:DWORD
	s_waitcnt lgkmcnt(1)
	v_pk_fma_f16 v4, v4, v65, v54
	v_mul_u32_u24_sdwa v0, v0, s34 dst_sel:DWORD dst_unused:UNUSED_PAD src0_sel:WORD_1 src1_sel:DWORD
	v_pk_fma_f16 v54, v5, v65, v55
	v_pk_fma_f16 v55, v6, v65, v63
	;; [unrolled: 1-line block ×3, first 2 shown]
	s_waitcnt lgkmcnt(0)
	v_pk_fma_f16 v50, v50, v0, v4
	ds_read2_b64 v[4:7], v110 offset0:128 offset1:160
	v_pk_fma_f16 v54, v51, v0, v54
	v_pk_fma_f16 v55, v52, v0, v55
	;; [unrolled: 1-line block ×3, first 2 shown]
	v_mul_u32_u24_sdwa v63, v1, s34 dst_sel:DWORD dst_unused:UNUSED_PAD src0_sel:WORD_0 src1_sel:DWORD
	s_waitcnt lgkmcnt(0)
	v_pk_fma_f16 v4, v4, v63, v50
	ds_read2_b64 v[50:53], v110 offset0:192 offset1:224
	v_mul_u32_u24_sdwa v1, v1, s34 dst_sel:DWORD dst_unused:UNUSED_PAD src0_sel:WORD_1 src1_sel:DWORD
	v_pk_fma_f16 v54, v5, v63, v54
	v_pk_fma_f16 v55, v6, v63, v55
	;; [unrolled: 1-line block ×3, first 2 shown]
	s_waitcnt lgkmcnt(0)
	v_pk_fma_f16 v50, v50, v1, v4
	ds_read2_b64 v[4:7], v114 offset1:32
	v_pk_fma_f16 v54, v51, v1, v54
	v_pk_fma_f16 v55, v52, v1, v55
	;; [unrolled: 1-line block ×3, first 2 shown]
	v_mul_u32_u24_sdwa v1, v2, s34 dst_sel:DWORD dst_unused:UNUSED_PAD src0_sel:WORD_0 src1_sel:DWORD
	s_waitcnt lgkmcnt(0)
	v_pk_fma_f16 v4, v4, v1, v50
	ds_read2_b64 v[50:53], v114 offset0:64 offset1:96
	v_pk_fma_f16 v54, v5, v1, v54
	v_pk_fma_f16 v55, v6, v1, v55
	v_pk_fma_f16 v0, v7, v1, v0
	v_mul_u32_u24_sdwa v1, v2, s34 dst_sel:DWORD dst_unused:UNUSED_PAD src0_sel:WORD_1 src1_sel:DWORD
	s_waitcnt lgkmcnt(0)
	v_pk_fma_f16 v2, v50, v1, v4
	ds_read2_b64 v[4:7], v114 offset0:128 offset1:160
	v_pk_fma_f16 v50, v51, v1, v54
	v_pk_fma_f16 v51, v52, v1, v55
	;; [unrolled: 1-line block ×3, first 2 shown]
	v_mul_u32_u24_sdwa v1, v3, s34 dst_sel:DWORD dst_unused:UNUSED_PAD src0_sel:WORD_0 src1_sel:DWORD
	s_waitcnt lgkmcnt(0)
	v_pk_fma_f16 v2, v4, v1, v2
	v_pk_fma_f16 v50, v5, v1, v50
	;; [unrolled: 1-line block ×4, first 2 shown]
	ds_read2_b64 v[4:7], v114 offset0:192 offset1:224
	s_waitcnt lgkmcnt(0)
	s_barrier
	s_load_dword s6, s[4:5], 0x4
	v_mul_u32_u24_sdwa v1, v3, s34 dst_sel:DWORD dst_unused:UNUSED_PAD src0_sel:WORD_1 src1_sel:DWORD
	v_pk_fma_f16 v54, v4, v1, v2
	v_pk_fma_f16 v53, v5, v1, v50
	;; [unrolled: 1-line block ×3, first 2 shown]
	s_waitcnt lgkmcnt(0)
	s_lshl_b32 s6, s6, 6
	s_add_i32 s2, s6, s2
	s_cmp_ge_i32 s2, s28
	v_pk_fma_f16 v51, v7, v1, v0
	s_cbranch_scc1 .LBB60_7
; %bb.20:                               ;   in Loop: Header=BB60_11 Depth=1
	v_mov_b32_e32 v55, v32
	v_mov_b32_e32 v50, v62
	s_branch .LBB60_11
.LBB60_21:
	v_mov_b32_e32 v3, v33
.LBB60_22:
	s_load_dword s2, s[0:1], 0xd4
	v_div_scale_f32 v1, s[0:1], v3, v3, 1.0
	v_rcp_f32_e32 v2, v1
	s_mul_i32 s33, s33, s22
	s_waitcnt lgkmcnt(0)
	s_cmp_lg_u32 s2, 1
	s_cselect_b64 s[0:1], -1, 0
	v_fma_f32 v4, -v1, v2, 1.0
	v_fmac_f32_e32 v2, v4, v2
	v_div_scale_f32 v4, vcc, 1.0, v3, 1.0
	v_mul_f32_e32 v5, v4, v2
	v_fma_f32 v6, -v1, v5, v4
	v_fmac_f32_e32 v5, v6, v2
	v_fma_f32 v1, -v1, v5, v4
	v_div_fmas_f32 v1, v1, v2, v5
	v_div_fixup_f32 v1, v1, v3, 1.0
	v_cndmask_b32_e64 v6, v1, 1.0, s[0:1]
	v_add_u32_e32 v1, s33, v9
	v_mad_u64_u32 v[0:1], s[4:5], v1, s23, v[0:1]
	v_cvt_f32_f16_sdwa v3, v54 dst_sel:DWORD dst_unused:UNUSED_PAD src0_sel:WORD_1
	v_cvt_f32_f16_e32 v2, v54
	v_cvt_f32_f16_sdwa v5, v53 dst_sel:DWORD dst_unused:UNUSED_PAD src0_sel:WORD_1
	v_cvt_f32_f16_e32 v4, v53
	v_mul_lo_u32 v0, s2, v0
	v_add_u32_e32 v0, s3, v0
	v_lshl_add_u32 v10, v0, 8, v34
	v_mov_b32_e32 v11, 0
	v_cmp_eq_u32_e32 vcc, 0, v8
	v_lshl_add_u64 v[8:9], v[10:11], 2, s[16:17]
	v_pk_mul_f32 v[2:3], v[6:7], v[2:3] op_sel_hi:[0,1]
	v_pk_mul_f32 v[4:5], v[6:7], v[4:5] op_sel_hi:[0,1]
	global_store_dwordx4 v[8:9], v[2:5], off
	v_add_u32_e32 v10, 0x80, v10
	v_lshl_add_u64 v[8:9], v[10:11], 2, s[16:17]
	v_cvt_f32_f16_sdwa v3, v52 dst_sel:DWORD dst_unused:UNUSED_PAD src0_sel:WORD_1
	v_cvt_f32_f16_e32 v2, v52
	v_cvt_f32_f16_sdwa v5, v51 dst_sel:DWORD dst_unused:UNUSED_PAD src0_sel:WORD_1
	v_cvt_f32_f16_e32 v4, v51
	s_and_b64 s[0:1], vcc, s[0:1]
	v_pk_mul_f32 v[2:3], v[6:7], v[2:3] op_sel_hi:[0,1]
	v_pk_mul_f32 v[4:5], v[6:7], v[4:5] op_sel_hi:[0,1]
	global_store_dwordx4 v[8:9], v[2:5], off
	s_and_saveexec_b64 s[2:3], s[0:1]
	s_cbranch_execz .LBB60_24
; %bb.23:
	v_mov_b32_e32 v2, s18
	v_mov_b32_e32 v3, s19
	v_ashrrev_i32_e32 v1, 31, v0
	v_lshl_add_u64 v[0:1], v[0:1], 3, v[2:3]
	global_store_dwordx2 v[0:1], v[32:33], off
.LBB60_24:
	s_endpgm
	.section	.rodata,"a",@progbits
	.p2align	6, 0x0
	.amdhsa_kernel _ZL15flash_attn_tileILi256ELi256ELi1ELi8ELb1EEvPKcS1_S1_S1_S1_PKiPfP15HIP_vector_typeIfLj2EEffffjfiS5_IjLj3EEiiiiiiiiiiiliiliiiiil
		.amdhsa_group_segment_fixed_size 22528
		.amdhsa_private_segment_fixed_size 0
		.amdhsa_kernarg_size 464
		.amdhsa_user_sgpr_count 2
		.amdhsa_user_sgpr_dispatch_ptr 0
		.amdhsa_user_sgpr_queue_ptr 0
		.amdhsa_user_sgpr_kernarg_segment_ptr 1
		.amdhsa_user_sgpr_dispatch_id 0
		.amdhsa_user_sgpr_kernarg_preload_length 0
		.amdhsa_user_sgpr_kernarg_preload_offset 0
		.amdhsa_user_sgpr_private_segment_size 0
		.amdhsa_uses_dynamic_stack 0
		.amdhsa_enable_private_segment 0
		.amdhsa_system_sgpr_workgroup_id_x 1
		.amdhsa_system_sgpr_workgroup_id_y 1
		.amdhsa_system_sgpr_workgroup_id_z 1
		.amdhsa_system_sgpr_workgroup_info 0
		.amdhsa_system_vgpr_workitem_id 1
		.amdhsa_next_free_vgpr 115
		.amdhsa_next_free_sgpr 75
		.amdhsa_accum_offset 116
		.amdhsa_reserve_vcc 1
		.amdhsa_float_round_mode_32 0
		.amdhsa_float_round_mode_16_64 0
		.amdhsa_float_denorm_mode_32 3
		.amdhsa_float_denorm_mode_16_64 3
		.amdhsa_dx10_clamp 1
		.amdhsa_ieee_mode 1
		.amdhsa_fp16_overflow 0
		.amdhsa_tg_split 0
		.amdhsa_exception_fp_ieee_invalid_op 0
		.amdhsa_exception_fp_denorm_src 0
		.amdhsa_exception_fp_ieee_div_zero 0
		.amdhsa_exception_fp_ieee_overflow 0
		.amdhsa_exception_fp_ieee_underflow 0
		.amdhsa_exception_fp_ieee_inexact 0
		.amdhsa_exception_int_div_zero 0
	.end_amdhsa_kernel
	.section	.text._ZL15flash_attn_tileILi256ELi256ELi1ELi8ELb1EEvPKcS1_S1_S1_S1_PKiPfP15HIP_vector_typeIfLj2EEffffjfiS5_IjLj3EEiiiiiiiiiiiliiliiiiil,"axG",@progbits,_ZL15flash_attn_tileILi256ELi256ELi1ELi8ELb1EEvPKcS1_S1_S1_S1_PKiPfP15HIP_vector_typeIfLj2EEffffjfiS5_IjLj3EEiiiiiiiiiiiliiliiiiil,comdat
.Lfunc_end60:
	.size	_ZL15flash_attn_tileILi256ELi256ELi1ELi8ELb1EEvPKcS1_S1_S1_S1_PKiPfP15HIP_vector_typeIfLj2EEffffjfiS5_IjLj3EEiiiiiiiiiiiliiliiiiil, .Lfunc_end60-_ZL15flash_attn_tileILi256ELi256ELi1ELi8ELb1EEvPKcS1_S1_S1_S1_PKiPfP15HIP_vector_typeIfLj2EEffffjfiS5_IjLj3EEiiiiiiiiiiiliiliiiiil
                                        ; -- End function
	.set _ZL15flash_attn_tileILi256ELi256ELi1ELi8ELb1EEvPKcS1_S1_S1_S1_PKiPfP15HIP_vector_typeIfLj2EEffffjfiS5_IjLj3EEiiiiiiiiiiiliiliiiiil.num_vgpr, 115
	.set _ZL15flash_attn_tileILi256ELi256ELi1ELi8ELb1EEvPKcS1_S1_S1_S1_PKiPfP15HIP_vector_typeIfLj2EEffffjfiS5_IjLj3EEiiiiiiiiiiiliiliiiiil.num_agpr, 0
	.set _ZL15flash_attn_tileILi256ELi256ELi1ELi8ELb1EEvPKcS1_S1_S1_S1_PKiPfP15HIP_vector_typeIfLj2EEffffjfiS5_IjLj3EEiiiiiiiiiiiliiliiiiil.numbered_sgpr, 40
	.set _ZL15flash_attn_tileILi256ELi256ELi1ELi8ELb1EEvPKcS1_S1_S1_S1_PKiPfP15HIP_vector_typeIfLj2EEffffjfiS5_IjLj3EEiiiiiiiiiiiliiliiiiil.num_named_barrier, 0
	.set _ZL15flash_attn_tileILi256ELi256ELi1ELi8ELb1EEvPKcS1_S1_S1_S1_PKiPfP15HIP_vector_typeIfLj2EEffffjfiS5_IjLj3EEiiiiiiiiiiiliiliiiiil.private_seg_size, 0
	.set _ZL15flash_attn_tileILi256ELi256ELi1ELi8ELb1EEvPKcS1_S1_S1_S1_PKiPfP15HIP_vector_typeIfLj2EEffffjfiS5_IjLj3EEiiiiiiiiiiiliiliiiiil.uses_vcc, 1
	.set _ZL15flash_attn_tileILi256ELi256ELi1ELi8ELb1EEvPKcS1_S1_S1_S1_PKiPfP15HIP_vector_typeIfLj2EEffffjfiS5_IjLj3EEiiiiiiiiiiiliiliiiiil.uses_flat_scratch, 0
	.set _ZL15flash_attn_tileILi256ELi256ELi1ELi8ELb1EEvPKcS1_S1_S1_S1_PKiPfP15HIP_vector_typeIfLj2EEffffjfiS5_IjLj3EEiiiiiiiiiiiliiliiiiil.has_dyn_sized_stack, 0
	.set _ZL15flash_attn_tileILi256ELi256ELi1ELi8ELb1EEvPKcS1_S1_S1_S1_PKiPfP15HIP_vector_typeIfLj2EEffffjfiS5_IjLj3EEiiiiiiiiiiiliiliiiiil.has_recursion, 0
	.set _ZL15flash_attn_tileILi256ELi256ELi1ELi8ELb1EEvPKcS1_S1_S1_S1_PKiPfP15HIP_vector_typeIfLj2EEffffjfiS5_IjLj3EEiiiiiiiiiiiliiliiiiil.has_indirect_call, 0
	.section	.AMDGPU.csdata,"",@progbits
; Kernel info:
; codeLenInByte = 13364
; TotalNumSgprs: 46
; NumVgprs: 115
; NumAgprs: 0
; TotalNumVgprs: 115
; ScratchSize: 0
; MemoryBound: 0
; FloatMode: 240
; IeeeMode: 1
; LDSByteSize: 22528 bytes/workgroup (compile time only)
; SGPRBlocks: 10
; VGPRBlocks: 14
; NumSGPRsForWavesPerEU: 81
; NumVGPRsForWavesPerEU: 115
; AccumOffset: 116
; Occupancy: 4
; WaveLimiterHint : 1
; COMPUTE_PGM_RSRC2:SCRATCH_EN: 0
; COMPUTE_PGM_RSRC2:USER_SGPR: 2
; COMPUTE_PGM_RSRC2:TRAP_HANDLER: 0
; COMPUTE_PGM_RSRC2:TGID_X_EN: 1
; COMPUTE_PGM_RSRC2:TGID_Y_EN: 1
; COMPUTE_PGM_RSRC2:TGID_Z_EN: 1
; COMPUTE_PGM_RSRC2:TIDIG_COMP_CNT: 1
; COMPUTE_PGM_RSRC3_GFX90A:ACCUM_OFFSET: 28
; COMPUTE_PGM_RSRC3_GFX90A:TG_SPLIT: 0
	.section	.text._ZL15flash_attn_tileILi256ELi256ELi8ELi4ELb1EEvPKcS1_S1_S1_S1_PKiPfP15HIP_vector_typeIfLj2EEffffjfiS5_IjLj3EEiiiiiiiiiiiliiliiiiil,"axG",@progbits,_ZL15flash_attn_tileILi256ELi256ELi8ELi4ELb1EEvPKcS1_S1_S1_S1_PKiPfP15HIP_vector_typeIfLj2EEffffjfiS5_IjLj3EEiiiiiiiiiiiliiliiiiil,comdat
	.globl	_ZL15flash_attn_tileILi256ELi256ELi8ELi4ELb1EEvPKcS1_S1_S1_S1_PKiPfP15HIP_vector_typeIfLj2EEffffjfiS5_IjLj3EEiiiiiiiiiiiliiliiiiil ; -- Begin function _ZL15flash_attn_tileILi256ELi256ELi8ELi4ELb1EEvPKcS1_S1_S1_S1_PKiPfP15HIP_vector_typeIfLj2EEffffjfiS5_IjLj3EEiiiiiiiiiiiliiliiiiil
	.p2align	8
	.type	_ZL15flash_attn_tileILi256ELi256ELi8ELi4ELb1EEvPKcS1_S1_S1_S1_PKiPfP15HIP_vector_typeIfLj2EEffffjfiS5_IjLj3EEiiiiiiiiiiiliiliiiiil,@function
_ZL15flash_attn_tileILi256ELi256ELi8ELi4ELb1EEvPKcS1_S1_S1_S1_PKiPfP15HIP_vector_typeIfLj2EEffffjfiS5_IjLj3EEiiiiiiiiiiiliiliiiiil: ; @_ZL15flash_attn_tileILi256ELi256ELi8ELi4ELb1EEvPKcS1_S1_S1_S1_PKiPfP15HIP_vector_typeIfLj2EEffffjfiS5_IjLj3EEiiiiiiiiiiiliiliiiiil
; %bb.0:
	s_load_dwordx4 s[20:23], s[0:1], 0x5c
	s_load_dwordx2 s[30:31], s[0:1], 0x80
	s_load_dwordx2 s[36:37], s[0:1], 0xb8
	s_mov_b64 s[34:35], 0
	s_waitcnt lgkmcnt(0)
	s_ashr_i32 s5, s23, 31
	s_lshr_b32 s5, s5, 30
	s_add_i32 s5, s23, s5
	s_ashr_i32 s5, s5, 2
	v_cvt_f32_u32_e32 v1, s5
	s_sub_i32 s6, 0, s5
	v_rcp_iflag_f32_e32 v1, v1
	s_nop 0
	v_mul_f32_e32 v1, 0x4f7ffffe, v1
	v_cvt_u32_f32_e32 v1, v1
	s_nop 0
	v_readfirstlane_b32 s7, v1
	s_mul_i32 s6, s6, s7
	s_mul_hi_u32 s6, s7, s6
	s_add_i32 s7, s7, s6
	s_mul_hi_u32 s6, s4, s7
	s_mul_i32 s7, s6, s5
	s_sub_i32 s7, s4, s7
	s_add_i32 s8, s6, 1
	s_sub_i32 s9, s7, s5
	s_cmp_ge_u32 s7, s5
	s_cselect_b32 s6, s8, s6
	s_cselect_b32 s7, s9, s7
	s_add_i32 s8, s6, 1
	s_cmp_ge_u32 s7, s5
	s_cselect_b32 s33, s8, s6
	s_abs_i32 s5, s31
	v_cvt_f32_u32_e32 v1, s5
	s_lshl_b32 s4, s4, 2
	s_mul_i32 s8, s33, s23
	s_sub_i32 s9, 0, s5
	v_rcp_iflag_f32_e32 v1, v1
	s_sub_i32 s28, s4, s8
	s_abs_i32 s7, s23
	s_xor_b32 s6, s23, s31
	v_mul_f32_e32 v1, 0x4f7ffffe, v1
	v_cvt_u32_f32_e32 v1, v1
	s_ashr_i32 s6, s6, 31
	v_readfirstlane_b32 s4, v1
	s_mul_i32 s9, s9, s4
	s_mul_hi_u32 s8, s4, s9
	s_add_i32 s4, s4, s8
	s_mul_hi_u32 s4, s7, s4
	s_mul_i32 s8, s4, s5
	s_sub_i32 s7, s7, s8
	s_add_i32 s9, s4, 1
	s_sub_i32 s8, s7, s5
	s_cmp_ge_u32 s7, s5
	s_cselect_b32 s4, s9, s4
	s_cselect_b32 s7, s8, s7
	s_add_i32 s8, s4, 1
	s_cmp_ge_u32 s7, s5
	s_cselect_b32 s4, s8, s4
	s_xor_b32 s4, s4, s6
	s_sub_i32 s31, s4, s6
	s_abs_i32 s29, s31
	v_cvt_f32_u32_e32 v1, s29
	s_load_dwordx16 s[4:19], s[0:1], 0x0
	v_rcp_iflag_f32_e32 v1, v1
	s_waitcnt lgkmcnt(0)
	s_cmp_eq_u64 s[10:11], 0
	v_mul_f32_e32 v1, 0x4f7ffffe, v1
	v_cvt_u32_f32_e32 v1, v1
	s_nop 0
	v_readfirstlane_b32 s38, v1
	s_cbranch_scc1 .LBB61_2
; %bb.1:
	s_abs_i32 s26, s36
	v_cvt_f32_u32_e32 v1, s26
	s_sub_i32 s35, 0, s26
	s_abs_i32 s34, s33
	s_ashr_i32 s27, s33, 31
	v_rcp_iflag_f32_e32 v1, v1
	s_load_dwordx2 s[24:25], s[0:1], 0xc8
	v_mul_f32_e32 v1, 0x4f7ffffe, v1
	v_cvt_u32_f32_e32 v1, v1
	s_nop 0
	v_readfirstlane_b32 s36, v1
	s_mul_i32 s35, s35, s36
	s_mul_hi_u32 s35, s36, s35
	s_add_i32 s36, s36, s35
	s_mul_hi_u32 s35, s34, s36
	s_mul_i32 s35, s35, s26
	s_sub_i32 s34, s34, s35
	s_sub_i32 s35, s34, s26
	s_cmp_ge_u32 s34, s26
	s_cselect_b32 s34, s35, s34
	s_sub_i32 s35, s34, s26
	s_cmp_ge_u32 s34, s26
	s_cselect_b32 s26, s35, s34
	s_xor_b32 s26, s26, s27
	s_sub_i32 s26, s26, s27
	s_ashr_i32 s27, s26, 31
	s_waitcnt lgkmcnt(0)
	s_mul_hi_u32 s34, s24, s26
	s_mul_i32 s27, s24, s27
	s_mul_i32 s25, s25, s26
	s_add_i32 s27, s34, s27
	s_add_i32 s27, s27, s25
	s_mul_i32 s24, s24, s26
	s_add_u32 s34, s10, s24
	s_addc_u32 s35, s11, s27
.LBB61_2:
	s_load_dwordx4 s[24:27], s[0:1], 0x70
	v_bfe_u32 v1, v0, 10, 10
	v_lshl_add_u32 v5, s2, 3, v1
	v_mul_hi_u32 v2, s20, v5
	v_add_u32_e32 v2, v5, v2
	s_waitcnt lgkmcnt(0)
	s_mul_i32 s10, s33, s26
	s_ashr_i32 s26, s10, 31
	s_mul_i32 s11, s28, s25
	s_add_u32 s4, s4, s10
	s_addc_u32 s5, s5, s26
	s_ashr_i32 s10, s11, 31
	s_add_u32 s4, s4, s11
	v_lshrrev_b32_e32 v2, s21, v2
	s_addc_u32 s5, s5, s10
	v_mul_lo_u32 v2, v2, s22
	s_ashr_i32 s11, s24, 31
	s_mov_b32 s10, s24
	v_sub_u32_e32 v2, v5, v2
	s_lshr_b64 s[20:21], s[10:11], 2
	v_mad_u64_u32 v[6:7], s[20:21], s20, v2, 0
	v_mov_b32_e32 v4, v7
	s_lshr_b32 s10, s11, 2
	v_mad_u64_u32 v[8:9], s[10:11], s10, v2, v[4:5]
	v_mov_b32_e32 v7, v8
	v_and_b32_e32 v4, 0x3ff, v0
	v_mov_b32_e32 v9, 0
	v_lshl_add_u64 v[6:7], v[6:7], 2, s[4:5]
	v_lshlrev_b32_e32 v8, 4, v4
	v_lshl_add_u64 v[22:23], v[6:7], 0, v[8:9]
	s_ashr_i32 s5, s25, 31
	s_mov_b32 s4, s25
	global_load_dwordx4 v[6:9], v[22:23], off
	global_load_dwordx4 v[10:13], v[22:23], off offset:512
	s_lshr_b64 s[10:11], s[4:5], 2
	s_and_b32 s4, s25, -4
	v_lshl_add_u64 v[24:25], v[22:23], 0, s[4:5]
	global_load_dwordx4 v[14:17], v[24:25], off
	global_load_dwordx4 v[18:21], v[24:25], off offset:512
	v_lshl_add_u64 v[24:25], s[10:11], 3, v[22:23]
	global_load_dwordx4 v[28:31], v[24:25], off
	global_load_dwordx4 v[32:35], v[24:25], off offset:512
	v_mad_u64_u32 v[22:23], s[10:11], s10, 12, v[22:23]
	v_mov_b32_e32 v0, v23
	v_mad_u64_u32 v[24:25], s[4:5], s5, 12, v[0:1]
	v_mov_b32_e32 v23, v24
	global_load_dwordx4 v[36:39], v[22:23], off
	global_load_dwordx4 v[40:43], v[22:23], off offset:512
	s_load_dword s4, s[0:1], 0x40
	v_lshlrev_b32_e32 v25, 11, v1
	v_lshlrev_b32_e32 v26, 3, v4
	v_add_u32_e32 v0, v25, v26
	s_cmp_eq_u64 s[14:15], 0
	s_waitcnt vmcnt(7) lgkmcnt(0)
	v_fma_mixlo_f16 v3, s4, v6, 0
	v_fma_mixlo_f16 v6, s4, v7, 0
	;; [unrolled: 1-line block ×4, first 2 shown]
	s_waitcnt vmcnt(6)
	v_fma_mixlo_f16 v9, s4, v10, 0
	v_fma_mixlo_f16 v10, s4, v11, 0
	;; [unrolled: 1-line block ×4, first 2 shown]
	v_lshlrev_b32_e32 v6, 16, v6
	v_and_b32_e32 v3, 0xffff, v3
	v_lshlrev_b32_e32 v8, 16, v8
	v_and_b32_e32 v7, 0xffff, v7
	;; [unrolled: 2-line block ×4, first 2 shown]
	s_waitcnt vmcnt(5)
	v_fma_mixlo_f16 v13, s4, v14, 0
	v_fma_mixlo_f16 v14, s4, v15, 0
	v_or_b32_e32 v3, v6, v3
	v_or3_b32 v7, v8, v7, 0
	v_or_b32_e32 v8, v10, v9
	v_or3_b32 v9, v12, v11, 0
	v_lshlrev_b32_e32 v10, 16, v14
	v_and_b32_e32 v11, 0xffff, v13
	v_fma_mixlo_f16 v15, s4, v16, 0
	v_fma_mixlo_f16 v16, s4, v17, 0
	s_waitcnt vmcnt(4)
	v_fma_mixlo_f16 v17, s4, v18, 0
	v_fma_mixlo_f16 v18, s4, v19, 0
	;; [unrolled: 1-line block ×4, first 2 shown]
	s_waitcnt vmcnt(3)
	v_fma_mixlo_f16 v21, s4, v28, 0
	v_fma_mixlo_f16 v22, s4, v29, 0
	v_or3_b32 v6, 0, 0, v3
	v_or3_b32 v8, 0, 0, v8
	v_or_b32_e32 v3, v10, v11
	v_lshlrev_b32_e32 v14, 16, v18
	v_lshlrev_b32_e32 v18, 16, v22
	ds_write2_b64 v0, v[6:7], v[8:9] offset1:32
	v_or3_b32 v10, 0, 0, v3
	v_and_b32_e32 v3, 0xffff, v21
	v_fma_mixlo_f16 v6, s4, v30, 0
	v_fma_mixlo_f16 v7, s4, v31, 0
	v_or_b32_e32 v3, v18, v3
	v_lshlrev_b32_e32 v7, 16, v7
	v_and_b32_e32 v6, 0xffff, v6
	v_or3_b32 v7, v7, v6, 0
	v_or3_b32 v6, 0, 0, v3
	s_waitcnt vmcnt(2)
	v_fma_mixlo_f16 v3, s4, v32, 0
	v_fma_mixlo_f16 v8, s4, v33, 0
	v_lshlrev_b32_e32 v8, 16, v8
	v_and_b32_e32 v3, 0xffff, v3
	v_or_b32_e32 v3, v8, v3
	v_fma_mixlo_f16 v8, s4, v34, 0
	v_fma_mixlo_f16 v9, s4, v35, 0
	v_lshlrev_b32_e32 v9, 16, v9
	v_and_b32_e32 v8, 0xffff, v8
	v_or3_b32 v9, v9, v8, 0
	v_or3_b32 v8, 0, 0, v3
	ds_write2_b64 v0, v[6:7], v[8:9] offset0:128 offset1:160
	s_waitcnt vmcnt(1)
	v_fma_mixlo_f16 v3, s4, v36, 0
	v_fma_mixlo_f16 v6, s4, v37, 0
	v_lshlrev_b32_e32 v6, 16, v6
	v_and_b32_e32 v3, 0xffff, v3
	v_or_b32_e32 v3, v6, v3
	v_fma_mixlo_f16 v6, s4, v38, 0
	v_fma_mixlo_f16 v7, s4, v39, 0
	v_lshlrev_b32_e32 v7, 16, v7
	v_and_b32_e32 v6, 0xffff, v6
	v_or3_b32 v7, v7, v6, 0
	v_or3_b32 v6, 0, 0, v3
	s_waitcnt vmcnt(0)
	v_fma_mixlo_f16 v3, s4, v40, 0
	v_fma_mixlo_f16 v8, s4, v41, 0
	v_lshlrev_b32_e32 v8, 16, v8
	v_and_b32_e32 v3, 0xffff, v3
	v_lshlrev_b32_e32 v12, 16, v16
	v_and_b32_e32 v13, 0xffff, v15
	v_and_b32_e32 v15, 0xffff, v17
	v_or_b32_e32 v3, v8, v3
	v_fma_mixlo_f16 v8, s4, v42, 0
	v_fma_mixlo_f16 v9, s4, v43, 0
	v_lshlrev_b32_e32 v16, 16, v20
	v_and_b32_e32 v17, 0xffff, v19
	v_or3_b32 v11, v12, v13, 0
	v_or_b32_e32 v12, v14, v15
	v_lshlrev_b32_e32 v9, 16, v9
	v_and_b32_e32 v8, 0xffff, v8
	v_or3_b32 v13, v16, v17, 0
	v_or3_b32 v12, 0, 0, v12
	;; [unrolled: 1-line block ×4, first 2 shown]
	ds_write2_b64 v0, v[10:11], v[12:13] offset0:64 offset1:96
	ds_write2_b64 v0, v[6:7], v[8:9] offset0:192 offset1:224
	s_waitcnt lgkmcnt(0)
	s_barrier
	s_cbranch_scc1 .LBB61_4
; %bb.3:
	s_load_dword s4, s[0:1], 0xd0
	s_mov_b32 s5, 0
	s_waitcnt lgkmcnt(0)
	s_mul_i32 s4, s4, s33
	s_add_i32 s4, s4, s2
	s_lshl_b64 s[4:5], s[4:5], 2
	s_add_u32 s4, s14, s4
	s_addc_u32 s5, s15, s5
	s_load_dword s30, s[4:5], 0x0
.LBB61_4:
	s_lshl_b32 s2, s3, 5
	v_lshlrev_b32_e32 v24, 2, v4
	s_waitcnt lgkmcnt(0)
	s_cmp_lt_i32 s2, s30
	v_mbcnt_lo_u32_b32 v0, -1, 0
	s_cbranch_scc1 .LBB61_27
; %bb.5:
	v_mbcnt_hi_u32_b32 v17, -1, v0
	v_and_b32_e32 v3, 0x60, v17
	v_add_u32_e32 v59, 32, v3
	v_xor_b32_e32 v60, 16, v17
	v_xor_b32_e32 v62, 8, v17
	;; [unrolled: 1-line block ×5, first 2 shown]
	s_cbranch_execz .LBB61_28
; %bb.6:
	v_mov_b32_e32 v7, 0
	v_mov_b32_e32 v46, 0
	;; [unrolled: 1-line block ×24, first 2 shown]
.LBB61_7:
	v_cmp_lt_i32_e32 vcc, v60, v59
	s_cmp_lg_u64 s[12:13], 0
	s_cselect_b64 s[4:5], -1, 0
	v_cndmask_b32_e32 v10, v17, v60, vcc
	v_cmp_lt_i32_e32 vcc, v62, v59
	v_lshlrev_b32_e32 v13, 2, v10
	ds_bpermute_b32 v11, v13, v9
	v_cndmask_b32_e32 v10, v17, v62, vcc
	v_cmp_lt_i32_e32 vcc, v63, v59
	v_lshlrev_b32_e32 v14, 2, v10
	ds_bpermute_b32 v12, v13, v6
	v_cndmask_b32_e32 v10, v17, v63, vcc
	v_lshlrev_b32_e32 v15, 2, v10
	ds_bpermute_b32 v10, v13, v8
	ds_bpermute_b32 v13, v13, v7
	v_cmp_lt_i32_e32 vcc, v61, v59
	s_cmp_eq_u32 s3, 0
	s_cselect_b64 s[6:7], -1, 0
	s_waitcnt lgkmcnt(1)
	v_pk_add_f32 v[8:9], v[8:9], v[10:11]
	s_waitcnt lgkmcnt(0)
	v_pk_add_f32 v[6:7], v[6:7], v[12:13]
	ds_bpermute_b32 v10, v14, v8
	ds_bpermute_b32 v11, v14, v9
	;; [unrolled: 1-line block ×4, first 2 shown]
	v_cndmask_b32_e32 v16, v17, v61, vcc
	v_lshlrev_b32_e32 v14, 2, v16
	s_waitcnt lgkmcnt(2)
	v_pk_add_f32 v[8:9], v[8:9], v[10:11]
	ds_bpermute_b32 v10, v15, v8
	s_waitcnt lgkmcnt(1)
	v_pk_add_f32 v[6:7], v[6:7], v[12:13]
	ds_bpermute_b32 v11, v15, v9
	ds_bpermute_b32 v12, v15, v6
	;; [unrolled: 1-line block ×3, first 2 shown]
	v_cmp_lt_i32_e32 vcc, v58, v59
	s_and_b64 s[4:5], s[6:7], s[4:5]
	s_waitcnt lgkmcnt(2)
	v_pk_add_f32 v[8:9], v[8:9], v[10:11]
	ds_bpermute_b32 v10, v14, v8
	s_waitcnt lgkmcnt(1)
	v_pk_add_f32 v[6:7], v[6:7], v[12:13]
	ds_bpermute_b32 v11, v14, v9
	ds_bpermute_b32 v12, v14, v6
	ds_bpermute_b32 v13, v14, v7
	v_cndmask_b32_e32 v15, v17, v58, vcc
	v_lshlrev_b32_e32 v14, 2, v15
	s_waitcnt lgkmcnt(2)
	v_pk_add_f32 v[8:9], v[8:9], v[10:11]
	ds_bpermute_b32 v10, v14, v8
	s_waitcnt lgkmcnt(1)
	v_pk_add_f32 v[6:7], v[6:7], v[12:13]
	ds_bpermute_b32 v11, v14, v9
	ds_bpermute_b32 v12, v14, v6
	ds_bpermute_b32 v13, v14, v7
	s_and_b64 vcc, exec, s[4:5]
	s_waitcnt lgkmcnt(2)
	v_pk_add_f32 v[8:9], v[8:9], v[10:11]
	s_waitcnt lgkmcnt(0)
	v_pk_add_f32 v[6:7], v[6:7], v[12:13]
	s_cbranch_vccz .LBB61_9
; %bb.8:
	s_ashr_i32 s29, s28, 31
	s_lshl_b64 s[4:5], s[28:29], 2
	s_add_u32 s4, s12, s4
	s_addc_u32 s5, s13, s5
	v_mov_b32_e32 v10, 0
	global_load_dwordx4 v[10:13], v10, s[4:5]
	v_max_f32_e32 v14, v0, v0
	v_max_f32_e32 v15, v1, v1
	s_mov_b32 s5, 0x3fb8aa3b
	v_max_f32_e32 v16, v2, v2
	s_mov_b32 s2, 0xc2ce8ed0
	s_mov_b32 s4, 0x42b17218
	v_mov_b32_e32 v18, 0x7f800000
	s_waitcnt vmcnt(0)
	v_max_f32_e32 v17, v10, v10
	v_max_f32_e32 v14, v14, v17
	;; [unrolled: 1-line block ×3, first 2 shown]
	v_sub_f32_e32 v0, v0, v14
	v_max_f32_e32 v15, v15, v19
	v_sub_f32_e32 v10, v10, v14
	v_mul_f32_e32 v17, 0x3fb8aa3b, v0
	v_max_f32_e32 v20, v12, v12
	v_sub_f32_e32 v1, v1, v15
	v_mul_f32_e32 v19, 0x3fb8aa3b, v10
	v_fma_f32 v25, v0, s5, -v17
	v_rndne_f32_e32 v26, v17
	v_max_f32_e32 v16, v16, v20
	v_sub_f32_e32 v11, v11, v15
	v_mul_f32_e32 v20, 0x3fb8aa3b, v1
	v_fma_f32 v27, v10, s5, -v19
	v_rndne_f32_e32 v28, v19
	v_fmac_f32_e32 v25, 0x32a5705f, v0
	v_sub_f32_e32 v17, v17, v26
	v_mul_f32_e32 v21, 0x3fb8aa3b, v11
	v_fma_f32 v29, v1, s5, -v20
	v_rndne_f32_e32 v30, v20
	v_fmac_f32_e32 v27, 0x32a5705f, v10
	v_sub_f32_e32 v19, v19, v28
	v_add_f32_e32 v17, v17, v25
	v_fma_f32 v31, v11, s5, -v21
	v_rndne_f32_e32 v32, v21
	v_cvt_i32_f32_e32 v26, v26
	v_fmac_f32_e32 v29, 0x32a5705f, v1
	v_sub_f32_e32 v20, v20, v30
	v_add_f32_e32 v19, v19, v27
	v_exp_f32_e32 v17, v17
	v_cvt_i32_f32_e32 v28, v28
	v_fmac_f32_e32 v31, 0x32a5705f, v11
	v_sub_f32_e32 v21, v21, v32
	v_add_f32_e32 v20, v20, v29
	v_exp_f32_e32 v19, v19
	v_cvt_i32_f32_e32 v30, v30
	v_add_f32_e32 v21, v21, v31
	v_exp_f32_e32 v20, v20
	v_cvt_i32_f32_e32 v32, v32
	v_exp_f32_e32 v21, v21
	v_ldexp_f32 v17, v17, v26
	v_cmp_ngt_f32_e32 vcc, s2, v0
	v_ldexp_f32 v19, v19, v28
	v_ldexp_f32 v20, v20, v30
	v_cndmask_b32_e32 v17, 0, v17, vcc
	v_cmp_ngt_f32_e32 vcc, s2, v10
	v_ldexp_f32 v21, v21, v32
	v_sub_f32_e32 v2, v2, v16
	v_cndmask_b32_e32 v19, 0, v19, vcc
	v_cmp_ngt_f32_e32 vcc, s2, v1
	v_mul_f32_e32 v22, 0x3fb8aa3b, v2
	v_sub_f32_e32 v12, v12, v16
	v_cndmask_b32_e32 v20, 0, v20, vcc
	v_cmp_ngt_f32_e32 vcc, s2, v11
	v_fma_f32 v33, v2, s5, -v22
	v_rndne_f32_e32 v34, v22
	v_cndmask_b32_e32 v21, 0, v21, vcc
	v_cmp_nlt_f32_e32 vcc, s4, v0
	v_mul_f32_e32 v23, 0x3fb8aa3b, v12
	v_fmac_f32_e32 v33, 0x32a5705f, v2
	v_cndmask_b32_e32 v0, v18, v17, vcc
	v_cmp_nlt_f32_e32 vcc, s4, v10
	v_cvt_f16_f32_e32 v17, v0
	v_sub_f32_e32 v22, v22, v34
	v_cndmask_b32_e32 v10, v18, v19, vcc
	v_cmp_nlt_f32_e32 vcc, s4, v1
	v_fma_f32 v51, v12, s5, -v23
	v_rndne_f32_e32 v52, v23
	v_cndmask_b32_e32 v1, v18, v20, vcc
	v_cvt_f16_f32_e32 v19, v1
	v_add_f32_e32 v22, v22, v33
	v_cvt_i32_f32_e32 v34, v34
	v_fmac_f32_e32 v51, 0x32a5705f, v12
	v_sub_f32_e32 v23, v23, v52
	v_exp_f32_e32 v22, v22
	v_add_f32_e32 v23, v23, v51
	v_mul_u32_u24_e32 v17, 0x10001, v17
	v_mul_u32_u24_e32 v19, 0x10001, v19
	v_pk_mul_f16 v46, v46, v17
	v_pk_mul_f16 v50, v50, v17
	;; [unrolled: 1-line block ×8, first 2 shown]
	v_exp_f32_e32 v17, v23
	v_cvt_i32_f32_e32 v19, v52
	v_cmp_nlt_f32_e32 vcc, s4, v11
	v_ldexp_f32 v22, v22, v34
	v_ldexp_f32 v17, v17, v19
	v_cndmask_b32_e32 v11, v18, v21, vcc
	v_cmp_ngt_f32_e32 vcc, s2, v2
	v_pk_fma_f32 v[8:9], v[8:9], v[0:1], v[10:11]
	s_nop 0
	v_cndmask_b32_e32 v20, 0, v22, vcc
	v_cmp_nlt_f32_e32 vcc, s4, v2
	s_nop 1
	v_cndmask_b32_e32 v2, v18, v20, vcc
	v_cmp_ngt_f32_e32 vcc, s2, v12
	v_max_f32_e32 v20, v3, v3
	v_cvt_f16_f32_e32 v19, v2
	v_cndmask_b32_e32 v17, 0, v17, vcc
	v_cmp_nlt_f32_e32 vcc, s4, v12
	v_mul_u32_u24_e32 v19, 0x10001, v19
	s_nop 0
	v_cndmask_b32_e32 v12, v18, v17, vcc
	v_max_f32_e32 v17, v13, v13
	v_max_f32_e32 v17, v20, v17
	v_sub_f32_e32 v3, v3, v17
	v_mul_f32_e32 v20, 0x3fb8aa3b, v3
	v_fma_f32 v21, v3, s5, -v20
	v_rndne_f32_e32 v22, v20
	v_fmac_f32_e32 v21, 0x32a5705f, v3
	v_sub_f32_e32 v20, v20, v22
	v_add_f32_e32 v20, v20, v21
	v_exp_f32_e32 v20, v20
	v_cvt_i32_f32_e32 v21, v22
	v_sub_f32_e32 v13, v13, v17
	v_pk_mul_f16 v39, v39, v19
	v_pk_mul_f16 v42, v42, v19
	;; [unrolled: 1-line block ×4, first 2 shown]
	v_ldexp_f32 v19, v20, v21
	v_mul_f32_e32 v20, 0x3fb8aa3b, v13
	v_fma_f32 v21, v13, s5, -v20
	v_rndne_f32_e32 v22, v20
	v_fmac_f32_e32 v21, 0x32a5705f, v13
	v_sub_f32_e32 v20, v20, v22
	v_add_f32_e32 v20, v20, v21
	v_exp_f32_e32 v20, v20
	v_cvt_i32_f32_e32 v21, v22
	v_cmp_ngt_f32_e32 vcc, s2, v3
	s_nop 1
	v_cndmask_b32_e32 v19, 0, v19, vcc
	v_cmp_nlt_f32_e32 vcc, s4, v3
	s_nop 1
	v_cndmask_b32_e32 v3, v18, v19, vcc
	v_ldexp_f32 v19, v20, v21
	v_cvt_f16_f32_e32 v20, v3
	v_cmp_ngt_f32_e32 vcc, s2, v13
	s_nop 1
	v_cndmask_b32_e32 v19, 0, v19, vcc
	v_cmp_nlt_f32_e32 vcc, s4, v13
	s_nop 1
	v_cndmask_b32_e32 v13, v18, v19, vcc
	v_mul_u32_u24_e32 v18, 0x10001, v20
	v_pk_fma_f32 v[6:7], v[6:7], v[2:3], v[12:13]
	v_mov_b64_e32 v[0:1], v[14:15]
	v_pk_mul_f16 v38, v38, v18
	v_pk_mul_f16 v37, v37, v18
	;; [unrolled: 1-line block ×4, first 2 shown]
	v_mov_b64_e32 v[2:3], v[16:17]
.LBB61_9:
	v_cmp_gt_i32_e32 vcc, s22, v5
	s_and_saveexec_b64 s[4:5], vcc
	s_cbranch_execz .LBB61_26
; %bb.10:
	s_load_dword s8, s[0:1], 0xd4
	v_mov_b32_e32 v10, 1.0
	s_waitcnt lgkmcnt(0)
	s_cmp_lg_u32 s8, 1
	s_cselect_b64 s[0:1], -1, 0
	s_cmp_eq_u32 s8, 1
	s_cselect_b64 s[6:7], -1, 0
	s_and_b64 vcc, exec, s[0:1]
	s_cbranch_vccnz .LBB61_12
; %bb.11:
	v_div_scale_f32 v10, s[4:5], v8, v8, 1.0
	v_rcp_f32_e32 v11, v10
	v_div_scale_f32 v12, vcc, 1.0, v8, 1.0
	v_fma_f32 v13, -v10, v11, 1.0
	v_fmac_f32_e32 v11, v13, v11
	v_mul_f32_e32 v13, v12, v11
	v_fma_f32 v14, -v10, v13, v12
	v_fmac_f32_e32 v13, v14, v11
	v_fma_f32 v10, -v10, v13, v12
	v_div_fmas_f32 v10, v10, v11, v13
	v_div_fixup_f32 v10, v10, v8, 1.0
.LBB61_12:
	s_mul_i32 s33, s33, s22
	v_add_u32_e32 v5, s33, v5
	v_mul_lo_u32 v5, v5, s23
	v_add_u32_e32 v5, s28, v5
	v_cvt_f32_f16_sdwa v13, v46 dst_sel:DWORD dst_unused:UNUSED_PAD src0_sel:WORD_1
	v_cvt_f32_f16_e32 v12, v46
	v_cvt_f32_f16_sdwa v15, v50 dst_sel:DWORD dst_unused:UNUSED_PAD src0_sel:WORD_1
	v_cvt_f32_f16_e32 v14, v50
	v_cmp_eq_u32_e32 vcc, 0, v4
	v_mul_lo_u32 v4, s8, v5
	v_add_u32_e32 v4, s3, v4
	v_lshl_add_u32 v16, v4, 8, v24
	v_mov_b32_e32 v17, 0
	v_lshl_add_u64 v[18:19], v[16:17], 2, s[16:17]
	v_pk_mul_f32 v[12:13], v[10:11], v[12:13] op_sel_hi:[0,1]
	v_pk_mul_f32 v[14:15], v[10:11], v[14:15] op_sel_hi:[0,1]
	global_store_dwordx4 v[18:19], v[12:15], off
	v_add_u32_e32 v16, 0x80, v16
	s_and_b64 s[4:5], vcc, s[0:1]
	v_cvt_f32_f16_sdwa v13, v48 dst_sel:DWORD dst_unused:UNUSED_PAD src0_sel:WORD_1
	v_cvt_f32_f16_e32 v12, v48
	v_cvt_f32_f16_sdwa v15, v49 dst_sel:DWORD dst_unused:UNUSED_PAD src0_sel:WORD_1
	v_cvt_f32_f16_e32 v14, v49
	v_lshl_add_u64 v[16:17], v[16:17], 2, s[16:17]
	v_pk_mul_f32 v[12:13], v[10:11], v[12:13] op_sel_hi:[0,1]
	v_pk_mul_f32 v[14:15], v[10:11], v[14:15] op_sel_hi:[0,1]
	global_store_dwordx4 v[16:17], v[12:15], off
	s_and_saveexec_b64 s[0:1], s[4:5]
	s_cbranch_execz .LBB61_14
; %bb.13:
	v_ashrrev_i32_e32 v5, 31, v4
	v_lshl_add_u64 v[10:11], v[4:5], 3, s[18:19]
	v_mov_b32_e32 v12, v0
	v_mov_b32_e32 v13, v8
	global_store_dwordx2 v[10:11], v[12:13], off
.LBB61_14:
	s_or_b64 exec, exec, s[0:1]
	v_cndmask_b32_e64 v0, 0, 1, s[6:7]
	v_cmp_ne_u32_e64 s[0:1], 1, v0
	s_andn2_b64 vcc, exec, s[6:7]
	v_mov_b32_e32 v0, 1.0
	s_cbranch_vccnz .LBB61_16
; %bb.15:
	v_div_scale_f32 v0, s[2:3], v9, v9, 1.0
	v_rcp_f32_e32 v5, v0
	v_div_scale_f32 v8, vcc, 1.0, v9, 1.0
	v_fma_f32 v10, -v0, v5, 1.0
	v_fmac_f32_e32 v5, v10, v5
	v_mul_f32_e32 v10, v8, v5
	v_fma_f32 v11, -v0, v10, v8
	v_fmac_f32_e32 v10, v11, v5
	v_fma_f32 v0, -v0, v10, v8
	v_div_fmas_f32 v0, v0, v5, v10
	v_div_fixup_f32 v0, v0, v9, 1.0
.LBB61_16:
	v_cvt_f32_f16_sdwa v11, v43 dst_sel:DWORD dst_unused:UNUSED_PAD src0_sel:WORD_1
	v_cvt_f32_f16_e32 v10, v43
	v_cvt_f32_f16_sdwa v13, v47 dst_sel:DWORD dst_unused:UNUSED_PAD src0_sel:WORD_1
	v_cvt_f32_f16_e32 v12, v47
	v_add_u32_e32 v4, s8, v4
	v_lshl_add_u32 v14, v4, 8, v24
	v_mov_b32_e32 v15, 0
	v_lshl_add_u64 v[16:17], v[14:15], 2, s[16:17]
	v_pk_mul_f32 v[10:11], v[0:1], v[10:11] op_sel_hi:[0,1]
	v_pk_mul_f32 v[12:13], v[0:1], v[12:13] op_sel_hi:[0,1]
	global_store_dwordx4 v[16:17], v[10:13], off
	v_add_u32_e32 v14, 0x80, v14
	v_lshl_add_u64 v[14:15], v[14:15], 2, s[16:17]
	v_cvt_f32_f16_sdwa v11, v44 dst_sel:DWORD dst_unused:UNUSED_PAD src0_sel:WORD_1
	v_cvt_f32_f16_e32 v10, v44
	v_cvt_f32_f16_sdwa v13, v45 dst_sel:DWORD dst_unused:UNUSED_PAD src0_sel:WORD_1
	v_cvt_f32_f16_e32 v12, v45
	v_pk_mul_f32 v[10:11], v[0:1], v[10:11] op_sel_hi:[0,1]
	v_pk_mul_f32 v[12:13], v[0:1], v[12:13] op_sel_hi:[0,1]
	global_store_dwordx4 v[14:15], v[10:13], off
	s_and_saveexec_b64 s[2:3], s[4:5]
	s_cbranch_execz .LBB61_18
; %bb.17:
	v_ashrrev_i32_e32 v5, 31, v4
	v_lshl_add_u64 v[10:11], v[4:5], 3, s[18:19]
	v_mov_b32_e32 v8, v1
	global_store_dwordx2 v[10:11], v[8:9], off
.LBB61_18:
	s_or_b64 exec, exec, s[2:3]
	s_and_b64 vcc, exec, s[0:1]
	v_mov_b32_e32 v8, 1.0
	s_cbranch_vccnz .LBB61_20
; %bb.19:
	v_div_scale_f32 v0, s[2:3], v6, v6, 1.0
	v_rcp_f32_e32 v1, v0
	v_div_scale_f32 v5, vcc, 1.0, v6, 1.0
	v_fma_f32 v8, -v0, v1, 1.0
	v_fmac_f32_e32 v1, v8, v1
	v_mul_f32_e32 v8, v5, v1
	v_fma_f32 v9, -v0, v8, v5
	v_fmac_f32_e32 v8, v9, v1
	v_fma_f32 v0, -v0, v8, v5
	v_div_fmas_f32 v0, v0, v1, v8
	v_div_fixup_f32 v8, v0, v6, 1.0
.LBB61_20:
	v_cvt_f32_f16_sdwa v11, v39 dst_sel:DWORD dst_unused:UNUSED_PAD src0_sel:WORD_1
	v_cvt_f32_f16_e32 v10, v39
	v_cvt_f32_f16_sdwa v13, v42 dst_sel:DWORD dst_unused:UNUSED_PAD src0_sel:WORD_1
	v_cvt_f32_f16_e32 v12, v42
	v_add_u32_e32 v0, s8, v4
	v_lshl_add_u32 v4, v0, 8, v24
	v_mov_b32_e32 v5, 0
	v_lshl_add_u64 v[14:15], v[4:5], 2, s[16:17]
	v_pk_mul_f32 v[10:11], v[8:9], v[10:11] op_sel_hi:[0,1]
	v_pk_mul_f32 v[12:13], v[8:9], v[12:13] op_sel_hi:[0,1]
	global_store_dwordx4 v[14:15], v[10:13], off
	v_add_u32_e32 v4, 0x80, v4
	v_lshl_add_u64 v[4:5], v[4:5], 2, s[16:17]
	v_cvt_f32_f16_sdwa v11, v40 dst_sel:DWORD dst_unused:UNUSED_PAD src0_sel:WORD_1
	v_cvt_f32_f16_e32 v10, v40
	v_cvt_f32_f16_sdwa v13, v41 dst_sel:DWORD dst_unused:UNUSED_PAD src0_sel:WORD_1
	v_cvt_f32_f16_e32 v12, v41
	v_pk_mul_f32 v[10:11], v[8:9], v[10:11] op_sel_hi:[0,1]
	v_pk_mul_f32 v[12:13], v[8:9], v[12:13] op_sel_hi:[0,1]
	global_store_dwordx4 v[4:5], v[10:13], off
	s_and_saveexec_b64 s[2:3], s[4:5]
	s_cbranch_execz .LBB61_22
; %bb.21:
	v_ashrrev_i32_e32 v1, 31, v0
	v_lshl_add_u64 v[4:5], v[0:1], 3, s[18:19]
	v_mov_b32_e32 v8, v2
	v_mov_b32_e32 v9, v6
	global_store_dwordx2 v[4:5], v[8:9], off
.LBB61_22:
	s_or_b64 exec, exec, s[2:3]
	s_and_b64 vcc, exec, s[0:1]
	v_mov_b32_e32 v2, 1.0
	s_cbranch_vccnz .LBB61_24
; %bb.23:
	v_div_scale_f32 v1, s[0:1], v7, v7, 1.0
	v_rcp_f32_e32 v2, v1
	v_div_scale_f32 v4, vcc, 1.0, v7, 1.0
	v_fma_f32 v5, -v1, v2, 1.0
	v_fmac_f32_e32 v2, v5, v2
	v_mul_f32_e32 v5, v4, v2
	v_fma_f32 v6, -v1, v5, v4
	v_fmac_f32_e32 v5, v6, v2
	v_fma_f32 v1, -v1, v5, v4
	v_div_fmas_f32 v1, v1, v2, v5
	v_div_fixup_f32 v2, v1, v7, 1.0
.LBB61_24:
	v_cvt_f32_f16_sdwa v9, v38 dst_sel:DWORD dst_unused:UNUSED_PAD src0_sel:WORD_1
	v_cvt_f32_f16_e32 v8, v38
	v_cvt_f32_f16_sdwa v11, v37 dst_sel:DWORD dst_unused:UNUSED_PAD src0_sel:WORD_1
	v_cvt_f32_f16_e32 v10, v37
	v_add_u32_e32 v0, s8, v0
	v_lshl_add_u32 v4, v0, 8, v24
	v_mov_b32_e32 v5, 0
	v_lshl_add_u64 v[12:13], v[4:5], 2, s[16:17]
	v_pk_mul_f32 v[8:9], v[2:3], v[8:9] op_sel_hi:[0,1]
	v_pk_mul_f32 v[10:11], v[2:3], v[10:11] op_sel_hi:[0,1]
	global_store_dwordx4 v[12:13], v[8:11], off
	v_add_u32_e32 v4, 0x80, v4
	v_lshl_add_u64 v[4:5], v[4:5], 2, s[16:17]
	v_cvt_f32_f16_sdwa v9, v35 dst_sel:DWORD dst_unused:UNUSED_PAD src0_sel:WORD_1
	v_cvt_f32_f16_e32 v8, v35
	v_cvt_f32_f16_sdwa v11, v36 dst_sel:DWORD dst_unused:UNUSED_PAD src0_sel:WORD_1
	v_cvt_f32_f16_e32 v10, v36
	v_pk_mul_f32 v[8:9], v[2:3], v[8:9] op_sel_hi:[0,1]
	v_pk_mul_f32 v[10:11], v[2:3], v[10:11] op_sel_hi:[0,1]
	global_store_dwordx4 v[4:5], v[8:11], off
	s_and_b64 exec, exec, s[4:5]
	s_cbranch_execz .LBB61_26
; %bb.25:
	v_ashrrev_i32_e32 v1, 31, v0
	v_lshl_add_u64 v[0:1], v[0:1], 3, s[18:19]
	v_mov_b32_e32 v6, v3
	global_store_dwordx2 v[0:1], v[6:7], off
.LBB61_26:
	s_endpgm
.LBB61_27:
                                        ; implicit-def: $vgpr17
                                        ; implicit-def: $vgpr59
                                        ; implicit-def: $vgpr60
                                        ; implicit-def: $vgpr62
                                        ; implicit-def: $vgpr63
                                        ; implicit-def: $vgpr61
                                        ; implicit-def: $vgpr58
.LBB61_28:
	s_sub_i32 s4, 0, s29
	s_mul_i32 s4, s4, s38
	s_mul_hi_u32 s4, s38, s4
	s_add_i32 s38, s38, s4
	s_load_dwordx4 s[24:27], s[0:1], 0x98
	s_load_dword s10, s[0:1], 0x54
	s_load_dwordx2 s[4:5], s[0:1], 0x8c
	s_abs_i32 s15, s28
	s_mul_hi_u32 s20, s15, s38
	s_waitcnt lgkmcnt(0)
	s_ashr_i32 s11, s26, 2
	s_ashr_i32 s26, s37, 1
	;; [unrolled: 1-line block ×4, first 2 shown]
	s_mul_hi_u32 s36, s24, s33
	s_mul_i32 s37, s24, s4
	s_add_i32 s36, s36, s37
	s_mul_i32 s25, s25, s33
	s_ashr_i32 s21, s28, 31
	s_ashr_i32 s31, s31, 31
	s_add_i32 s36, s36, s25
	s_mul_i32 s24, s24, s33
	s_add_u32 s6, s6, s24
	s_mul_i32 s24, s20, s29
	s_addc_u32 s7, s7, s36
	s_sub_i32 s15, s15, s24
	s_xor_b32 s21, s21, s31
	s_add_i32 s24, s20, 1
	s_sub_i32 s25, s15, s29
	s_cmp_ge_u32 s15, s29
	s_cselect_b32 s20, s24, s20
	s_cselect_b32 s15, s25, s15
	s_add_i32 s24, s20, 1
	s_cmp_ge_u32 s15, s29
	s_load_dwordx2 s[38:39], s[0:1], 0xa8
	s_cselect_b32 s15, s24, s20
	s_xor_b32 s15, s15, s21
	s_sub_i32 s21, s15, s21
	s_mul_i32 s5, s21, s5
	s_ashr_i32 s20, s5, 31
	s_add_u32 s15, s6, s5
	s_waitcnt lgkmcnt(0)
	s_mul_hi_u32 s5, s38, s33
	s_mul_i32 s4, s38, s4
	s_addc_u32 s20, s7, s20
	s_add_i32 s4, s5, s4
	s_mul_i32 s5, s39, s33
	s_add_i32 s4, s4, s5
	s_mul_i32 s5, s38, s33
	s_add_u32 s5, s8, s5
	s_mul_i32 s21, s21, s27
	s_addc_u32 s4, s9, s4
	s_ashr_i32 s6, s21, 31
	s_add_u32 s8, s5, s21
	v_lshrrev_b32_e32 v3, 4, v4
	v_and_b32_e32 v6, 60, v24
	s_addc_u32 s9, s4, s6
	v_lshl_add_u32 v3, v1, 1, v3
	v_lshlrev_b32_e32 v7, 2, v6
	s_movk_i32 s4, 0x110
	v_mad_u32_u24 v7, v3, s4, v7
	v_mul_lo_u32 v12, s14, v3
	v_mov_b32_e32 v3, 0x4000
	v_mad_u32_u24 v29, v4, s4, v3
	v_mad_u64_u32 v[16:17], s[4:5], v2, s26, v[4:5]
	v_mov_b32_e32 v2, 0x6200
	v_lshl_add_u32 v30, v1, 8, v2
	v_mul_lo_u32 v2, s11, v1
	v_lshlrev_b32_e32 v10, 2, v24
	v_lshl_add_u32 v8, s11, 3, v2
	v_mov_b32_e32 v11, 0
	v_add_u32_e32 v27, 0x4000, v7
	v_add_u32_e32 v28, 0x5100, v7
	v_lshl_add_u32 v14, s14, 4, v12
	v_lshl_add_u32 v7, v1, 9, v10
	v_ashrrev_i32_e32 v3, 31, v2
	v_ashrrev_i32_e32 v9, 31, v8
	s_add_u32 s4, s0, 0xd0
	v_ashrrev_i32_e32 v13, 31, v12
	v_ashrrev_i32_e32 v15, 31, v14
	v_add_u32_e32 v31, 0x4000, v7
	v_add_u32_e32 v32, 0x5000, v7
	s_addc_u32 s5, s1, 0
	v_mov_b32_e32 v54, 0xfeffffff
	v_lshlrev_b32_e32 v18, 2, v6
	v_mov_b32_e32 v19, v11
	s_mov_b32 s21, 0x3f200000
	s_mov_b32 s24, 0x3fb8aa3b
	;; [unrolled: 1-line block ×4, first 2 shown]
	v_mov_b32_e32 v33, 0x3ca908c9
	s_brev_b32 s27, -2
	s_mov_b32 s29, 0x10001
	v_lshlrev_b64 v[20:21], 2, v[2:3]
	v_lshlrev_b64 v[22:23], 2, v[8:9]
	v_mov_b32_e32 v34, 0x7f800000
	v_mbcnt_hi_u32_b32 v17, -1, v0
	v_mov_b32_e32 v36, v11
	v_mov_b32_e32 v35, v11
	;; [unrolled: 1-line block ×23, first 2 shown]
                                        ; implicit-def: $vgpr1
                                        ; implicit-def: $vgpr1
	;; [unrolled: 1-line block ×3, first 2 shown]
.LBB61_29:                              ; =>This Inner Loop Header: Depth=1
	s_mul_hi_i32 s7, s2, s14
	s_mul_i32 s6, s2, s14
	s_lshl_b64 s[6:7], s[6:7], 2
	s_add_u32 s6, s15, s6
	s_addc_u32 s7, s20, s7
	v_lshl_add_u64 v[0:1], v[12:13], 2, s[6:7]
	v_lshl_add_u64 v[0:1], v[0:1], 0, v[18:19]
	;; [unrolled: 1-line block ×4, first 2 shown]
	global_load_dwordx4 v[60:63], v[0:1], off
	global_load_dwordx4 v[64:67], v[2:3], off
	v_mov_b32_e32 v58, 0
	v_mov_b32_e32 v57, 0
	;; [unrolled: 1-line block ×4, first 2 shown]
	s_waitcnt vmcnt(1)
	ds_write_b128 v27, v[60:63]
	s_waitcnt vmcnt(0)
	ds_write_b128 v28, v[64:67]
	s_waitcnt lgkmcnt(0)
	s_barrier
	ds_read_b128 v[60:63], v29
	ds_read_b128 v[64:67], v25
	ds_read_b128 v[68:71], v25 offset:512
	ds_read_b128 v[72:75], v25 offset:1024
	;; [unrolled: 1-line block ×3, first 2 shown]
	s_waitcnt lgkmcnt(3)
	;;#ASMSTART
	v_dot2_f32_f16 v58, v60, v64, v58
	;;#ASMEND
	s_nop 0
	;;#ASMSTART
	v_dot2_f32_f16 v58, v61, v65, v58
	;;#ASMEND
	s_nop 0
	;;#ASMSTART
	v_dot2_f32_f16 v58, v62, v66, v58
	;;#ASMEND
	s_nop 0
	;;#ASMSTART
	v_dot2_f32_f16 v58, v63, v67, v58
	;;#ASMEND
	s_waitcnt lgkmcnt(2)
	;;#ASMSTART
	v_dot2_f32_f16 v57, v60, v68, v57
	;;#ASMEND
	s_nop 0
	;;#ASMSTART
	v_dot2_f32_f16 v57, v61, v69, v57
	;;#ASMEND
	s_nop 0
	;;#ASMSTART
	v_dot2_f32_f16 v57, v62, v70, v57
	;;#ASMEND
	s_nop 0
	;;#ASMSTART
	v_dot2_f32_f16 v57, v63, v71, v57
	;;#ASMEND
	;; [unrolled: 16-line block ×4, first 2 shown]
	ds_read_b128 v[60:63], v29 offset:16
	ds_read_b128 v[64:67], v25 offset:16
	;; [unrolled: 1-line block ×5, first 2 shown]
	s_waitcnt lgkmcnt(3)
	;;#ASMSTART
	v_dot2_f32_f16 v58, v60, v64, v58
	;;#ASMEND
	s_nop 0
	;;#ASMSTART
	v_dot2_f32_f16 v58, v61, v65, v58
	;;#ASMEND
	s_nop 0
	;;#ASMSTART
	v_dot2_f32_f16 v58, v62, v66, v58
	;;#ASMEND
	s_nop 0
	;;#ASMSTART
	v_dot2_f32_f16 v58, v63, v67, v58
	;;#ASMEND
	s_waitcnt lgkmcnt(2)
	;;#ASMSTART
	v_dot2_f32_f16 v57, v60, v68, v57
	;;#ASMEND
	s_nop 0
	;;#ASMSTART
	v_dot2_f32_f16 v57, v61, v69, v57
	;;#ASMEND
	s_nop 0
	;;#ASMSTART
	v_dot2_f32_f16 v57, v62, v70, v57
	;;#ASMEND
	s_nop 0
	;;#ASMSTART
	v_dot2_f32_f16 v57, v63, v71, v57
	;;#ASMEND
	;; [unrolled: 16-line block ×4, first 2 shown]
	ds_read_b128 v[60:63], v29 offset:32
	ds_read_b128 v[64:67], v25 offset:32
	;; [unrolled: 1-line block ×5, first 2 shown]
	s_waitcnt lgkmcnt(3)
	;;#ASMSTART
	v_dot2_f32_f16 v58, v60, v64, v58
	;;#ASMEND
	s_nop 0
	;;#ASMSTART
	v_dot2_f32_f16 v58, v61, v65, v58
	;;#ASMEND
	s_nop 0
	;;#ASMSTART
	v_dot2_f32_f16 v58, v62, v66, v58
	;;#ASMEND
	s_nop 0
	;;#ASMSTART
	v_dot2_f32_f16 v58, v63, v67, v58
	;;#ASMEND
	s_waitcnt lgkmcnt(2)
	;;#ASMSTART
	v_dot2_f32_f16 v57, v60, v68, v57
	;;#ASMEND
	s_nop 0
	;;#ASMSTART
	v_dot2_f32_f16 v57, v61, v69, v57
	;;#ASMEND
	s_nop 0
	;;#ASMSTART
	v_dot2_f32_f16 v57, v62, v70, v57
	;;#ASMEND
	s_nop 0
	;;#ASMSTART
	v_dot2_f32_f16 v57, v63, v71, v57
	;;#ASMEND
	;; [unrolled: 16-line block ×4, first 2 shown]
	ds_read_b128 v[60:63], v29 offset:48
	ds_read_b128 v[64:67], v25 offset:48
	;; [unrolled: 1-line block ×5, first 2 shown]
	s_waitcnt lgkmcnt(3)
	;;#ASMSTART
	v_dot2_f32_f16 v58, v60, v64, v58
	;;#ASMEND
	s_nop 0
	;;#ASMSTART
	v_dot2_f32_f16 v58, v61, v65, v58
	;;#ASMEND
	s_nop 0
	;;#ASMSTART
	v_dot2_f32_f16 v58, v62, v66, v58
	;;#ASMEND
	s_nop 0
	;;#ASMSTART
	v_dot2_f32_f16 v58, v63, v67, v58
	;;#ASMEND
	s_waitcnt lgkmcnt(2)
	;;#ASMSTART
	v_dot2_f32_f16 v57, v60, v68, v57
	;;#ASMEND
	s_nop 0
	;;#ASMSTART
	v_dot2_f32_f16 v57, v61, v69, v57
	;;#ASMEND
	s_nop 0
	;;#ASMSTART
	v_dot2_f32_f16 v57, v62, v70, v57
	;;#ASMEND
	s_nop 0
	;;#ASMSTART
	v_dot2_f32_f16 v57, v63, v71, v57
	;;#ASMEND
	;; [unrolled: 16-line block ×4, first 2 shown]
	ds_read_b128 v[60:63], v29 offset:64
	ds_read_b128 v[64:67], v25 offset:64
	;; [unrolled: 1-line block ×5, first 2 shown]
	s_waitcnt lgkmcnt(3)
	;;#ASMSTART
	v_dot2_f32_f16 v58, v60, v64, v58
	;;#ASMEND
	s_nop 0
	;;#ASMSTART
	v_dot2_f32_f16 v58, v61, v65, v58
	;;#ASMEND
	s_nop 0
	;;#ASMSTART
	v_dot2_f32_f16 v58, v62, v66, v58
	;;#ASMEND
	s_nop 0
	;;#ASMSTART
	v_dot2_f32_f16 v58, v63, v67, v58
	;;#ASMEND
	s_waitcnt lgkmcnt(2)
	;;#ASMSTART
	v_dot2_f32_f16 v57, v60, v68, v57
	;;#ASMEND
	s_nop 0
	;;#ASMSTART
	v_dot2_f32_f16 v57, v61, v69, v57
	;;#ASMEND
	s_nop 0
	;;#ASMSTART
	v_dot2_f32_f16 v57, v62, v70, v57
	;;#ASMEND
	s_nop 0
	;;#ASMSTART
	v_dot2_f32_f16 v57, v63, v71, v57
	;;#ASMEND
	s_waitcnt lgkmcnt(1)
	;;#ASMSTART
	v_dot2_f32_f16 v56, v60, v72, v56
	;;#ASMEND
	s_nop 0
	;;#ASMSTART
	v_dot2_f32_f16 v56, v61, v73, v56
	;;#ASMEND
	s_nop 0
	;;#ASMSTART
	v_dot2_f32_f16 v56, v62, v74, v56
	;;#ASMEND
	s_nop 0
	;;#ASMSTART
	v_dot2_f32_f16 v56, v63, v75, v56
	;;#ASMEND
	s_waitcnt lgkmcnt(0)
	;;#ASMSTART
	v_dot2_f32_f16 v55, v60, v76, v55
	;;#ASMEND
	s_nop 0
	;;#ASMSTART
	v_dot2_f32_f16 v55, v61, v77, v55
	;;#ASMEND
	s_nop 0
	;;#ASMSTART
	v_dot2_f32_f16 v55, v62, v78, v55
	;;#ASMEND
	s_nop 0
	;;#ASMSTART
	v_dot2_f32_f16 v55, v63, v79, v55
	;;#ASMEND
	ds_read_b128 v[60:63], v29 offset:80
	ds_read_b128 v[64:67], v25 offset:80
	;; [unrolled: 1-line block ×5, first 2 shown]
	s_waitcnt lgkmcnt(3)
	;;#ASMSTART
	v_dot2_f32_f16 v58, v60, v64, v58
	;;#ASMEND
	s_nop 0
	;;#ASMSTART
	v_dot2_f32_f16 v58, v61, v65, v58
	;;#ASMEND
	s_nop 0
	;;#ASMSTART
	v_dot2_f32_f16 v58, v62, v66, v58
	;;#ASMEND
	s_nop 0
	;;#ASMSTART
	v_dot2_f32_f16 v58, v63, v67, v58
	;;#ASMEND
	s_waitcnt lgkmcnt(2)
	;;#ASMSTART
	v_dot2_f32_f16 v57, v60, v68, v57
	;;#ASMEND
	s_nop 0
	;;#ASMSTART
	v_dot2_f32_f16 v57, v61, v69, v57
	;;#ASMEND
	s_nop 0
	;;#ASMSTART
	v_dot2_f32_f16 v57, v62, v70, v57
	;;#ASMEND
	s_nop 0
	;;#ASMSTART
	v_dot2_f32_f16 v57, v63, v71, v57
	;;#ASMEND
	;; [unrolled: 16-line block ×4, first 2 shown]
	ds_read_b128 v[60:63], v29 offset:96
	ds_read_b128 v[64:67], v25 offset:96
	;; [unrolled: 1-line block ×5, first 2 shown]
	s_waitcnt lgkmcnt(3)
	;;#ASMSTART
	v_dot2_f32_f16 v58, v60, v64, v58
	;;#ASMEND
	s_nop 0
	;;#ASMSTART
	v_dot2_f32_f16 v58, v61, v65, v58
	;;#ASMEND
	s_nop 0
	;;#ASMSTART
	v_dot2_f32_f16 v58, v62, v66, v58
	;;#ASMEND
	s_nop 0
	;;#ASMSTART
	v_dot2_f32_f16 v58, v63, v67, v58
	;;#ASMEND
	s_waitcnt lgkmcnt(2)
	;;#ASMSTART
	v_dot2_f32_f16 v57, v60, v68, v57
	;;#ASMEND
	s_nop 0
	;;#ASMSTART
	v_dot2_f32_f16 v57, v61, v69, v57
	;;#ASMEND
	s_nop 0
	;;#ASMSTART
	v_dot2_f32_f16 v57, v62, v70, v57
	;;#ASMEND
	s_nop 0
	;;#ASMSTART
	v_dot2_f32_f16 v57, v63, v71, v57
	;;#ASMEND
	;; [unrolled: 16-line block ×4, first 2 shown]
	ds_read_b128 v[60:63], v29 offset:112
	ds_read_b128 v[64:67], v25 offset:112
	;; [unrolled: 1-line block ×5, first 2 shown]
	s_waitcnt lgkmcnt(3)
	;;#ASMSTART
	v_dot2_f32_f16 v58, v60, v64, v58
	;;#ASMEND
	s_nop 0
	;;#ASMSTART
	v_dot2_f32_f16 v58, v61, v65, v58
	;;#ASMEND
	s_nop 0
	;;#ASMSTART
	v_dot2_f32_f16 v58, v62, v66, v58
	;;#ASMEND
	s_nop 0
	;;#ASMSTART
	v_dot2_f32_f16 v58, v63, v67, v58
	;;#ASMEND
	s_waitcnt lgkmcnt(2)
	;;#ASMSTART
	v_dot2_f32_f16 v57, v60, v68, v57
	;;#ASMEND
	s_nop 0
	;;#ASMSTART
	v_dot2_f32_f16 v57, v61, v69, v57
	;;#ASMEND
	s_nop 0
	;;#ASMSTART
	v_dot2_f32_f16 v57, v62, v70, v57
	;;#ASMEND
	s_nop 0
	;;#ASMSTART
	v_dot2_f32_f16 v57, v63, v71, v57
	;;#ASMEND
	;; [unrolled: 16-line block ×4, first 2 shown]
	ds_read_b128 v[60:63], v29 offset:128
	ds_read_b128 v[64:67], v25 offset:128
	;; [unrolled: 1-line block ×5, first 2 shown]
	s_waitcnt lgkmcnt(3)
	;;#ASMSTART
	v_dot2_f32_f16 v58, v60, v64, v58
	;;#ASMEND
	s_nop 0
	;;#ASMSTART
	v_dot2_f32_f16 v58, v61, v65, v58
	;;#ASMEND
	s_nop 0
	;;#ASMSTART
	v_dot2_f32_f16 v58, v62, v66, v58
	;;#ASMEND
	s_nop 0
	;;#ASMSTART
	v_dot2_f32_f16 v58, v63, v67, v58
	;;#ASMEND
	s_waitcnt lgkmcnt(2)
	;;#ASMSTART
	v_dot2_f32_f16 v57, v60, v68, v57
	;;#ASMEND
	s_nop 0
	;;#ASMSTART
	v_dot2_f32_f16 v57, v61, v69, v57
	;;#ASMEND
	s_nop 0
	;;#ASMSTART
	v_dot2_f32_f16 v57, v62, v70, v57
	;;#ASMEND
	s_nop 0
	;;#ASMSTART
	v_dot2_f32_f16 v57, v63, v71, v57
	;;#ASMEND
	;; [unrolled: 16-line block ×4, first 2 shown]
	ds_read_b128 v[60:63], v29 offset:144
	ds_read_b128 v[64:67], v25 offset:144
	;; [unrolled: 1-line block ×5, first 2 shown]
	s_waitcnt lgkmcnt(3)
	;;#ASMSTART
	v_dot2_f32_f16 v58, v60, v64, v58
	;;#ASMEND
	s_nop 0
	;;#ASMSTART
	v_dot2_f32_f16 v58, v61, v65, v58
	;;#ASMEND
	s_nop 0
	;;#ASMSTART
	v_dot2_f32_f16 v58, v62, v66, v58
	;;#ASMEND
	s_nop 0
	;;#ASMSTART
	v_dot2_f32_f16 v58, v63, v67, v58
	;;#ASMEND
	s_waitcnt lgkmcnt(2)
	;;#ASMSTART
	v_dot2_f32_f16 v57, v60, v68, v57
	;;#ASMEND
	s_nop 0
	;;#ASMSTART
	v_dot2_f32_f16 v57, v61, v69, v57
	;;#ASMEND
	s_nop 0
	;;#ASMSTART
	v_dot2_f32_f16 v57, v62, v70, v57
	;;#ASMEND
	s_nop 0
	;;#ASMSTART
	v_dot2_f32_f16 v57, v63, v71, v57
	;;#ASMEND
	;; [unrolled: 16-line block ×4, first 2 shown]
	ds_read_b128 v[60:63], v29 offset:160
	ds_read_b128 v[64:67], v25 offset:160
	;; [unrolled: 1-line block ×5, first 2 shown]
	s_waitcnt lgkmcnt(3)
	;;#ASMSTART
	v_dot2_f32_f16 v58, v60, v64, v58
	;;#ASMEND
	s_nop 0
	;;#ASMSTART
	v_dot2_f32_f16 v58, v61, v65, v58
	;;#ASMEND
	s_nop 0
	;;#ASMSTART
	v_dot2_f32_f16 v58, v62, v66, v58
	;;#ASMEND
	s_nop 0
	;;#ASMSTART
	v_dot2_f32_f16 v58, v63, v67, v58
	;;#ASMEND
	s_waitcnt lgkmcnt(2)
	;;#ASMSTART
	v_dot2_f32_f16 v57, v60, v68, v57
	;;#ASMEND
	s_nop 0
	;;#ASMSTART
	v_dot2_f32_f16 v57, v61, v69, v57
	;;#ASMEND
	s_nop 0
	;;#ASMSTART
	v_dot2_f32_f16 v57, v62, v70, v57
	;;#ASMEND
	s_nop 0
	;;#ASMSTART
	v_dot2_f32_f16 v57, v63, v71, v57
	;;#ASMEND
	;; [unrolled: 16-line block ×4, first 2 shown]
	ds_read_b128 v[60:63], v29 offset:176
	ds_read_b128 v[64:67], v25 offset:176
	;; [unrolled: 1-line block ×5, first 2 shown]
	s_waitcnt lgkmcnt(3)
	;;#ASMSTART
	v_dot2_f32_f16 v58, v60, v64, v58
	;;#ASMEND
	s_nop 0
	;;#ASMSTART
	v_dot2_f32_f16 v58, v61, v65, v58
	;;#ASMEND
	s_nop 0
	;;#ASMSTART
	v_dot2_f32_f16 v58, v62, v66, v58
	;;#ASMEND
	s_nop 0
	;;#ASMSTART
	v_dot2_f32_f16 v58, v63, v67, v58
	;;#ASMEND
	s_waitcnt lgkmcnt(2)
	;;#ASMSTART
	v_dot2_f32_f16 v57, v60, v68, v57
	;;#ASMEND
	s_nop 0
	;;#ASMSTART
	v_dot2_f32_f16 v57, v61, v69, v57
	;;#ASMEND
	s_nop 0
	;;#ASMSTART
	v_dot2_f32_f16 v57, v62, v70, v57
	;;#ASMEND
	s_nop 0
	;;#ASMSTART
	v_dot2_f32_f16 v57, v63, v71, v57
	;;#ASMEND
	;; [unrolled: 16-line block ×4, first 2 shown]
	ds_read_b128 v[60:63], v29 offset:192
	ds_read_b128 v[64:67], v25 offset:192
	;; [unrolled: 1-line block ×5, first 2 shown]
	s_waitcnt lgkmcnt(3)
	;;#ASMSTART
	v_dot2_f32_f16 v58, v60, v64, v58
	;;#ASMEND
	s_nop 0
	;;#ASMSTART
	v_dot2_f32_f16 v58, v61, v65, v58
	;;#ASMEND
	s_nop 0
	;;#ASMSTART
	v_dot2_f32_f16 v58, v62, v66, v58
	;;#ASMEND
	s_nop 0
	;;#ASMSTART
	v_dot2_f32_f16 v58, v63, v67, v58
	;;#ASMEND
	s_waitcnt lgkmcnt(2)
	;;#ASMSTART
	v_dot2_f32_f16 v57, v60, v68, v57
	;;#ASMEND
	s_nop 0
	;;#ASMSTART
	v_dot2_f32_f16 v57, v61, v69, v57
	;;#ASMEND
	s_nop 0
	;;#ASMSTART
	v_dot2_f32_f16 v57, v62, v70, v57
	;;#ASMEND
	s_nop 0
	;;#ASMSTART
	v_dot2_f32_f16 v57, v63, v71, v57
	;;#ASMEND
	;; [unrolled: 16-line block ×4, first 2 shown]
	ds_read_b128 v[60:63], v29 offset:208
	ds_read_b128 v[64:67], v25 offset:208
	;; [unrolled: 1-line block ×5, first 2 shown]
	s_waitcnt lgkmcnt(3)
	;;#ASMSTART
	v_dot2_f32_f16 v58, v60, v64, v58
	;;#ASMEND
	s_nop 0
	;;#ASMSTART
	v_dot2_f32_f16 v58, v61, v65, v58
	;;#ASMEND
	s_nop 0
	;;#ASMSTART
	v_dot2_f32_f16 v58, v62, v66, v58
	;;#ASMEND
	s_nop 0
	;;#ASMSTART
	v_dot2_f32_f16 v58, v63, v67, v58
	;;#ASMEND
	s_waitcnt lgkmcnt(2)
	;;#ASMSTART
	v_dot2_f32_f16 v57, v60, v68, v57
	;;#ASMEND
	s_nop 0
	;;#ASMSTART
	v_dot2_f32_f16 v57, v61, v69, v57
	;;#ASMEND
	s_nop 0
	;;#ASMSTART
	v_dot2_f32_f16 v57, v62, v70, v57
	;;#ASMEND
	s_nop 0
	;;#ASMSTART
	v_dot2_f32_f16 v57, v63, v71, v57
	;;#ASMEND
	s_waitcnt lgkmcnt(1)
	;;#ASMSTART
	v_dot2_f32_f16 v56, v60, v72, v56
	;;#ASMEND
	s_nop 0
	;;#ASMSTART
	v_dot2_f32_f16 v56, v61, v73, v56
	;;#ASMEND
	s_nop 0
	;;#ASMSTART
	v_dot2_f32_f16 v56, v62, v74, v56
	;;#ASMEND
	s_nop 0
	;;#ASMSTART
	v_dot2_f32_f16 v56, v63, v75, v56
	;;#ASMEND
	s_waitcnt lgkmcnt(0)
	;;#ASMSTART
	v_dot2_f32_f16 v55, v60, v76, v55
	;;#ASMEND
	s_nop 0
	;;#ASMSTART
	v_dot2_f32_f16 v55, v61, v77, v55
	;;#ASMEND
	s_nop 0
	;;#ASMSTART
	v_dot2_f32_f16 v55, v62, v78, v55
	;;#ASMEND
	s_nop 0
	;;#ASMSTART
	v_dot2_f32_f16 v55, v63, v79, v55
	;;#ASMEND
	ds_read_b128 v[60:63], v29 offset:224
	ds_read_b128 v[64:67], v25 offset:224
	;; [unrolled: 1-line block ×5, first 2 shown]
	s_waitcnt lgkmcnt(3)
	;;#ASMSTART
	v_dot2_f32_f16 v58, v60, v64, v58
	;;#ASMEND
	s_nop 0
	;;#ASMSTART
	v_dot2_f32_f16 v58, v61, v65, v58
	;;#ASMEND
	s_nop 0
	;;#ASMSTART
	v_dot2_f32_f16 v58, v62, v66, v58
	;;#ASMEND
	s_nop 0
	;;#ASMSTART
	v_dot2_f32_f16 v58, v63, v67, v58
	;;#ASMEND
	s_waitcnt lgkmcnt(2)
	;;#ASMSTART
	v_dot2_f32_f16 v57, v60, v68, v57
	;;#ASMEND
	s_nop 0
	;;#ASMSTART
	v_dot2_f32_f16 v57, v61, v69, v57
	;;#ASMEND
	s_nop 0
	;;#ASMSTART
	v_dot2_f32_f16 v57, v62, v70, v57
	;;#ASMEND
	s_nop 0
	;;#ASMSTART
	v_dot2_f32_f16 v57, v63, v71, v57
	;;#ASMEND
	;; [unrolled: 16-line block ×4, first 2 shown]
	ds_read_b128 v[60:63], v29 offset:240
	ds_read_b128 v[64:67], v25 offset:240
	;; [unrolled: 1-line block ×5, first 2 shown]
	s_waitcnt lgkmcnt(3)
	;;#ASMSTART
	v_dot2_f32_f16 v58, v60, v64, v58
	;;#ASMEND
	s_nop 0
	;;#ASMSTART
	v_dot2_f32_f16 v58, v61, v65, v58
	;;#ASMEND
	s_nop 0
	;;#ASMSTART
	v_dot2_f32_f16 v58, v62, v66, v58
	;;#ASMEND
	s_nop 0
	;;#ASMSTART
	v_dot2_f32_f16 v58, v63, v67, v58
	;;#ASMEND
	s_waitcnt lgkmcnt(2)
	;;#ASMSTART
	v_dot2_f32_f16 v57, v60, v68, v57
	;;#ASMEND
	s_nop 0
	;;#ASMSTART
	v_dot2_f32_f16 v57, v61, v69, v57
	;;#ASMEND
	s_nop 0
	;;#ASMSTART
	v_dot2_f32_f16 v57, v62, v70, v57
	;;#ASMEND
	s_nop 0
	;;#ASMSTART
	v_dot2_f32_f16 v57, v63, v71, v57
	;;#ASMEND
	;; [unrolled: 16-line block ×3, first 2 shown]
	s_waitcnt lgkmcnt(0)
	;;#ASMSTART
	v_dot2_f32_f16 v55, v60, v76, v55
	;;#ASMEND
	v_add_u32_e32 v76, s2, v16
	;;#ASMSTART
	v_dot2_f32_f16 v55, v61, v77, v55
	;;#ASMEND
	v_ashrrev_i32_e32 v77, 31, v76
	;;#ASMSTART
	v_dot2_f32_f16 v55, v62, v78, v55
	;;#ASMEND
	v_lshl_add_u64 v[76:77], v[76:77], 1, s[34:35]
	;;#ASMSTART
	v_dot2_f32_f16 v55, v63, v79, v55
	;;#ASMEND
	s_barrier
	global_load_dwordx4 v[60:63], v[0:1], off offset:256
	global_load_dwordx4 v[64:67], v[2:3], off offset:256
	s_waitcnt vmcnt(1)
	ds_write_b128 v27, v[60:63]
	s_waitcnt vmcnt(0)
	ds_write_b128 v28, v[64:67]
	s_waitcnt lgkmcnt(0)
	s_barrier
	ds_read_b128 v[0:3], v29
	ds_read_b128 v[60:63], v25 offset:256
	ds_read_b128 v[64:67], v25 offset:768
	;; [unrolled: 1-line block ×4, first 2 shown]
	s_waitcnt lgkmcnt(3)
	;;#ASMSTART
	v_dot2_f32_f16 v58, v0, v60, v58
	;;#ASMEND
	s_nop 0
	;;#ASMSTART
	v_dot2_f32_f16 v58, v1, v61, v58
	;;#ASMEND
	s_nop 0
	;;#ASMSTART
	v_dot2_f32_f16 v58, v2, v62, v58
	;;#ASMEND
	s_nop 0
	;;#ASMSTART
	v_dot2_f32_f16 v58, v3, v63, v58
	;;#ASMEND
	s_waitcnt lgkmcnt(2)
	;;#ASMSTART
	v_dot2_f32_f16 v57, v0, v64, v57
	;;#ASMEND
	s_nop 0
	;;#ASMSTART
	v_dot2_f32_f16 v57, v1, v65, v57
	;;#ASMEND
	s_nop 0
	;;#ASMSTART
	v_dot2_f32_f16 v57, v2, v66, v57
	;;#ASMEND
	s_nop 0
	;;#ASMSTART
	v_dot2_f32_f16 v57, v3, v67, v57
	;;#ASMEND
	;; [unrolled: 16-line block ×4, first 2 shown]
	ds_read_b128 v[0:3], v29 offset:16
	ds_read_b128 v[60:63], v25 offset:272
	;; [unrolled: 1-line block ×5, first 2 shown]
	s_waitcnt lgkmcnt(3)
	;;#ASMSTART
	v_dot2_f32_f16 v58, v0, v60, v58
	;;#ASMEND
	s_nop 0
	;;#ASMSTART
	v_dot2_f32_f16 v58, v1, v61, v58
	;;#ASMEND
	s_nop 0
	;;#ASMSTART
	v_dot2_f32_f16 v58, v2, v62, v58
	;;#ASMEND
	s_nop 0
	;;#ASMSTART
	v_dot2_f32_f16 v58, v3, v63, v58
	;;#ASMEND
	s_waitcnt lgkmcnt(2)
	;;#ASMSTART
	v_dot2_f32_f16 v57, v0, v64, v57
	;;#ASMEND
	s_nop 0
	;;#ASMSTART
	v_dot2_f32_f16 v57, v1, v65, v57
	;;#ASMEND
	s_nop 0
	;;#ASMSTART
	v_dot2_f32_f16 v57, v2, v66, v57
	;;#ASMEND
	s_nop 0
	;;#ASMSTART
	v_dot2_f32_f16 v57, v3, v67, v57
	;;#ASMEND
	;; [unrolled: 16-line block ×4, first 2 shown]
	ds_read_b128 v[0:3], v29 offset:32
	ds_read_b128 v[60:63], v25 offset:288
	ds_read_b128 v[64:67], v25 offset:800
	ds_read_b128 v[68:71], v25 offset:1312
	ds_read_b128 v[72:75], v25 offset:1824
	s_waitcnt lgkmcnt(3)
	;;#ASMSTART
	v_dot2_f32_f16 v58, v0, v60, v58
	;;#ASMEND
	s_nop 0
	;;#ASMSTART
	v_dot2_f32_f16 v58, v1, v61, v58
	;;#ASMEND
	s_nop 0
	;;#ASMSTART
	v_dot2_f32_f16 v58, v2, v62, v58
	;;#ASMEND
	s_nop 0
	;;#ASMSTART
	v_dot2_f32_f16 v58, v3, v63, v58
	;;#ASMEND
	s_waitcnt lgkmcnt(2)
	;;#ASMSTART
	v_dot2_f32_f16 v57, v0, v64, v57
	;;#ASMEND
	s_nop 0
	;;#ASMSTART
	v_dot2_f32_f16 v57, v1, v65, v57
	;;#ASMEND
	s_nop 0
	;;#ASMSTART
	v_dot2_f32_f16 v57, v2, v66, v57
	;;#ASMEND
	s_nop 0
	;;#ASMSTART
	v_dot2_f32_f16 v57, v3, v67, v57
	;;#ASMEND
	;; [unrolled: 16-line block ×4, first 2 shown]
	ds_read_b128 v[0:3], v29 offset:48
	ds_read_b128 v[60:63], v25 offset:304
	;; [unrolled: 1-line block ×5, first 2 shown]
	s_waitcnt lgkmcnt(3)
	;;#ASMSTART
	v_dot2_f32_f16 v58, v0, v60, v58
	;;#ASMEND
	s_nop 0
	;;#ASMSTART
	v_dot2_f32_f16 v58, v1, v61, v58
	;;#ASMEND
	s_nop 0
	;;#ASMSTART
	v_dot2_f32_f16 v58, v2, v62, v58
	;;#ASMEND
	s_nop 0
	;;#ASMSTART
	v_dot2_f32_f16 v58, v3, v63, v58
	;;#ASMEND
	s_waitcnt lgkmcnt(2)
	;;#ASMSTART
	v_dot2_f32_f16 v57, v0, v64, v57
	;;#ASMEND
	s_nop 0
	;;#ASMSTART
	v_dot2_f32_f16 v57, v1, v65, v57
	;;#ASMEND
	s_nop 0
	;;#ASMSTART
	v_dot2_f32_f16 v57, v2, v66, v57
	;;#ASMEND
	s_nop 0
	;;#ASMSTART
	v_dot2_f32_f16 v57, v3, v67, v57
	;;#ASMEND
	;; [unrolled: 16-line block ×4, first 2 shown]
	ds_read_b128 v[0:3], v29 offset:64
	ds_read_b128 v[60:63], v25 offset:320
	;; [unrolled: 1-line block ×5, first 2 shown]
	s_waitcnt lgkmcnt(3)
	;;#ASMSTART
	v_dot2_f32_f16 v58, v0, v60, v58
	;;#ASMEND
	s_nop 0
	;;#ASMSTART
	v_dot2_f32_f16 v58, v1, v61, v58
	;;#ASMEND
	s_nop 0
	;;#ASMSTART
	v_dot2_f32_f16 v58, v2, v62, v58
	;;#ASMEND
	s_nop 0
	;;#ASMSTART
	v_dot2_f32_f16 v58, v3, v63, v58
	;;#ASMEND
	s_waitcnt lgkmcnt(2)
	;;#ASMSTART
	v_dot2_f32_f16 v57, v0, v64, v57
	;;#ASMEND
	s_nop 0
	;;#ASMSTART
	v_dot2_f32_f16 v57, v1, v65, v57
	;;#ASMEND
	s_nop 0
	;;#ASMSTART
	v_dot2_f32_f16 v57, v2, v66, v57
	;;#ASMEND
	s_nop 0
	;;#ASMSTART
	v_dot2_f32_f16 v57, v3, v67, v57
	;;#ASMEND
	;; [unrolled: 16-line block ×4, first 2 shown]
	ds_read_b128 v[0:3], v29 offset:80
	ds_read_b128 v[60:63], v25 offset:336
	;; [unrolled: 1-line block ×5, first 2 shown]
	s_waitcnt lgkmcnt(3)
	;;#ASMSTART
	v_dot2_f32_f16 v58, v0, v60, v58
	;;#ASMEND
	s_nop 0
	;;#ASMSTART
	v_dot2_f32_f16 v58, v1, v61, v58
	;;#ASMEND
	s_nop 0
	;;#ASMSTART
	v_dot2_f32_f16 v58, v2, v62, v58
	;;#ASMEND
	s_nop 0
	;;#ASMSTART
	v_dot2_f32_f16 v58, v3, v63, v58
	;;#ASMEND
	s_waitcnt lgkmcnt(2)
	;;#ASMSTART
	v_dot2_f32_f16 v57, v0, v64, v57
	;;#ASMEND
	s_nop 0
	;;#ASMSTART
	v_dot2_f32_f16 v57, v1, v65, v57
	;;#ASMEND
	s_nop 0
	;;#ASMSTART
	v_dot2_f32_f16 v57, v2, v66, v57
	;;#ASMEND
	s_nop 0
	;;#ASMSTART
	v_dot2_f32_f16 v57, v3, v67, v57
	;;#ASMEND
	;; [unrolled: 16-line block ×4, first 2 shown]
	ds_read_b128 v[0:3], v29 offset:96
	ds_read_b128 v[60:63], v25 offset:352
	;; [unrolled: 1-line block ×5, first 2 shown]
	s_waitcnt lgkmcnt(3)
	;;#ASMSTART
	v_dot2_f32_f16 v58, v0, v60, v58
	;;#ASMEND
	s_nop 0
	;;#ASMSTART
	v_dot2_f32_f16 v58, v1, v61, v58
	;;#ASMEND
	s_nop 0
	;;#ASMSTART
	v_dot2_f32_f16 v58, v2, v62, v58
	;;#ASMEND
	s_nop 0
	;;#ASMSTART
	v_dot2_f32_f16 v58, v3, v63, v58
	;;#ASMEND
	s_waitcnt lgkmcnt(2)
	;;#ASMSTART
	v_dot2_f32_f16 v57, v0, v64, v57
	;;#ASMEND
	s_nop 0
	;;#ASMSTART
	v_dot2_f32_f16 v57, v1, v65, v57
	;;#ASMEND
	s_nop 0
	;;#ASMSTART
	v_dot2_f32_f16 v57, v2, v66, v57
	;;#ASMEND
	s_nop 0
	;;#ASMSTART
	v_dot2_f32_f16 v57, v3, v67, v57
	;;#ASMEND
	;; [unrolled: 16-line block ×4, first 2 shown]
	ds_read_b128 v[0:3], v29 offset:112
	ds_read_b128 v[60:63], v25 offset:368
	;; [unrolled: 1-line block ×5, first 2 shown]
	s_waitcnt lgkmcnt(3)
	;;#ASMSTART
	v_dot2_f32_f16 v58, v0, v60, v58
	;;#ASMEND
	s_nop 0
	;;#ASMSTART
	v_dot2_f32_f16 v58, v1, v61, v58
	;;#ASMEND
	s_nop 0
	;;#ASMSTART
	v_dot2_f32_f16 v58, v2, v62, v58
	;;#ASMEND
	s_nop 0
	;;#ASMSTART
	v_dot2_f32_f16 v58, v3, v63, v58
	;;#ASMEND
	s_waitcnt lgkmcnt(2)
	;;#ASMSTART
	v_dot2_f32_f16 v57, v0, v64, v57
	;;#ASMEND
	s_nop 0
	;;#ASMSTART
	v_dot2_f32_f16 v57, v1, v65, v57
	;;#ASMEND
	s_nop 0
	;;#ASMSTART
	v_dot2_f32_f16 v57, v2, v66, v57
	;;#ASMEND
	s_nop 0
	;;#ASMSTART
	v_dot2_f32_f16 v57, v3, v67, v57
	;;#ASMEND
	;; [unrolled: 16-line block ×4, first 2 shown]
	ds_read_b128 v[0:3], v29 offset:128
	ds_read_b128 v[60:63], v25 offset:384
	;; [unrolled: 1-line block ×5, first 2 shown]
	s_waitcnt lgkmcnt(3)
	;;#ASMSTART
	v_dot2_f32_f16 v58, v0, v60, v58
	;;#ASMEND
	s_nop 0
	;;#ASMSTART
	v_dot2_f32_f16 v58, v1, v61, v58
	;;#ASMEND
	s_nop 0
	;;#ASMSTART
	v_dot2_f32_f16 v58, v2, v62, v58
	;;#ASMEND
	s_nop 0
	;;#ASMSTART
	v_dot2_f32_f16 v58, v3, v63, v58
	;;#ASMEND
	s_waitcnt lgkmcnt(2)
	;;#ASMSTART
	v_dot2_f32_f16 v57, v0, v64, v57
	;;#ASMEND
	s_nop 0
	;;#ASMSTART
	v_dot2_f32_f16 v57, v1, v65, v57
	;;#ASMEND
	s_nop 0
	;;#ASMSTART
	v_dot2_f32_f16 v57, v2, v66, v57
	;;#ASMEND
	s_nop 0
	;;#ASMSTART
	v_dot2_f32_f16 v57, v3, v67, v57
	;;#ASMEND
	;; [unrolled: 16-line block ×4, first 2 shown]
	ds_read_b128 v[0:3], v29 offset:144
	ds_read_b128 v[60:63], v25 offset:400
	;; [unrolled: 1-line block ×5, first 2 shown]
	s_waitcnt lgkmcnt(3)
	;;#ASMSTART
	v_dot2_f32_f16 v58, v0, v60, v58
	;;#ASMEND
	s_nop 0
	;;#ASMSTART
	v_dot2_f32_f16 v58, v1, v61, v58
	;;#ASMEND
	s_nop 0
	;;#ASMSTART
	v_dot2_f32_f16 v58, v2, v62, v58
	;;#ASMEND
	s_nop 0
	;;#ASMSTART
	v_dot2_f32_f16 v58, v3, v63, v58
	;;#ASMEND
	s_waitcnt lgkmcnt(2)
	;;#ASMSTART
	v_dot2_f32_f16 v57, v0, v64, v57
	;;#ASMEND
	s_nop 0
	;;#ASMSTART
	v_dot2_f32_f16 v57, v1, v65, v57
	;;#ASMEND
	s_nop 0
	;;#ASMSTART
	v_dot2_f32_f16 v57, v2, v66, v57
	;;#ASMEND
	s_nop 0
	;;#ASMSTART
	v_dot2_f32_f16 v57, v3, v67, v57
	;;#ASMEND
	;; [unrolled: 16-line block ×4, first 2 shown]
	ds_read_b128 v[0:3], v29 offset:160
	ds_read_b128 v[60:63], v25 offset:416
	;; [unrolled: 1-line block ×5, first 2 shown]
	s_waitcnt lgkmcnt(3)
	;;#ASMSTART
	v_dot2_f32_f16 v58, v0, v60, v58
	;;#ASMEND
	s_nop 0
	;;#ASMSTART
	v_dot2_f32_f16 v58, v1, v61, v58
	;;#ASMEND
	s_nop 0
	;;#ASMSTART
	v_dot2_f32_f16 v58, v2, v62, v58
	;;#ASMEND
	s_nop 0
	;;#ASMSTART
	v_dot2_f32_f16 v58, v3, v63, v58
	;;#ASMEND
	s_waitcnt lgkmcnt(2)
	;;#ASMSTART
	v_dot2_f32_f16 v57, v0, v64, v57
	;;#ASMEND
	s_nop 0
	;;#ASMSTART
	v_dot2_f32_f16 v57, v1, v65, v57
	;;#ASMEND
	s_nop 0
	;;#ASMSTART
	v_dot2_f32_f16 v57, v2, v66, v57
	;;#ASMEND
	s_nop 0
	;;#ASMSTART
	v_dot2_f32_f16 v57, v3, v67, v57
	;;#ASMEND
	s_waitcnt lgkmcnt(1)
	;;#ASMSTART
	v_dot2_f32_f16 v56, v0, v68, v56
	;;#ASMEND
	s_nop 0
	;;#ASMSTART
	v_dot2_f32_f16 v56, v1, v69, v56
	;;#ASMEND
	s_nop 0
	;;#ASMSTART
	v_dot2_f32_f16 v56, v2, v70, v56
	;;#ASMEND
	s_nop 0
	;;#ASMSTART
	v_dot2_f32_f16 v56, v3, v71, v56
	;;#ASMEND
	s_waitcnt lgkmcnt(0)
	;;#ASMSTART
	v_dot2_f32_f16 v55, v0, v72, v55
	;;#ASMEND
	s_nop 0
	;;#ASMSTART
	v_dot2_f32_f16 v55, v1, v73, v55
	;;#ASMEND
	s_nop 0
	;;#ASMSTART
	v_dot2_f32_f16 v55, v2, v74, v55
	;;#ASMEND
	s_nop 0
	;;#ASMSTART
	v_dot2_f32_f16 v55, v3, v75, v55
	;;#ASMEND
	ds_read_b128 v[0:3], v29 offset:176
	ds_read_b128 v[60:63], v25 offset:432
	;; [unrolled: 1-line block ×5, first 2 shown]
	s_waitcnt lgkmcnt(3)
	;;#ASMSTART
	v_dot2_f32_f16 v58, v0, v60, v58
	;;#ASMEND
	s_nop 0
	;;#ASMSTART
	v_dot2_f32_f16 v58, v1, v61, v58
	;;#ASMEND
	s_nop 0
	;;#ASMSTART
	v_dot2_f32_f16 v58, v2, v62, v58
	;;#ASMEND
	s_nop 0
	;;#ASMSTART
	v_dot2_f32_f16 v58, v3, v63, v58
	;;#ASMEND
	s_waitcnt lgkmcnt(2)
	;;#ASMSTART
	v_dot2_f32_f16 v57, v0, v64, v57
	;;#ASMEND
	s_nop 0
	;;#ASMSTART
	v_dot2_f32_f16 v57, v1, v65, v57
	;;#ASMEND
	s_nop 0
	;;#ASMSTART
	v_dot2_f32_f16 v57, v2, v66, v57
	;;#ASMEND
	s_nop 0
	;;#ASMSTART
	v_dot2_f32_f16 v57, v3, v67, v57
	;;#ASMEND
	;; [unrolled: 16-line block ×4, first 2 shown]
	ds_read_b128 v[0:3], v29 offset:192
	ds_read_b128 v[60:63], v25 offset:448
	ds_read_b128 v[64:67], v25 offset:960
	ds_read_b128 v[68:71], v25 offset:1472
	ds_read_b128 v[72:75], v25 offset:1984
	s_waitcnt lgkmcnt(3)
	;;#ASMSTART
	v_dot2_f32_f16 v58, v0, v60, v58
	;;#ASMEND
	s_nop 0
	;;#ASMSTART
	v_dot2_f32_f16 v58, v1, v61, v58
	;;#ASMEND
	s_nop 0
	;;#ASMSTART
	v_dot2_f32_f16 v58, v2, v62, v58
	;;#ASMEND
	s_nop 0
	;;#ASMSTART
	v_dot2_f32_f16 v58, v3, v63, v58
	;;#ASMEND
	s_waitcnt lgkmcnt(2)
	;;#ASMSTART
	v_dot2_f32_f16 v57, v0, v64, v57
	;;#ASMEND
	s_nop 0
	;;#ASMSTART
	v_dot2_f32_f16 v57, v1, v65, v57
	;;#ASMEND
	s_nop 0
	;;#ASMSTART
	v_dot2_f32_f16 v57, v2, v66, v57
	;;#ASMEND
	s_nop 0
	;;#ASMSTART
	v_dot2_f32_f16 v57, v3, v67, v57
	;;#ASMEND
	;; [unrolled: 16-line block ×4, first 2 shown]
	ds_read_b128 v[0:3], v29 offset:208
	ds_read_b128 v[60:63], v25 offset:464
	;; [unrolled: 1-line block ×5, first 2 shown]
	s_waitcnt lgkmcnt(3)
	;;#ASMSTART
	v_dot2_f32_f16 v58, v0, v60, v58
	;;#ASMEND
	s_nop 0
	;;#ASMSTART
	v_dot2_f32_f16 v58, v1, v61, v58
	;;#ASMEND
	s_nop 0
	;;#ASMSTART
	v_dot2_f32_f16 v58, v2, v62, v58
	;;#ASMEND
	s_nop 0
	;;#ASMSTART
	v_dot2_f32_f16 v58, v3, v63, v58
	;;#ASMEND
	s_waitcnt lgkmcnt(2)
	;;#ASMSTART
	v_dot2_f32_f16 v57, v0, v64, v57
	;;#ASMEND
	s_nop 0
	;;#ASMSTART
	v_dot2_f32_f16 v57, v1, v65, v57
	;;#ASMEND
	s_nop 0
	;;#ASMSTART
	v_dot2_f32_f16 v57, v2, v66, v57
	;;#ASMEND
	s_nop 0
	;;#ASMSTART
	v_dot2_f32_f16 v57, v3, v67, v57
	;;#ASMEND
	;; [unrolled: 16-line block ×4, first 2 shown]
	ds_read_b128 v[0:3], v29 offset:224
	ds_read_b128 v[60:63], v25 offset:480
	;; [unrolled: 1-line block ×5, first 2 shown]
	s_waitcnt lgkmcnt(3)
	;;#ASMSTART
	v_dot2_f32_f16 v58, v0, v60, v58
	;;#ASMEND
	s_nop 0
	;;#ASMSTART
	v_dot2_f32_f16 v58, v1, v61, v58
	;;#ASMEND
	s_nop 0
	;;#ASMSTART
	v_dot2_f32_f16 v58, v2, v62, v58
	;;#ASMEND
	s_nop 0
	;;#ASMSTART
	v_dot2_f32_f16 v58, v3, v63, v58
	;;#ASMEND
	s_waitcnt lgkmcnt(2)
	;;#ASMSTART
	v_dot2_f32_f16 v57, v0, v64, v57
	;;#ASMEND
	s_nop 0
	;;#ASMSTART
	v_dot2_f32_f16 v57, v1, v65, v57
	;;#ASMEND
	s_nop 0
	;;#ASMSTART
	v_dot2_f32_f16 v57, v2, v66, v57
	;;#ASMEND
	s_nop 0
	;;#ASMSTART
	v_dot2_f32_f16 v57, v3, v67, v57
	;;#ASMEND
	;; [unrolled: 16-line block ×4, first 2 shown]
	ds_read_b128 v[0:3], v29 offset:240
	ds_read_b128 v[60:63], v25 offset:496
	;; [unrolled: 1-line block ×5, first 2 shown]
	s_waitcnt lgkmcnt(3)
	;;#ASMSTART
	v_dot2_f32_f16 v58, v0, v60, v58
	;;#ASMEND
	s_nop 0
	;;#ASMSTART
	v_dot2_f32_f16 v58, v1, v61, v58
	;;#ASMEND
	s_nop 0
	;; [unrolled: 4-line block ×3, first 2 shown]
	;;#ASMSTART
	v_dot2_f32_f16 v58, v3, v63, v58
	;;#ASMEND
	s_waitcnt lgkmcnt(2)
	;;#ASMSTART
	v_dot2_f32_f16 v57, v0, v64, v57
	;;#ASMEND
	s_nop 0
	;;#ASMSTART
	v_dot2_f32_f16 v57, v1, v65, v57
	;;#ASMEND
	v_cmp_nlt_f32_e64 s[6:7], |v58|, s21
	;;#ASMSTART
	v_dot2_f32_f16 v57, v2, v66, v57
	;;#ASMEND
	s_nop 0
	;;#ASMSTART
	v_dot2_f32_f16 v57, v3, v67, v57
	;;#ASMEND
	s_waitcnt lgkmcnt(1)
	;;#ASMSTART
	v_dot2_f32_f16 v56, v0, v68, v56
	;;#ASMEND
	s_nop 0
	;;#ASMSTART
	v_dot2_f32_f16 v56, v1, v69, v56
	;;#ASMEND
	s_nop 0
	;; [unrolled: 4-line block ×3, first 2 shown]
	;;#ASMSTART
	v_dot2_f32_f16 v56, v3, v71, v56
	;;#ASMEND
	s_waitcnt lgkmcnt(0)
	;;#ASMSTART
	v_dot2_f32_f16 v55, v0, v72, v55
	;;#ASMEND
	s_nop 0
	;;#ASMSTART
	v_dot2_f32_f16 v55, v1, v73, v55
	;;#ASMEND
                                        ; implicit-def: $vgpr1
	s_nop 0
	;;#ASMSTART
	v_dot2_f32_f16 v55, v2, v74, v55
	;;#ASMEND
	s_nop 0
	;;#ASMSTART
	v_dot2_f32_f16 v55, v3, v75, v55
	;;#ASMEND
	global_load_ushort v64, v[76:77], off
	s_and_saveexec_b64 s[36:37], s[6:7]
	s_xor_b64 s[6:7], exec, s[36:37]
	s_cbranch_execz .LBB61_31
; %bb.30:                               ;   in Loop: Header=BB61_29 Depth=1
	v_add_f32_e64 v0, |v58|, |v58|
	v_mul_f32_e32 v1, 0x3fb8aa3b, v0
	v_rndne_f32_e32 v2, v1
	v_sub_f32_e32 v3, v1, v2
	v_fma_f32 v1, v0, s24, -v1
	v_fmac_f32_e32 v1, 0x32a5705f, v0
	v_add_f32_e32 v1, v3, v1
	v_cvt_i32_f32_e32 v2, v2
	v_exp_f32_e32 v1, v1
	v_cmp_ngt_f32_e32 vcc, s25, v0
	v_ldexp_f32 v1, v1, v2
	s_nop 0
	v_cndmask_b32_e32 v1, 0, v1, vcc
	v_cmp_nlt_f32_e32 vcc, s26, v0
	s_nop 1
	v_cndmask_b32_e32 v0, v34, v1, vcc
	v_add_f32_e32 v0, 1.0, v0
	v_rcp_f32_e32 v0, v0
	s_nop 0
	v_fma_f32 v1, v0, -2.0, 1.0
.LBB61_31:                              ;   in Loop: Header=BB61_29 Depth=1
	s_andn2_saveexec_b64 s[6:7], s[6:7]
; %bb.32:                               ;   in Loop: Header=BB61_29 Depth=1
	v_mul_f32_e32 v0, v58, v58
	v_fmamk_f32 v1, v0, 0xbbbac73d, v33
	v_fmaak_f32 v1, v0, v1, 0xbd5c1c4e
	v_fmaak_f32 v1, v0, v1, 0x3e088382
	;; [unrolled: 1-line block ×3, first 2 shown]
	v_mul_f32_e64 v1, |v58|, v1
	v_fma_f32 v1, v0, v1, |v58|
; %bb.33:                               ;   in Loop: Header=BB61_29 Depth=1
	s_or_b64 exec, exec, s[6:7]
	v_and_b32_e32 v0, 0x60, v17
	v_add_u32_e32 v59, 32, v0
	v_xor_b32_e32 v60, 16, v17
	v_bfi_b32 v1, s27, v1, v58
	v_cmp_lt_i32_e32 vcc, v60, v59
	s_waitcnt vmcnt(0)
	v_fma_mix_f32 v65, s10, v1, v64 op_sel_hi:[0,0,1]
	v_add_f32_e32 v1, 0x40051340, v65
	v_cndmask_b32_e32 v0, v17, v60, vcc
	v_max_f32_e32 v2, v54, v54
	v_lshlrev_b32_e32 v0, 2, v0
	v_max_f32_e32 v1, v2, v1
	ds_bpermute_b32 v3, v0, v1
	v_xor_b32_e32 v62, 8, v17
	v_cmp_lt_i32_e32 vcc, v62, v59
	v_xor_b32_e32 v63, 4, v17
	v_xor_b32_e32 v61, 2, v17
	v_cndmask_b32_e32 v2, v17, v62, vcc
	s_waitcnt lgkmcnt(0)
	v_max_f32_e32 v3, v3, v3
	v_lshlrev_b32_e32 v2, 2, v2
	v_max_f32_e32 v3, v1, v3
	ds_bpermute_b32 v58, v2, v3
	v_cmp_lt_i32_e32 vcc, v63, v59
	v_cmp_nlt_f32_e64 s[6:7], |v57|, s21
                                        ; implicit-def: $vgpr69
	s_waitcnt lgkmcnt(0)
	v_max_f32_e32 v58, v58, v58
	v_cndmask_b32_e32 v1, v17, v63, vcc
	v_lshlrev_b32_e32 v1, 2, v1
	v_max_f32_e32 v3, v3, v58
	ds_bpermute_b32 v58, v1, v3
	v_cmp_lt_i32_e32 vcc, v61, v59
	s_waitcnt lgkmcnt(0)
	v_max_f32_e32 v58, v58, v58
	v_cndmask_b32_e32 v66, v17, v61, vcc
	v_lshlrev_b32_e32 v66, 2, v66
	v_max_f32_e32 v67, v3, v58
	ds_bpermute_b32 v68, v66, v67
	v_xor_b32_e32 v58, 1, v17
	v_cmp_lt_i32_e32 vcc, v58, v59
	s_waitcnt lgkmcnt(0)
	v_max_f32_e32 v68, v68, v68
	v_cndmask_b32_e32 v3, v17, v58, vcc
	v_lshlrev_b32_e32 v3, 2, v3
	v_max_f32_e32 v67, v67, v68
	ds_bpermute_b32 v68, v3, v67
	s_and_saveexec_b64 s[36:37], s[6:7]
	s_xor_b64 s[6:7], exec, s[36:37]
	s_cbranch_execz .LBB61_35
; %bb.34:                               ;   in Loop: Header=BB61_29 Depth=1
	v_add_f32_e64 v69, |v57|, |v57|
	v_mul_f32_e32 v70, 0x3fb8aa3b, v69
	v_rndne_f32_e32 v71, v70
	v_sub_f32_e32 v72, v70, v71
	v_fma_f32 v70, v69, s24, -v70
	v_fmac_f32_e32 v70, 0x32a5705f, v69
	v_add_f32_e32 v70, v72, v70
	v_cvt_i32_f32_e32 v71, v71
	v_exp_f32_e32 v70, v70
	v_cmp_ngt_f32_e32 vcc, s25, v69
	v_ldexp_f32 v70, v70, v71
	s_nop 0
	v_cndmask_b32_e32 v70, 0, v70, vcc
	v_cmp_nlt_f32_e32 vcc, s26, v69
	s_nop 1
	v_cndmask_b32_e32 v69, v34, v70, vcc
	v_add_f32_e32 v69, 1.0, v69
	v_rcp_f32_e32 v69, v69
	s_nop 0
	v_fma_f32 v69, v69, -2.0, 1.0
.LBB61_35:                              ;   in Loop: Header=BB61_29 Depth=1
	s_andn2_saveexec_b64 s[6:7], s[6:7]
; %bb.36:                               ;   in Loop: Header=BB61_29 Depth=1
	v_mul_f32_e32 v69, v57, v57
	v_fmamk_f32 v70, v69, 0xbbbac73d, v33
	v_fmaak_f32 v70, v69, v70, 0xbd5c1c4e
	v_fmaak_f32 v70, v69, v70, 0x3e088382
	;; [unrolled: 1-line block ×3, first 2 shown]
	v_mul_f32_e64 v70, |v57|, v70
	v_fma_f32 v69, v69, v70, |v57|
; %bb.37:                               ;   in Loop: Header=BB61_29 Depth=1
	s_or_b64 exec, exec, s[6:7]
	v_cvt_f32_f16_e32 v64, v64
	v_bfi_b32 v57, s27, v69, v57
	v_max_f32_e32 v70, v53, v53
	v_cmp_nlt_f32_e64 s[6:7], |v56|, s21
	v_fma_f32 v57, s10, v57, v64
	v_add_f32_e32 v69, 0x40051340, v57
	v_max_f32_e32 v69, v70, v69
	ds_bpermute_b32 v70, v0, v69
                                        ; implicit-def: $vgpr71
	s_waitcnt lgkmcnt(0)
	v_max_f32_e32 v70, v70, v70
	v_max_f32_e32 v69, v69, v70
	ds_bpermute_b32 v70, v2, v69
	s_waitcnt lgkmcnt(0)
	v_max_f32_e32 v70, v70, v70
	v_max_f32_e32 v69, v69, v70
	ds_bpermute_b32 v70, v1, v69
	;; [unrolled: 4-line block ×4, first 2 shown]
	s_and_saveexec_b64 s[36:37], s[6:7]
	s_xor_b64 s[6:7], exec, s[36:37]
	s_cbranch_execz .LBB61_39
; %bb.38:                               ;   in Loop: Header=BB61_29 Depth=1
	v_add_f32_e64 v71, |v56|, |v56|
	v_mul_f32_e32 v72, 0x3fb8aa3b, v71
	v_rndne_f32_e32 v73, v72
	v_sub_f32_e32 v74, v72, v73
	v_fma_f32 v72, v71, s24, -v72
	v_fmac_f32_e32 v72, 0x32a5705f, v71
	v_add_f32_e32 v72, v74, v72
	v_cvt_i32_f32_e32 v73, v73
	v_exp_f32_e32 v72, v72
	v_cmp_ngt_f32_e32 vcc, s25, v71
	v_ldexp_f32 v72, v72, v73
	s_nop 0
	v_cndmask_b32_e32 v72, 0, v72, vcc
	v_cmp_nlt_f32_e32 vcc, s26, v71
	s_nop 1
	v_cndmask_b32_e32 v71, v34, v72, vcc
	v_add_f32_e32 v71, 1.0, v71
	v_rcp_f32_e32 v71, v71
	s_nop 0
	v_fma_f32 v71, v71, -2.0, 1.0
.LBB61_39:                              ;   in Loop: Header=BB61_29 Depth=1
	s_andn2_saveexec_b64 s[6:7], s[6:7]
; %bb.40:                               ;   in Loop: Header=BB61_29 Depth=1
	v_mul_f32_e32 v71, v56, v56
	v_fmamk_f32 v72, v71, 0xbbbac73d, v33
	v_fmaak_f32 v72, v71, v72, 0xbd5c1c4e
	v_fmaak_f32 v72, v71, v72, 0x3e088382
	;; [unrolled: 1-line block ×3, first 2 shown]
	v_mul_f32_e64 v72, |v56|, v72
	v_fma_f32 v71, v71, v72, |v56|
; %bb.41:                               ;   in Loop: Header=BB61_29 Depth=1
	s_or_b64 exec, exec, s[6:7]
	v_bfi_b32 v56, s27, v71, v56
	v_fma_f32 v56, s10, v56, v64
	v_add_f32_e32 v71, 0x40051340, v56
	v_max_f32_e32 v72, v52, v52
	v_max_f32_e32 v71, v72, v71
	ds_bpermute_b32 v72, v0, v71
	v_cmp_nlt_f32_e64 s[6:7], |v55|, s21
                                        ; implicit-def: $vgpr73
	s_waitcnt lgkmcnt(0)
	v_max_f32_e32 v72, v72, v72
	v_max_f32_e32 v71, v71, v72
	ds_bpermute_b32 v72, v2, v71
	s_waitcnt lgkmcnt(0)
	v_max_f32_e32 v72, v72, v72
	v_max_f32_e32 v71, v71, v72
	ds_bpermute_b32 v72, v1, v71
	s_waitcnt lgkmcnt(0)
	v_max_f32_e32 v72, v72, v72
	v_max_f32_e32 v71, v71, v72
	ds_bpermute_b32 v72, v66, v71
	s_waitcnt lgkmcnt(0)
	v_max_f32_e32 v72, v72, v72
	v_max_f32_e32 v71, v71, v72
	ds_bpermute_b32 v72, v3, v71
	s_and_saveexec_b64 s[36:37], s[6:7]
	s_xor_b64 s[6:7], exec, s[36:37]
	s_cbranch_execz .LBB61_43
; %bb.42:                               ;   in Loop: Header=BB61_29 Depth=1
	v_add_f32_e64 v73, |v55|, |v55|
	v_mul_f32_e32 v74, 0x3fb8aa3b, v73
	v_rndne_f32_e32 v75, v74
	v_sub_f32_e32 v76, v74, v75
	v_fma_f32 v74, v73, s24, -v74
	v_fmac_f32_e32 v74, 0x32a5705f, v73
	v_add_f32_e32 v74, v76, v74
	v_cvt_i32_f32_e32 v75, v75
	v_exp_f32_e32 v74, v74
	v_cmp_ngt_f32_e32 vcc, s25, v73
	v_ldexp_f32 v74, v74, v75
	s_nop 0
	v_cndmask_b32_e32 v74, 0, v74, vcc
	v_cmp_nlt_f32_e32 vcc, s26, v73
	s_nop 1
	v_cndmask_b32_e32 v73, v34, v74, vcc
	v_add_f32_e32 v73, 1.0, v73
	v_rcp_f32_e32 v73, v73
	s_nop 0
	v_fma_f32 v73, v73, -2.0, 1.0
.LBB61_43:                              ;   in Loop: Header=BB61_29 Depth=1
	s_andn2_saveexec_b64 s[6:7], s[6:7]
; %bb.44:                               ;   in Loop: Header=BB61_29 Depth=1
	v_mul_f32_e32 v73, v55, v55
	v_fmamk_f32 v74, v73, 0xbbbac73d, v33
	v_fmaak_f32 v74, v73, v74, 0xbd5c1c4e
	v_fmaak_f32 v74, v73, v74, 0x3e088382
	;; [unrolled: 1-line block ×3, first 2 shown]
	v_mul_f32_e64 v74, |v55|, v74
	v_fma_f32 v73, v73, v74, |v55|
; %bb.45:                               ;   in Loop: Header=BB61_29 Depth=1
	s_or_b64 exec, exec, s[6:7]
	v_bfi_b32 v55, s27, v73, v55
	v_fmac_f32_e32 v64, s10, v55
	v_add_f32_e32 v55, 0x40051340, v64
	v_max_f32_e32 v73, v51, v51
	v_max_f32_e32 v55, v73, v55
	ds_bpermute_b32 v0, v0, v55
	v_max_f32_e32 v70, v70, v70
	v_max_f32_e32 v68, v68, v68
	;; [unrolled: 1-line block ×3, first 2 shown]
	s_mul_hi_i32 s7, s2, s11
	s_waitcnt lgkmcnt(0)
	v_max_f32_e32 v0, v0, v0
	v_max_f32_e32 v0, v55, v0
	ds_bpermute_b32 v2, v2, v0
	v_max_f32_e32 v55, v69, v69
	s_mul_i32 s6, s2, s11
	s_lshl_b64 s[6:7], s[6:7], 2
	s_add_u32 s6, s8, s6
	s_waitcnt lgkmcnt(0)
	v_max_f32_e32 v2, v2, v2
	v_max_f32_e32 v69, v0, v2
	ds_bpermute_b32 v73, v1, v69
	v_max_f32_e32 v1, v55, v70
	v_max_f32_e32 v0, v67, v68
	v_sub_f32_e32 v54, v54, v0
	v_mul_f32_e32 v67, 0x3fb8aa3b, v54
	s_waitcnt lgkmcnt(0)
	v_max_f32_e32 v55, v73, v73
	v_max_f32_e32 v55, v69, v55
	ds_bpermute_b32 v66, v66, v55
	v_fma_f32 v68, v54, s24, -v67
	v_rndne_f32_e32 v69, v67
	v_fmac_f32_e32 v68, 0x32a5705f, v54
	v_sub_f32_e32 v65, v65, v0
	s_waitcnt lgkmcnt(0)
	v_max_f32_e32 v66, v66, v66
	v_max_f32_e32 v55, v55, v66
	ds_bpermute_b32 v3, v3, v55
	v_sub_f32_e32 v66, v67, v69
	v_add_f32_e32 v66, v66, v68
	v_cvt_i32_f32_e32 v67, v69
	v_exp_f32_e32 v66, v66
	s_waitcnt lgkmcnt(0)
	v_max_f32_e32 v3, v3, v3
	v_max_f32_e32 v3, v55, v3
	v_cmp_ngt_f32_e32 vcc, s25, v54
	v_ldexp_f32 v55, v66, v67
	v_mul_f32_e32 v66, 0x3fb8aa3b, v65
	v_fma_f32 v67, v65, s24, -v66
	v_rndne_f32_e32 v68, v66
	v_fmac_f32_e32 v67, 0x32a5705f, v65
	v_sub_f32_e32 v66, v66, v68
	v_add_f32_e32 v66, v66, v67
	v_exp_f32_e32 v66, v66
	v_cvt_i32_f32_e32 v67, v68
	v_cndmask_b32_e32 v55, 0, v55, vcc
	v_cmp_nlt_f32_e32 vcc, s26, v54
	v_sub_f32_e32 v53, v53, v1
	s_addc_u32 s7, s9, s7
	v_cndmask_b32_e32 v54, v34, v55, vcc
	v_ldexp_f32 v55, v66, v67
	v_cvt_f16_f32_e32 v66, v54
	v_cmp_ngt_f32_e32 vcc, s25, v65
	v_max_f32_e32 v72, v72, v72
	v_max_f32_e32 v71, v71, v71
	v_cndmask_b32_e32 v55, 0, v55, vcc
	v_cmp_nlt_f32_e32 vcc, s26, v65
	v_mul_u32_u24_e32 v78, 0x10001, v66
	v_pk_mul_f16 v79, v50, v78
	v_cndmask_b32_e32 v74, v34, v55, vcc
	v_mul_f32_e32 v55, 0x3fb8aa3b, v53
	v_fma_f32 v65, v53, s24, -v55
	v_rndne_f32_e32 v66, v55
	v_fmac_f32_e32 v65, 0x32a5705f, v53
	v_sub_f32_e32 v55, v55, v66
	v_add_f32_e32 v55, v55, v65
	v_exp_f32_e32 v55, v55
	v_cvt_i32_f32_e32 v65, v66
	v_sub_f32_e32 v50, v57, v1
	v_pk_mul_f16 v81, v49, v78
	v_mul_f32_e32 v49, 0x3fb8aa3b, v50
	v_pk_mul_f16 v80, v48, v78
	v_ldexp_f32 v48, v55, v65
	v_fma_f32 v55, v50, s24, -v49
	v_rndne_f32_e32 v57, v49
	v_fmac_f32_e32 v55, 0x32a5705f, v50
	v_sub_f32_e32 v49, v49, v57
	v_add_f32_e32 v49, v49, v55
	v_exp_f32_e32 v49, v49
	v_cvt_i32_f32_e32 v57, v57
	v_cmp_ngt_f32_e32 vcc, s25, v53
	v_lshl_add_u64 v[66:67], s[6:7], 0, v[22:23]
	s_nop 0
	v_cndmask_b32_e32 v48, 0, v48, vcc
	v_cmp_nlt_f32_e32 vcc, s26, v53
	v_max_f32_e32 v2, v71, v72
	s_barrier
	v_cndmask_b32_e32 v55, v34, v48, vcc
	v_ldexp_f32 v48, v49, v57
	v_cmp_ngt_f32_e32 vcc, s25, v50
	v_lshl_add_u64 v[76:77], v[66:67], 0, v[10:11]
	s_nop 0
	v_cndmask_b32_e32 v53, 0, v48, vcc
	v_lshl_add_u64 v[48:49], s[6:7], 0, v[20:21]
	v_lshl_add_u64 v[48:49], v[48:49], 0, v[10:11]
	global_load_dwordx4 v[66:69], v[48:49], off
	global_load_dwordx4 v[70:73], v[76:77], off
	v_sub_f32_e32 v48, v52, v2
	v_mul_f32_e32 v49, 0x3fb8aa3b, v48
	v_cmp_nlt_f32_e32 vcc, s26, v50
	v_fma_f32 v50, v48, s24, -v49
	v_rndne_f32_e32 v52, v49
	v_cvt_f16_f32_e32 v57, v55
	v_fmac_f32_e32 v50, 0x32a5705f, v48
	v_sub_f32_e32 v49, v49, v52
	v_add_f32_e32 v49, v49, v50
	v_exp_f32_e32 v49, v49
	v_cvt_i32_f32_e32 v50, v52
	v_mul_u32_u24_e32 v57, 0x10001, v57
	v_pk_mul_f16 v77, v45, v57
	v_sub_f32_e32 v45, v56, v2
	v_pk_mul_f16 v76, v44, v57
	v_ldexp_f32 v44, v49, v50
	v_mul_f32_e32 v49, 0x3fb8aa3b, v45
	v_fma_f32 v50, v45, s24, -v49
	v_rndne_f32_e32 v52, v49
	v_fmac_f32_e32 v50, 0x32a5705f, v45
	v_sub_f32_e32 v49, v49, v52
	v_add_f32_e32 v49, v49, v50
	v_exp_f32_e32 v49, v49
	v_cvt_i32_f32_e32 v50, v52
	v_cndmask_b32_e32 v75, v34, v53, vcc
	v_cmp_ngt_f32_e32 vcc, s25, v48
	v_pk_fma_f32 v[8:9], v[8:9], v[54:55], v[74:75]
	v_pk_mul_f16 v47, v47, v57
	v_cndmask_b32_e32 v44, 0, v44, vcc
	v_cmp_nlt_f32_e32 vcc, s26, v48
	v_ldexp_f32 v48, v49, v50
	s_or_b32 s6, s2, 16
	v_cndmask_b32_e32 v44, v34, v44, vcc
	v_cvt_f16_f32_e32 v49, v44
	v_cmp_ngt_f32_e32 vcc, s25, v45
	s_mul_hi_i32 s7, s6, s11
	s_mul_i32 s6, s6, s11
	v_cndmask_b32_e32 v48, 0, v48, vcc
	v_cmp_nlt_f32_e32 vcc, s26, v45
	v_sub_f32_e32 v45, v51, v3
	v_mul_u32_u24_e32 v56, 0x10001, v49
	v_mul_f32_e32 v49, 0x3fb8aa3b, v45
	v_fma_f32 v50, v45, s24, -v49
	v_rndne_f32_e32 v51, v49
	v_fmac_f32_e32 v50, 0x32a5705f, v45
	v_sub_f32_e32 v49, v49, v51
	v_add_f32_e32 v49, v49, v50
	v_exp_f32_e32 v49, v49
	v_cvt_i32_f32_e32 v50, v51
	v_cndmask_b32_e32 v48, v34, v48, vcc
	v_cmp_ngt_f32_e32 vcc, s25, v45
	v_pk_mul_f16 v42, v42, v56
	v_ldexp_f32 v49, v49, v50
	v_sub_f32_e32 v50, v64, v3
	v_mul_f32_e32 v51, 0x3fb8aa3b, v50
	v_fma_f32 v52, v50, s24, -v51
	v_rndne_f32_e32 v53, v51
	v_fmac_f32_e32 v52, 0x32a5705f, v50
	v_sub_f32_e32 v51, v51, v53
	v_add_f32_e32 v51, v51, v52
	v_exp_f32_e32 v51, v51
	v_cvt_i32_f32_e32 v52, v53
	v_cndmask_b32_e32 v49, 0, v49, vcc
	v_cmp_nlt_f32_e32 vcc, s26, v45
	v_pk_mul_f16 v40, v40, v56
	v_pk_mul_f16 v41, v41, v56
	v_cndmask_b32_e32 v45, v34, v49, vcc
	v_ldexp_f32 v49, v51, v52
	v_cvt_f16_f32_e32 v51, v45
	v_cmp_ngt_f32_e32 vcc, s25, v50
	s_lshl_b64 s[6:7], s[6:7], 2
	s_add_u32 s6, s8, s6
	v_cndmask_b32_e32 v49, 0, v49, vcc
	v_cmp_nlt_f32_e32 vcc, s26, v50
	v_add_u32_e32 v50, v30, v26
	s_addc_u32 s7, s9, s7
	v_cndmask_b32_e32 v49, v34, v49, vcc
	v_pk_fma_f32 v[6:7], v[6:7], v[44:45], v[48:49]
	v_mul_u32_u24_e32 v44, 0x10001, v51
	v_pk_mul_f16 v38, v38, v44
	v_pk_mul_f16 v45, v37, v44
	v_pk_mul_f16 v35, v35, v44
	v_pk_mul_f16 v44, v36, v44
	v_cvt_pk_f16_f32 v37, v48, v49
	v_cvt_pk_f16_f32 v36, v74, v75
	ds_write_b64 v50, v[36:37]
	s_waitcnt vmcnt(1)
	ds_write_b128 v31, v[66:69]
	s_waitcnt vmcnt(0)
	ds_write_b128 v32, v[70:73]
	s_waitcnt lgkmcnt(0)
	s_barrier
	v_add_u32_e32 v37, 0x4000, v26
	ds_read_b128 v[48:51], v30
	ds_read2_b64 v[52:55], v37 offset1:32
	ds_read_b128 v[64:67], v30 offset:16
	ds_read_b128 v[68:71], v30 offset:32
	;; [unrolled: 1-line block ×3, first 2 shown]
	s_waitcnt lgkmcnt(4)
	v_mul_u32_u24_sdwa v36, v48, s29 dst_sel:DWORD dst_unused:UNUSED_PAD src0_sel:WORD_0 src1_sel:DWORD
	v_mul_u32_u24_sdwa v48, v48, s29 dst_sel:DWORD dst_unused:UNUSED_PAD src0_sel:WORD_1 src1_sel:DWORD
	s_waitcnt lgkmcnt(3)
	v_pk_mul_f16 v83, v52, v36
	v_mul_u32_u24_sdwa v82, v49, s29 dst_sel:DWORD dst_unused:UNUSED_PAD src0_sel:WORD_0 src1_sel:DWORD
	v_pk_fma_f16 v46, v46, v78, v83
	v_pk_mul_f16 v78, v52, v48
	v_mul_u32_u24_sdwa v49, v49, s29 dst_sel:DWORD dst_unused:UNUSED_PAD src0_sel:WORD_1 src1_sel:DWORD
	v_pk_fma_f16 v43, v43, v57, v78
	v_pk_mul_f16 v57, v52, v82
	v_pk_fma_f16 v52, v52, v49, v38
	v_pk_fma_f16 v56, v39, v56, v57
	;; [unrolled: 1-line block ×11, first 2 shown]
	ds_read2_b64 v[38:41], v37 offset0:64 offset1:96
	v_pk_fma_f16 v36, v55, v36, v81
	v_pk_fma_f16 v48, v55, v48, v77
	;; [unrolled: 1-line block ×3, first 2 shown]
	v_mul_u32_u24_sdwa v49, v50, s29 dst_sel:DWORD dst_unused:UNUSED_PAD src0_sel:WORD_0 src1_sel:DWORD
	v_mul_u32_u24_sdwa v50, v50, s29 dst_sel:DWORD dst_unused:UNUSED_PAD src0_sel:WORD_1 src1_sel:DWORD
	v_mul_u32_u24_sdwa v55, v51, s29 dst_sel:DWORD dst_unused:UNUSED_PAD src0_sel:WORD_0 src1_sel:DWORD
	v_mul_u32_u24_sdwa v51, v51, s29 dst_sel:DWORD dst_unused:UNUSED_PAD src0_sel:WORD_1 src1_sel:DWORD
	s_waitcnt lgkmcnt(0)
	v_pk_fma_f16 v46, v38, v49, v46
	v_pk_fma_f16 v43, v38, v50, v43
	;; [unrolled: 1-line block ×16, first 2 shown]
	ds_read2_b64 v[38:41], v37 offset0:128 offset1:160
	v_mul_u32_u24_sdwa v50, v64, s29 dst_sel:DWORD dst_unused:UNUSED_PAD src0_sel:WORD_0 src1_sel:DWORD
	v_mul_u32_u24_sdwa v51, v64, s29 dst_sel:DWORD dst_unused:UNUSED_PAD src0_sel:WORD_1 src1_sel:DWORD
	v_mul_u32_u24_sdwa v54, v65, s29 dst_sel:DWORD dst_unused:UNUSED_PAD src0_sel:WORD_0 src1_sel:DWORD
	v_mul_u32_u24_sdwa v55, v65, s29 dst_sel:DWORD dst_unused:UNUSED_PAD src0_sel:WORD_1 src1_sel:DWORD
	s_waitcnt lgkmcnt(0)
	v_pk_fma_f16 v46, v38, v50, v46
	v_pk_fma_f16 v43, v38, v51, v43
	;; [unrolled: 1-line block ×16, first 2 shown]
	ds_read2_b64 v[38:41], v37 offset0:192 offset1:224
	v_mul_u32_u24_sdwa v50, v66, s29 dst_sel:DWORD dst_unused:UNUSED_PAD src0_sel:WORD_0 src1_sel:DWORD
	v_mul_u32_u24_sdwa v51, v66, s29 dst_sel:DWORD dst_unused:UNUSED_PAD src0_sel:WORD_1 src1_sel:DWORD
	v_mul_u32_u24_sdwa v54, v67, s29 dst_sel:DWORD dst_unused:UNUSED_PAD src0_sel:WORD_0 src1_sel:DWORD
	v_mul_u32_u24_sdwa v55, v67, s29 dst_sel:DWORD dst_unused:UNUSED_PAD src0_sel:WORD_1 src1_sel:DWORD
	s_waitcnt lgkmcnt(0)
	v_pk_fma_f16 v46, v38, v50, v46
	v_pk_fma_f16 v66, v38, v51, v43
	;; [unrolled: 1-line block ×4, first 2 shown]
	v_add_u32_e32 v38, 0x4800, v26
	v_pk_fma_f16 v57, v39, v50, v57
	v_pk_fma_f16 v47, v39, v51, v47
	;; [unrolled: 1-line block ×12, first 2 shown]
	ds_read2_b64 v[40:43], v38 offset1:32
	v_mul_u32_u24_sdwa v50, v68, s29 dst_sel:DWORD dst_unused:UNUSED_PAD src0_sel:WORD_0 src1_sel:DWORD
	v_mul_u32_u24_sdwa v51, v68, s29 dst_sel:DWORD dst_unused:UNUSED_PAD src0_sel:WORD_1 src1_sel:DWORD
	v_mul_u32_u24_sdwa v54, v69, s29 dst_sel:DWORD dst_unused:UNUSED_PAD src0_sel:WORD_0 src1_sel:DWORD
	v_mul_u32_u24_sdwa v55, v69, s29 dst_sel:DWORD dst_unused:UNUSED_PAD src0_sel:WORD_1 src1_sel:DWORD
	s_waitcnt lgkmcnt(0)
	v_pk_fma_f16 v46, v40, v50, v46
	v_pk_fma_f16 v65, v40, v51, v66
	v_pk_fma_f16 v56, v40, v54, v56
	v_pk_fma_f16 v52, v40, v55, v52
	v_pk_fma_f16 v57, v41, v50, v57
	v_pk_fma_f16 v47, v41, v51, v47
	v_pk_fma_f16 v66, v41, v54, v67
	v_pk_fma_f16 v39, v41, v55, v39
	v_pk_fma_f16 v45, v42, v50, v45
	v_pk_fma_f16 v53, v42, v51, v53
	v_pk_fma_f16 v64, v42, v54, v64
	v_pk_fma_f16 v35, v42, v55, v35
	v_pk_fma_f16 v36, v43, v50, v36
	v_pk_fma_f16 v48, v43, v51, v48
	v_pk_fma_f16 v49, v43, v54, v49
	v_pk_fma_f16 v44, v43, v55, v44
	ds_read2_b64 v[40:43], v38 offset0:64 offset1:96
	v_mul_u32_u24_sdwa v50, v70, s29 dst_sel:DWORD dst_unused:UNUSED_PAD src0_sel:WORD_0 src1_sel:DWORD
	v_mul_u32_u24_sdwa v51, v70, s29 dst_sel:DWORD dst_unused:UNUSED_PAD src0_sel:WORD_1 src1_sel:DWORD
	v_mul_u32_u24_sdwa v54, v71, s29 dst_sel:DWORD dst_unused:UNUSED_PAD src0_sel:WORD_0 src1_sel:DWORD
	v_mul_u32_u24_sdwa v55, v71, s29 dst_sel:DWORD dst_unused:UNUSED_PAD src0_sel:WORD_1 src1_sel:DWORD
	s_waitcnt lgkmcnt(0)
	v_pk_fma_f16 v46, v40, v50, v46
	v_pk_fma_f16 v65, v40, v51, v65
	v_pk_fma_f16 v56, v40, v54, v56
	v_pk_fma_f16 v52, v40, v55, v52
	v_pk_fma_f16 v57, v41, v50, v57
	v_pk_fma_f16 v47, v41, v51, v47
	v_pk_fma_f16 v66, v41, v54, v66
	v_pk_fma_f16 v39, v41, v55, v39
	v_pk_fma_f16 v45, v42, v50, v45
	v_pk_fma_f16 v53, v42, v51, v53
	v_pk_fma_f16 v64, v42, v54, v64
	v_pk_fma_f16 v35, v42, v55, v35
	v_pk_fma_f16 v36, v43, v50, v36
	v_pk_fma_f16 v48, v43, v51, v48
	v_pk_fma_f16 v49, v43, v54, v49
	v_pk_fma_f16 v44, v43, v55, v44
	ds_read2_b64 v[40:43], v38 offset0:128 offset1:160
	;; [unrolled: 22-line block ×3, first 2 shown]
	v_mul_u32_u24_sdwa v44, v74, s29 dst_sel:DWORD dst_unused:UNUSED_PAD src0_sel:WORD_0 src1_sel:DWORD
	v_mul_u32_u24_sdwa v51, v74, s29 dst_sel:DWORD dst_unused:UNUSED_PAD src0_sel:WORD_1 src1_sel:DWORD
	v_mul_u32_u24_sdwa v55, v75, s29 dst_sel:DWORD dst_unused:UNUSED_PAD src0_sel:WORD_1 src1_sel:DWORD
	v_mul_u32_u24_sdwa v54, v75, s29 dst_sel:DWORD dst_unused:UNUSED_PAD src0_sel:WORD_0 src1_sel:DWORD
	s_waitcnt lgkmcnt(0)
	v_pk_fma_f16 v67, v40, v44, v46
	v_pk_fma_f16 v57, v41, v44, v57
	;; [unrolled: 1-line block ×5, first 2 shown]
	ds_read_b128 v[44:47], v30 offset:64
	v_pk_fma_f16 v70, v42, v55, v35
	v_add_u32_e32 v35, 0x5000, v26
	v_pk_fma_f16 v65, v40, v51, v65
	v_pk_fma_f16 v56, v40, v54, v56
	;; [unrolled: 1-line block ×10, first 2 shown]
	ds_read2_b64 v[40:43], v35 offset1:32
	ds_read_b128 v[48:51], v30 offset:80
	s_waitcnt lgkmcnt(2)
	v_mul_u32_u24_sdwa v72, v44, s29 dst_sel:DWORD dst_unused:UNUSED_PAD src0_sel:WORD_0 src1_sel:DWORD
	v_mul_u32_u24_sdwa v44, v44, s29 dst_sel:DWORD dst_unused:UNUSED_PAD src0_sel:WORD_1 src1_sel:DWORD
	v_mul_u32_u24_sdwa v73, v45, s29 dst_sel:DWORD dst_unused:UNUSED_PAD src0_sel:WORD_0 src1_sel:DWORD
	v_mul_u32_u24_sdwa v45, v45, s29 dst_sel:DWORD dst_unused:UNUSED_PAD src0_sel:WORD_1 src1_sel:DWORD
	s_waitcnt lgkmcnt(1)
	v_pk_fma_f16 v67, v40, v72, v67
	v_pk_fma_f16 v65, v40, v44, v65
	v_pk_fma_f16 v56, v40, v73, v56
	v_pk_fma_f16 v52, v40, v45, v52
	v_pk_fma_f16 v57, v41, v72, v57
	v_pk_fma_f16 v68, v41, v44, v68
	v_pk_fma_f16 v66, v41, v73, v66
	v_pk_fma_f16 v39, v41, v45, v39
	v_pk_fma_f16 v69, v42, v72, v69
	v_pk_fma_f16 v53, v42, v44, v53
	v_pk_fma_f16 v64, v42, v73, v64
	v_pk_fma_f16 v70, v42, v45, v70
	v_pk_fma_f16 v36, v43, v72, v36
	v_pk_fma_f16 v44, v43, v44, v71
	v_pk_fma_f16 v54, v43, v73, v54
	v_pk_fma_f16 v45, v43, v45, v55
	ds_read2_b64 v[40:43], v35 offset0:64 offset1:96
	v_mul_u32_u24_sdwa v55, v46, s29 dst_sel:DWORD dst_unused:UNUSED_PAD src0_sel:WORD_0 src1_sel:DWORD
	v_mul_u32_u24_sdwa v46, v46, s29 dst_sel:DWORD dst_unused:UNUSED_PAD src0_sel:WORD_1 src1_sel:DWORD
	v_mul_u32_u24_sdwa v71, v47, s29 dst_sel:DWORD dst_unused:UNUSED_PAD src0_sel:WORD_0 src1_sel:DWORD
	v_mul_u32_u24_sdwa v47, v47, s29 dst_sel:DWORD dst_unused:UNUSED_PAD src0_sel:WORD_1 src1_sel:DWORD
	s_waitcnt lgkmcnt(0)
	v_pk_fma_f16 v67, v40, v55, v67
	v_pk_fma_f16 v65, v40, v46, v65
	v_pk_fma_f16 v56, v40, v71, v56
	v_pk_fma_f16 v52, v40, v47, v52
	v_pk_fma_f16 v57, v41, v55, v57
	v_pk_fma_f16 v68, v41, v46, v68
	v_pk_fma_f16 v66, v41, v71, v66
	v_pk_fma_f16 v39, v41, v47, v39
	v_pk_fma_f16 v69, v42, v55, v69
	v_pk_fma_f16 v53, v42, v46, v53
	v_pk_fma_f16 v64, v42, v71, v64
	v_pk_fma_f16 v70, v42, v47, v70
	v_pk_fma_f16 v36, v43, v55, v36
	v_pk_fma_f16 v44, v43, v46, v44
	v_pk_fma_f16 v46, v43, v71, v54
	v_pk_fma_f16 v45, v43, v47, v45
	ds_read2_b64 v[40:43], v35 offset0:128 offset1:160
	;; [unrolled: 22-line block ×3, first 2 shown]
	v_mul_u32_u24_sdwa v45, v50, s29 dst_sel:DWORD dst_unused:UNUSED_PAD src0_sel:WORD_0 src1_sel:DWORD
	v_mul_u32_u24_sdwa v49, v51, s29 dst_sel:DWORD dst_unused:UNUSED_PAD src0_sel:WORD_0 src1_sel:DWORD
	v_mul_u32_u24_sdwa v47, v50, s29 dst_sel:DWORD dst_unused:UNUSED_PAD src0_sel:WORD_1 src1_sel:DWORD
	v_mul_u32_u24_sdwa v50, v51, s29 dst_sel:DWORD dst_unused:UNUSED_PAD src0_sel:WORD_1 src1_sel:DWORD
	s_waitcnt lgkmcnt(0)
	v_pk_fma_f16 v84, v40, v49, v56
	v_pk_fma_f16 v86, v41, v45, v57
	v_lshl_add_u64 v[56:57], s[6:7], 0, v[20:21]
	v_pk_fma_f16 v93, v43, v45, v36
	v_add_u32_e32 v36, 0x5800, v26
	v_lshl_add_u64 v[56:57], v[56:57], 0, v[10:11]
	v_lshl_add_u64 v[72:73], s[6:7], 0, v[22:23]
	v_pk_fma_f16 v82, v40, v45, v55
	v_pk_fma_f16 v83, v40, v47, v65
	;; [unrolled: 1-line block ×12, first 2 shown]
	ds_read_b128 v[44:47], v30 offset:96
	v_pk_fma_f16 v96, v43, v50, v48
	ds_read2_b64 v[40:43], v36 offset1:32
	ds_read_b128 v[48:51], v30 offset:112
	ds_read2_b64 v[52:55], v36 offset0:64 offset1:96
	ds_read2_b64 v[64:67], v36 offset0:128 offset1:160
	;; [unrolled: 1-line block ×3, first 2 shown]
	s_waitcnt lgkmcnt(0)
	s_barrier
	v_lshl_add_u64 v[80:81], v[72:73], 0, v[10:11]
	global_load_dwordx4 v[72:75], v[56:57], off
	global_load_dwordx4 v[76:79], v[80:81], off
	v_mul_u32_u24_sdwa v97, v44, s29 dst_sel:DWORD dst_unused:UNUSED_PAD src0_sel:WORD_0 src1_sel:DWORD
	v_mul_u32_u24_sdwa v44, v44, s29 dst_sel:DWORD dst_unused:UNUSED_PAD src0_sel:WORD_1 src1_sel:DWORD
	v_pk_fma_f16 v56, v40, v97, v82
	v_mul_u32_u24_sdwa v82, v45, s29 dst_sel:DWORD dst_unused:UNUSED_PAD src0_sel:WORD_0 src1_sel:DWORD
	v_mul_u32_u24_sdwa v45, v45, s29 dst_sel:DWORD dst_unused:UNUSED_PAD src0_sel:WORD_1 src1_sel:DWORD
	v_pk_fma_f16 v57, v41, v97, v86
	v_pk_fma_f16 v80, v42, v97, v89
	v_pk_fma_f16 v81, v43, v97, v93
	v_pk_fma_f16 v83, v40, v44, v83
	v_pk_fma_f16 v86, v41, v44, v87
	v_pk_fma_f16 v87, v42, v44, v90
	v_pk_fma_f16 v44, v43, v44, v94
	v_pk_fma_f16 v84, v40, v82, v84
	v_pk_fma_f16 v40, v40, v45, v85
	v_pk_fma_f16 v85, v41, v82, v88
	v_pk_fma_f16 v39, v41, v45, v39
	v_pk_fma_f16 v41, v42, v82, v91
	v_pk_fma_f16 v42, v42, v45, v92
	v_pk_fma_f16 v82, v43, v82, v95
	v_pk_fma_f16 v43, v43, v45, v96
	v_mul_u32_u24_sdwa v45, v46, s29 dst_sel:DWORD dst_unused:UNUSED_PAD src0_sel:WORD_0 src1_sel:DWORD
	v_mul_u32_u24_sdwa v46, v46, s29 dst_sel:DWORD dst_unused:UNUSED_PAD src0_sel:WORD_1 src1_sel:DWORD
	v_mul_u32_u24_sdwa v88, v47, s29 dst_sel:DWORD dst_unused:UNUSED_PAD src0_sel:WORD_0 src1_sel:DWORD
	v_mul_u32_u24_sdwa v47, v47, s29 dst_sel:DWORD dst_unused:UNUSED_PAD src0_sel:WORD_1 src1_sel:DWORD
	v_pk_fma_f16 v56, v52, v45, v56
	v_pk_fma_f16 v83, v52, v46, v83
	v_pk_fma_f16 v84, v52, v88, v84
	v_pk_fma_f16 v40, v52, v47, v40
	v_pk_fma_f16 v52, v53, v45, v57
	v_pk_fma_f16 v57, v53, v46, v86
	v_pk_fma_f16 v85, v53, v88, v85
	v_pk_fma_f16 v39, v53, v47, v39
	v_pk_fma_f16 v53, v54, v45, v80
	v_pk_fma_f16 v80, v54, v46, v87
	v_pk_fma_f16 v41, v54, v88, v41
	v_pk_fma_f16 v42, v54, v47, v42
	v_pk_fma_f16 v45, v55, v45, v81
	v_pk_fma_f16 v44, v55, v46, v44
	v_pk_fma_f16 v46, v55, v88, v82
	v_pk_fma_f16 v43, v55, v47, v43
	v_mul_u32_u24_sdwa v47, v48, s29 dst_sel:DWORD dst_unused:UNUSED_PAD src0_sel:WORD_0 src1_sel:DWORD
	v_mul_u32_u24_sdwa v48, v48, s29 dst_sel:DWORD dst_unused:UNUSED_PAD src0_sel:WORD_1 src1_sel:DWORD
	v_mul_u32_u24_sdwa v54, v49, s29 dst_sel:DWORD dst_unused:UNUSED_PAD src0_sel:WORD_0 src1_sel:DWORD
	v_mul_u32_u24_sdwa v49, v49, s29 dst_sel:DWORD dst_unused:UNUSED_PAD src0_sel:WORD_1 src1_sel:DWORD
	v_pk_fma_f16 v55, v64, v47, v56
	;; [unrolled: 20-line block ×3, first 2 shown]
	v_pk_fma_f16 v56, v68, v48, v56
	v_pk_fma_f16 v81, v68, v49, v81
	;; [unrolled: 1-line block ×15, first 2 shown]
	s_waitcnt vmcnt(1)
	ds_write_b128 v31, v[72:75]
	s_waitcnt vmcnt(0)
	ds_write_b128 v32, v[76:79]
	s_waitcnt lgkmcnt(0)
	s_barrier
	ds_read_b128 v[40:43], v30 offset:128
	ds_read2_b64 v[44:47], v37 offset1:32
	ds_read_b128 v[48:51], v30 offset:144
	ds_read_b128 v[52:55], v30 offset:160
	;; [unrolled: 1-line block ×3, first 2 shown]
	s_waitcnt lgkmcnt(4)
	v_mul_u32_u24_sdwa v72, v40, s29 dst_sel:DWORD dst_unused:UNUSED_PAD src0_sel:WORD_0 src1_sel:DWORD
	v_mul_u32_u24_sdwa v40, v40, s29 dst_sel:DWORD dst_unused:UNUSED_PAD src0_sel:WORD_1 src1_sel:DWORD
	v_mul_u32_u24_sdwa v73, v41, s29 dst_sel:DWORD dst_unused:UNUSED_PAD src0_sel:WORD_0 src1_sel:DWORD
	v_mul_u32_u24_sdwa v41, v41, s29 dst_sel:DWORD dst_unused:UNUSED_PAD src0_sel:WORD_1 src1_sel:DWORD
	s_waitcnt lgkmcnt(3)
	v_pk_fma_f16 v74, v44, v72, v80
	v_pk_fma_f16 v56, v44, v40, v56
	v_pk_fma_f16 v75, v44, v73, v81
	v_pk_fma_f16 v68, v44, v41, v68
	v_pk_fma_f16 v76, v45, v72, v82
	v_pk_fma_f16 v57, v45, v40, v57
	v_pk_fma_f16 v77, v45, v73, v83
	v_pk_fma_f16 v39, v45, v41, v39
	v_pk_fma_f16 v69, v46, v72, v69
	v_pk_fma_f16 v78, v46, v40, v84
	v_pk_fma_f16 v79, v46, v73, v85
	v_pk_fma_f16 v70, v46, v41, v70
	v_pk_fma_f16 v72, v47, v72, v86
	v_pk_fma_f16 v40, v47, v40, v87
	v_pk_fma_f16 v73, v47, v73, v88
	v_pk_fma_f16 v41, v47, v41, v71
	ds_read2_b64 v[44:47], v37 offset0:64 offset1:96
	v_mul_u32_u24_sdwa v71, v42, s29 dst_sel:DWORD dst_unused:UNUSED_PAD src0_sel:WORD_0 src1_sel:DWORD
	v_mul_u32_u24_sdwa v42, v42, s29 dst_sel:DWORD dst_unused:UNUSED_PAD src0_sel:WORD_1 src1_sel:DWORD
	v_mul_u32_u24_sdwa v80, v43, s29 dst_sel:DWORD dst_unused:UNUSED_PAD src0_sel:WORD_0 src1_sel:DWORD
	v_mul_u32_u24_sdwa v43, v43, s29 dst_sel:DWORD dst_unused:UNUSED_PAD src0_sel:WORD_1 src1_sel:DWORD
	s_waitcnt lgkmcnt(0)
	v_pk_fma_f16 v74, v44, v71, v74
	v_pk_fma_f16 v56, v44, v42, v56
	v_pk_fma_f16 v75, v44, v80, v75
	v_pk_fma_f16 v44, v44, v43, v68
	v_pk_fma_f16 v68, v45, v71, v76
	v_pk_fma_f16 v57, v45, v42, v57
	v_pk_fma_f16 v76, v45, v80, v77
	v_pk_fma_f16 v39, v45, v43, v39
	v_pk_fma_f16 v45, v46, v71, v69
	v_pk_fma_f16 v69, v46, v42, v78
	v_pk_fma_f16 v77, v46, v80, v79
	v_pk_fma_f16 v46, v46, v43, v70
	v_pk_fma_f16 v70, v47, v71, v72
	v_pk_fma_f16 v71, v47, v42, v40
	v_pk_fma_f16 v72, v47, v80, v73
	v_pk_fma_f16 v47, v47, v43, v41
	ds_read2_b64 v[40:43], v37 offset0:128 offset1:160
	;; [unrolled: 22-line block ×3, first 2 shown]
	v_mul_u32_u24_sdwa v37, v50, s29 dst_sel:DWORD dst_unused:UNUSED_PAD src0_sel:WORD_0 src1_sel:DWORD
	v_mul_u32_u24_sdwa v49, v50, s29 dst_sel:DWORD dst_unused:UNUSED_PAD src0_sel:WORD_1 src1_sel:DWORD
	v_mul_u32_u24_sdwa v50, v51, s29 dst_sel:DWORD dst_unused:UNUSED_PAD src0_sel:WORD_0 src1_sel:DWORD
	v_mul_u32_u24_sdwa v51, v51, s29 dst_sel:DWORD dst_unused:UNUSED_PAD src0_sel:WORD_1 src1_sel:DWORD
	s_waitcnt lgkmcnt(0)
	v_pk_fma_f16 v72, v40, v37, v74
	v_pk_fma_f16 v56, v40, v49, v56
	;; [unrolled: 1-line block ×16, first 2 shown]
	ds_read2_b64 v[40:43], v38 offset1:32
	v_mul_u32_u24_sdwa v50, v52, s29 dst_sel:DWORD dst_unused:UNUSED_PAD src0_sel:WORD_0 src1_sel:DWORD
	v_mul_u32_u24_sdwa v51, v52, s29 dst_sel:DWORD dst_unused:UNUSED_PAD src0_sel:WORD_1 src1_sel:DWORD
	v_mul_u32_u24_sdwa v52, v53, s29 dst_sel:DWORD dst_unused:UNUSED_PAD src0_sel:WORD_0 src1_sel:DWORD
	v_mul_u32_u24_sdwa v53, v53, s29 dst_sel:DWORD dst_unused:UNUSED_PAD src0_sel:WORD_1 src1_sel:DWORD
	s_waitcnt lgkmcnt(0)
	v_pk_fma_f16 v70, v40, v50, v72
	v_pk_fma_f16 v56, v40, v51, v56
	v_pk_fma_f16 v71, v40, v52, v73
	v_pk_fma_f16 v44, v40, v53, v44
	v_pk_fma_f16 v68, v41, v50, v68
	v_pk_fma_f16 v57, v41, v51, v57
	v_pk_fma_f16 v72, v41, v52, v74
	v_pk_fma_f16 v39, v41, v53, v39
	v_pk_fma_f16 v45, v42, v50, v45
	v_pk_fma_f16 v69, v42, v51, v69
	v_pk_fma_f16 v73, v42, v52, v75
	v_pk_fma_f16 v46, v42, v53, v46
	v_pk_fma_f16 v37, v43, v50, v37
	v_pk_fma_f16 v48, v43, v51, v48
	v_pk_fma_f16 v49, v43, v52, v49
	v_pk_fma_f16 v47, v43, v53, v47
	ds_read2_b64 v[40:43], v38 offset0:64 offset1:96
	v_mul_u32_u24_sdwa v50, v54, s29 dst_sel:DWORD dst_unused:UNUSED_PAD src0_sel:WORD_0 src1_sel:DWORD
	v_mul_u32_u24_sdwa v51, v54, s29 dst_sel:DWORD dst_unused:UNUSED_PAD src0_sel:WORD_1 src1_sel:DWORD
	v_mul_u32_u24_sdwa v52, v55, s29 dst_sel:DWORD dst_unused:UNUSED_PAD src0_sel:WORD_0 src1_sel:DWORD
	v_mul_u32_u24_sdwa v53, v55, s29 dst_sel:DWORD dst_unused:UNUSED_PAD src0_sel:WORD_1 src1_sel:DWORD
	s_waitcnt lgkmcnt(0)
	v_pk_fma_f16 v54, v40, v50, v70
	v_pk_fma_f16 v55, v40, v51, v56
	;; [unrolled: 1-line block ×16, first 2 shown]
	ds_read2_b64 v[40:43], v38 offset0:128 offset1:160
	v_mul_u32_u24_sdwa v50, v64, s29 dst_sel:DWORD dst_unused:UNUSED_PAD src0_sel:WORD_0 src1_sel:DWORD
	v_mul_u32_u24_sdwa v51, v64, s29 dst_sel:DWORD dst_unused:UNUSED_PAD src0_sel:WORD_1 src1_sel:DWORD
	v_mul_u32_u24_sdwa v52, v65, s29 dst_sel:DWORD dst_unused:UNUSED_PAD src0_sel:WORD_0 src1_sel:DWORD
	v_mul_u32_u24_sdwa v53, v65, s29 dst_sel:DWORD dst_unused:UNUSED_PAD src0_sel:WORD_1 src1_sel:DWORD
	s_waitcnt lgkmcnt(0)
	v_pk_fma_f16 v54, v40, v50, v54
	v_pk_fma_f16 v55, v40, v51, v55
	;; [unrolled: 1-line block ×8, first 2 shown]
	ds_read2_b64 v[38:41], v38 offset0:192 offset1:224
	v_pk_fma_f16 v45, v42, v50, v45
	v_pk_fma_f16 v69, v42, v51, v69
	;; [unrolled: 1-line block ×8, first 2 shown]
	v_mul_u32_u24_sdwa v43, v66, s29 dst_sel:DWORD dst_unused:UNUSED_PAD src0_sel:WORD_0 src1_sel:DWORD
	v_mul_u32_u24_sdwa v49, v66, s29 dst_sel:DWORD dst_unused:UNUSED_PAD src0_sel:WORD_1 src1_sel:DWORD
	v_mul_u32_u24_sdwa v50, v67, s29 dst_sel:DWORD dst_unused:UNUSED_PAD src0_sel:WORD_0 src1_sel:DWORD
	v_mul_u32_u24_sdwa v51, v67, s29 dst_sel:DWORD dst_unused:UNUSED_PAD src0_sel:WORD_1 src1_sel:DWORD
	s_waitcnt lgkmcnt(0)
	v_pk_fma_f16 v52, v38, v43, v54
	v_pk_fma_f16 v53, v38, v49, v55
	;; [unrolled: 1-line block ×9, first 2 shown]
	ds_read_b128 v[42:45], v30 offset:192
	v_pk_fma_f16 v57, v39, v49, v57
	v_pk_fma_f16 v64, v39, v50, v65
	;; [unrolled: 1-line block ×7, first 2 shown]
	ds_read2_b64 v[38:41], v35 offset1:32
	ds_read_b128 v[46:49], v30 offset:208
	s_waitcnt lgkmcnt(2)
	v_mul_u32_u24_sdwa v71, v42, s29 dst_sel:DWORD dst_unused:UNUSED_PAD src0_sel:WORD_0 src1_sel:DWORD
	v_mul_u32_u24_sdwa v42, v42, s29 dst_sel:DWORD dst_unused:UNUSED_PAD src0_sel:WORD_1 src1_sel:DWORD
	v_mul_u32_u24_sdwa v72, v43, s29 dst_sel:DWORD dst_unused:UNUSED_PAD src0_sel:WORD_0 src1_sel:DWORD
	v_mul_u32_u24_sdwa v43, v43, s29 dst_sel:DWORD dst_unused:UNUSED_PAD src0_sel:WORD_1 src1_sel:DWORD
	s_waitcnt lgkmcnt(1)
	v_pk_fma_f16 v52, v38, v71, v52
	v_pk_fma_f16 v53, v38, v42, v53
	v_pk_fma_f16 v54, v38, v72, v54
	v_pk_fma_f16 v55, v38, v43, v55
	v_pk_fma_f16 v56, v39, v71, v56
	v_pk_fma_f16 v57, v39, v42, v57
	v_pk_fma_f16 v64, v39, v72, v64
	v_pk_fma_f16 v65, v39, v43, v65
	v_pk_fma_f16 v66, v40, v71, v66
	v_pk_fma_f16 v67, v40, v42, v67
	v_pk_fma_f16 v68, v40, v72, v68
	v_pk_fma_f16 v69, v40, v43, v69
	v_pk_fma_f16 v37, v41, v71, v37
	v_pk_fma_f16 v42, v41, v42, v70
	v_pk_fma_f16 v50, v41, v72, v50
	v_pk_fma_f16 v43, v41, v43, v51
	ds_read2_b64 v[38:41], v35 offset0:64 offset1:96
	v_mul_u32_u24_sdwa v51, v44, s29 dst_sel:DWORD dst_unused:UNUSED_PAD src0_sel:WORD_0 src1_sel:DWORD
	v_mul_u32_u24_sdwa v44, v44, s29 dst_sel:DWORD dst_unused:UNUSED_PAD src0_sel:WORD_1 src1_sel:DWORD
	v_mul_u32_u24_sdwa v70, v45, s29 dst_sel:DWORD dst_unused:UNUSED_PAD src0_sel:WORD_0 src1_sel:DWORD
	v_mul_u32_u24_sdwa v45, v45, s29 dst_sel:DWORD dst_unused:UNUSED_PAD src0_sel:WORD_1 src1_sel:DWORD
	s_waitcnt lgkmcnt(0)
	v_pk_fma_f16 v52, v38, v51, v52
	v_pk_fma_f16 v53, v38, v44, v53
	v_pk_fma_f16 v54, v38, v70, v54
	v_pk_fma_f16 v55, v38, v45, v55
	v_pk_fma_f16 v56, v39, v51, v56
	v_pk_fma_f16 v57, v39, v44, v57
	v_pk_fma_f16 v64, v39, v70, v64
	v_pk_fma_f16 v65, v39, v45, v65
	v_pk_fma_f16 v66, v40, v51, v66
	v_pk_fma_f16 v67, v40, v44, v67
	v_pk_fma_f16 v68, v40, v70, v68
	v_pk_fma_f16 v69, v40, v45, v69
	v_pk_fma_f16 v37, v41, v51, v37
	v_pk_fma_f16 v42, v41, v44, v42
	v_pk_fma_f16 v44, v41, v70, v50
	v_pk_fma_f16 v43, v41, v45, v43
	ds_read2_b64 v[38:41], v35 offset0:128 offset1:160
	;; [unrolled: 22-line block ×3, first 2 shown]
	v_mul_u32_u24_sdwa v35, v48, s29 dst_sel:DWORD dst_unused:UNUSED_PAD src0_sel:WORD_0 src1_sel:DWORD
	v_mul_u32_u24_sdwa v43, v48, s29 dst_sel:DWORD dst_unused:UNUSED_PAD src0_sel:WORD_1 src1_sel:DWORD
	v_mul_u32_u24_sdwa v48, v49, s29 dst_sel:DWORD dst_unused:UNUSED_PAD src0_sel:WORD_0 src1_sel:DWORD
	v_mul_u32_u24_sdwa v49, v49, s29 dst_sel:DWORD dst_unused:UNUSED_PAD src0_sel:WORD_1 src1_sel:DWORD
	s_waitcnt lgkmcnt(0)
	v_pk_fma_f16 v50, v38, v35, v51
	v_pk_fma_f16 v51, v38, v43, v52
	;; [unrolled: 1-line block ×12, first 2 shown]
	ds_read_b128 v[42:45], v30 offset:224
	v_pk_fma_f16 v66, v40, v48, v67
	v_pk_fma_f16 v67, v40, v49, v68
	;; [unrolled: 1-line block ×4, first 2 shown]
	ds_read2_b64 v[38:41], v36 offset1:32
	ds_read_b128 v[46:49], v30 offset:240
	s_waitcnt lgkmcnt(2)
	v_mul_u32_u24_sdwa v70, v42, s29 dst_sel:DWORD dst_unused:UNUSED_PAD src0_sel:WORD_0 src1_sel:DWORD
	v_mul_u32_u24_sdwa v42, v42, s29 dst_sel:DWORD dst_unused:UNUSED_PAD src0_sel:WORD_1 src1_sel:DWORD
	v_mul_u32_u24_sdwa v71, v43, s29 dst_sel:DWORD dst_unused:UNUSED_PAD src0_sel:WORD_0 src1_sel:DWORD
	v_mul_u32_u24_sdwa v43, v43, s29 dst_sel:DWORD dst_unused:UNUSED_PAD src0_sel:WORD_1 src1_sel:DWORD
	s_waitcnt lgkmcnt(1)
	v_pk_fma_f16 v50, v38, v70, v50
	v_pk_fma_f16 v51, v38, v42, v51
	;; [unrolled: 1-line block ×16, first 2 shown]
	ds_read2_b64 v[38:41], v36 offset0:64 offset1:96
	v_mul_u32_u24_sdwa v68, v44, s29 dst_sel:DWORD dst_unused:UNUSED_PAD src0_sel:WORD_0 src1_sel:DWORD
	v_mul_u32_u24_sdwa v44, v44, s29 dst_sel:DWORD dst_unused:UNUSED_PAD src0_sel:WORD_1 src1_sel:DWORD
	v_mul_u32_u24_sdwa v69, v45, s29 dst_sel:DWORD dst_unused:UNUSED_PAD src0_sel:WORD_0 src1_sel:DWORD
	v_mul_u32_u24_sdwa v45, v45, s29 dst_sel:DWORD dst_unused:UNUSED_PAD src0_sel:WORD_1 src1_sel:DWORD
	s_waitcnt lgkmcnt(0)
	v_pk_fma_f16 v50, v38, v68, v50
	v_pk_fma_f16 v51, v38, v44, v51
	;; [unrolled: 1-line block ×16, first 2 shown]
	ds_read2_b64 v[38:41], v36 offset0:128 offset1:160
	v_mul_u32_u24_sdwa v44, v46, s29 dst_sel:DWORD dst_unused:UNUSED_PAD src0_sel:WORD_0 src1_sel:DWORD
	v_mul_u32_u24_sdwa v45, v46, s29 dst_sel:DWORD dst_unused:UNUSED_PAD src0_sel:WORD_1 src1_sel:DWORD
	v_mul_u32_u24_sdwa v46, v47, s29 dst_sel:DWORD dst_unused:UNUSED_PAD src0_sel:WORD_0 src1_sel:DWORD
	v_mul_u32_u24_sdwa v47, v47, s29 dst_sel:DWORD dst_unused:UNUSED_PAD src0_sel:WORD_1 src1_sel:DWORD
	s_waitcnt lgkmcnt(0)
	v_pk_fma_f16 v68, v38, v44, v50
	v_pk_fma_f16 v69, v38, v45, v51
	v_pk_fma_f16 v70, v38, v46, v52
	v_pk_fma_f16 v38, v38, v47, v53
	ds_read2_b64 v[50:53], v36 offset0:192 offset1:224
	s_waitcnt lgkmcnt(0)
	s_barrier
	s_load_dword s6, s[4:5], 0x4
	v_pk_fma_f16 v54, v39, v44, v54
	v_pk_fma_f16 v55, v39, v45, v55
	;; [unrolled: 1-line block ×4, first 2 shown]
	s_waitcnt lgkmcnt(0)
	s_lshl_b32 s6, s6, 5
	v_pk_fma_f16 v64, v40, v44, v64
	v_pk_fma_f16 v65, v40, v45, v65
	;; [unrolled: 1-line block ×8, first 2 shown]
	v_mul_u32_u24_sdwa v36, v48, s29 dst_sel:DWORD dst_unused:UNUSED_PAD src0_sel:WORD_0 src1_sel:DWORD
	v_mul_u32_u24_sdwa v41, v48, s29 dst_sel:DWORD dst_unused:UNUSED_PAD src0_sel:WORD_1 src1_sel:DWORD
	v_mul_u32_u24_sdwa v74, v49, s29 dst_sel:DWORD dst_unused:UNUSED_PAD src0_sel:WORD_0 src1_sel:DWORD
	v_mul_u32_u24_sdwa v75, v49, s29 dst_sel:DWORD dst_unused:UNUSED_PAD src0_sel:WORD_1 src1_sel:DWORD
	s_add_i32 s2, s6, s2
	v_pk_fma_f16 v46, v50, v36, v68
	v_pk_fma_f16 v43, v50, v41, v69
	;; [unrolled: 1-line block ×15, first 2 shown]
	s_cmp_ge_i32 s2, s30
	v_pk_fma_f16 v36, v53, v75, v73
	s_cbranch_scc1 .LBB61_7
; %bb.46:                               ;   in Loop: Header=BB61_29 Depth=1
	v_mov_b32_e32 v54, v0
	v_mov_b32_e32 v53, v1
	;; [unrolled: 1-line block ×4, first 2 shown]
	s_branch .LBB61_29
	.section	.rodata,"a",@progbits
	.p2align	6, 0x0
	.amdhsa_kernel _ZL15flash_attn_tileILi256ELi256ELi8ELi4ELb1EEvPKcS1_S1_S1_S1_PKiPfP15HIP_vector_typeIfLj2EEffffjfiS5_IjLj3EEiiiiiiiiiiiliiliiiiil
		.amdhsa_group_segment_fixed_size 27136
		.amdhsa_private_segment_fixed_size 0
		.amdhsa_kernarg_size 464
		.amdhsa_user_sgpr_count 2
		.amdhsa_user_sgpr_dispatch_ptr 0
		.amdhsa_user_sgpr_queue_ptr 0
		.amdhsa_user_sgpr_kernarg_segment_ptr 1
		.amdhsa_user_sgpr_dispatch_id 0
		.amdhsa_user_sgpr_kernarg_preload_length 0
		.amdhsa_user_sgpr_kernarg_preload_offset 0
		.amdhsa_user_sgpr_private_segment_size 0
		.amdhsa_uses_dynamic_stack 0
		.amdhsa_enable_private_segment 0
		.amdhsa_system_sgpr_workgroup_id_x 1
		.amdhsa_system_sgpr_workgroup_id_y 1
		.amdhsa_system_sgpr_workgroup_id_z 1
		.amdhsa_system_sgpr_workgroup_info 0
		.amdhsa_system_vgpr_workitem_id 1
		.amdhsa_next_free_vgpr 98
		.amdhsa_next_free_sgpr 91
		.amdhsa_accum_offset 100
		.amdhsa_reserve_vcc 1
		.amdhsa_float_round_mode_32 0
		.amdhsa_float_round_mode_16_64 0
		.amdhsa_float_denorm_mode_32 3
		.amdhsa_float_denorm_mode_16_64 3
		.amdhsa_dx10_clamp 1
		.amdhsa_ieee_mode 1
		.amdhsa_fp16_overflow 0
		.amdhsa_tg_split 0
		.amdhsa_exception_fp_ieee_invalid_op 0
		.amdhsa_exception_fp_denorm_src 0
		.amdhsa_exception_fp_ieee_div_zero 0
		.amdhsa_exception_fp_ieee_overflow 0
		.amdhsa_exception_fp_ieee_underflow 0
		.amdhsa_exception_fp_ieee_inexact 0
		.amdhsa_exception_int_div_zero 0
	.end_amdhsa_kernel
	.section	.text._ZL15flash_attn_tileILi256ELi256ELi8ELi4ELb1EEvPKcS1_S1_S1_S1_PKiPfP15HIP_vector_typeIfLj2EEffffjfiS5_IjLj3EEiiiiiiiiiiiliiliiiiil,"axG",@progbits,_ZL15flash_attn_tileILi256ELi256ELi8ELi4ELb1EEvPKcS1_S1_S1_S1_PKiPfP15HIP_vector_typeIfLj2EEffffjfiS5_IjLj3EEiiiiiiiiiiiliiliiiiil,comdat
.Lfunc_end61:
	.size	_ZL15flash_attn_tileILi256ELi256ELi8ELi4ELb1EEvPKcS1_S1_S1_S1_PKiPfP15HIP_vector_typeIfLj2EEffffjfiS5_IjLj3EEiiiiiiiiiiiliiliiiiil, .Lfunc_end61-_ZL15flash_attn_tileILi256ELi256ELi8ELi4ELb1EEvPKcS1_S1_S1_S1_PKiPfP15HIP_vector_typeIfLj2EEffffjfiS5_IjLj3EEiiiiiiiiiiiliiliiiiil
                                        ; -- End function
	.set _ZL15flash_attn_tileILi256ELi256ELi8ELi4ELb1EEvPKcS1_S1_S1_S1_PKiPfP15HIP_vector_typeIfLj2EEffffjfiS5_IjLj3EEiiiiiiiiiiiliiliiiiil.num_vgpr, 98
	.set _ZL15flash_attn_tileILi256ELi256ELi8ELi4ELb1EEvPKcS1_S1_S1_S1_PKiPfP15HIP_vector_typeIfLj2EEffffjfiS5_IjLj3EEiiiiiiiiiiiliiliiiiil.num_agpr, 0
	.set _ZL15flash_attn_tileILi256ELi256ELi8ELi4ELb1EEvPKcS1_S1_S1_S1_PKiPfP15HIP_vector_typeIfLj2EEffffjfiS5_IjLj3EEiiiiiiiiiiiliiliiiiil.numbered_sgpr, 40
	.set _ZL15flash_attn_tileILi256ELi256ELi8ELi4ELb1EEvPKcS1_S1_S1_S1_PKiPfP15HIP_vector_typeIfLj2EEffffjfiS5_IjLj3EEiiiiiiiiiiiliiliiiiil.num_named_barrier, 0
	.set _ZL15flash_attn_tileILi256ELi256ELi8ELi4ELb1EEvPKcS1_S1_S1_S1_PKiPfP15HIP_vector_typeIfLj2EEffffjfiS5_IjLj3EEiiiiiiiiiiiliiliiiiil.private_seg_size, 0
	.set _ZL15flash_attn_tileILi256ELi256ELi8ELi4ELb1EEvPKcS1_S1_S1_S1_PKiPfP15HIP_vector_typeIfLj2EEffffjfiS5_IjLj3EEiiiiiiiiiiiliiliiiiil.uses_vcc, 1
	.set _ZL15flash_attn_tileILi256ELi256ELi8ELi4ELb1EEvPKcS1_S1_S1_S1_PKiPfP15HIP_vector_typeIfLj2EEffffjfiS5_IjLj3EEiiiiiiiiiiiliiliiiiil.uses_flat_scratch, 0
	.set _ZL15flash_attn_tileILi256ELi256ELi8ELi4ELb1EEvPKcS1_S1_S1_S1_PKiPfP15HIP_vector_typeIfLj2EEffffjfiS5_IjLj3EEiiiiiiiiiiiliiliiiiil.has_dyn_sized_stack, 0
	.set _ZL15flash_attn_tileILi256ELi256ELi8ELi4ELb1EEvPKcS1_S1_S1_S1_PKiPfP15HIP_vector_typeIfLj2EEffffjfiS5_IjLj3EEiiiiiiiiiiiliiliiiiil.has_recursion, 0
	.set _ZL15flash_attn_tileILi256ELi256ELi8ELi4ELb1EEvPKcS1_S1_S1_S1_PKiPfP15HIP_vector_typeIfLj2EEffffjfiS5_IjLj3EEiiiiiiiiiiiliiliiiiil.has_indirect_call, 0
	.section	.AMDGPU.csdata,"",@progbits
; Kernel info:
; codeLenInByte = 24500
; TotalNumSgprs: 46
; NumVgprs: 98
; NumAgprs: 0
; TotalNumVgprs: 98
; ScratchSize: 0
; MemoryBound: 0
; FloatMode: 240
; IeeeMode: 1
; LDSByteSize: 27136 bytes/workgroup (compile time only)
; SGPRBlocks: 12
; VGPRBlocks: 12
; NumSGPRsForWavesPerEU: 97
; NumVGPRsForWavesPerEU: 98
; AccumOffset: 100
; Occupancy: 4
; WaveLimiterHint : 1
; COMPUTE_PGM_RSRC2:SCRATCH_EN: 0
; COMPUTE_PGM_RSRC2:USER_SGPR: 2
; COMPUTE_PGM_RSRC2:TRAP_HANDLER: 0
; COMPUTE_PGM_RSRC2:TGID_X_EN: 1
; COMPUTE_PGM_RSRC2:TGID_Y_EN: 1
; COMPUTE_PGM_RSRC2:TGID_Z_EN: 1
; COMPUTE_PGM_RSRC2:TIDIG_COMP_CNT: 1
; COMPUTE_PGM_RSRC3_GFX90A:ACCUM_OFFSET: 24
; COMPUTE_PGM_RSRC3_GFX90A:TG_SPLIT: 0
	.section	.text._ZL15flash_attn_tileILi256ELi256ELi4ELi4ELb1EEvPKcS1_S1_S1_S1_PKiPfP15HIP_vector_typeIfLj2EEffffjfiS5_IjLj3EEiiiiiiiiiiiliiliiiiil,"axG",@progbits,_ZL15flash_attn_tileILi256ELi256ELi4ELi4ELb1EEvPKcS1_S1_S1_S1_PKiPfP15HIP_vector_typeIfLj2EEffffjfiS5_IjLj3EEiiiiiiiiiiiliiliiiiil,comdat
	.globl	_ZL15flash_attn_tileILi256ELi256ELi4ELi4ELb1EEvPKcS1_S1_S1_S1_PKiPfP15HIP_vector_typeIfLj2EEffffjfiS5_IjLj3EEiiiiiiiiiiiliiliiiiil ; -- Begin function _ZL15flash_attn_tileILi256ELi256ELi4ELi4ELb1EEvPKcS1_S1_S1_S1_PKiPfP15HIP_vector_typeIfLj2EEffffjfiS5_IjLj3EEiiiiiiiiiiiliiliiiiil
	.p2align	8
	.type	_ZL15flash_attn_tileILi256ELi256ELi4ELi4ELb1EEvPKcS1_S1_S1_S1_PKiPfP15HIP_vector_typeIfLj2EEffffjfiS5_IjLj3EEiiiiiiiiiiiliiliiiiil,@function
_ZL15flash_attn_tileILi256ELi256ELi4ELi4ELb1EEvPKcS1_S1_S1_S1_PKiPfP15HIP_vector_typeIfLj2EEffffjfiS5_IjLj3EEiiiiiiiiiiiliiliiiiil: ; @_ZL15flash_attn_tileILi256ELi256ELi4ELi4ELb1EEvPKcS1_S1_S1_S1_PKiPfP15HIP_vector_typeIfLj2EEffffjfiS5_IjLj3EEiiiiiiiiiiiliiliiiiil
; %bb.0:
	s_load_dwordx4 s[20:23], s[0:1], 0x5c
	s_load_dwordx2 s[24:25], s[0:1], 0x80
	s_load_dwordx2 s[28:29], s[0:1], 0xb8
	s_mov_b64 s[26:27], 0
	s_waitcnt lgkmcnt(0)
	s_ashr_i32 s5, s23, 31
	s_lshr_b32 s5, s5, 30
	s_add_i32 s5, s23, s5
	s_ashr_i32 s5, s5, 2
	v_cvt_f32_u32_e32 v1, s5
	s_sub_i32 s6, 0, s5
	v_rcp_iflag_f32_e32 v1, v1
	s_nop 0
	v_mul_f32_e32 v1, 0x4f7ffffe, v1
	v_cvt_u32_f32_e32 v1, v1
	s_nop 0
	v_readfirstlane_b32 s7, v1
	s_mul_i32 s6, s6, s7
	s_mul_hi_u32 s6, s7, s6
	s_add_i32 s7, s7, s6
	s_mul_hi_u32 s6, s4, s7
	s_mul_i32 s7, s6, s5
	s_sub_i32 s7, s4, s7
	s_add_i32 s8, s6, 1
	s_sub_i32 s9, s7, s5
	s_cmp_ge_u32 s7, s5
	s_cselect_b32 s6, s8, s6
	s_cselect_b32 s7, s9, s7
	s_add_i32 s8, s6, 1
	s_cmp_ge_u32 s7, s5
	s_cselect_b32 s30, s8, s6
	s_abs_i32 s5, s25
	v_cvt_f32_u32_e32 v1, s5
	s_lshl_b32 s4, s4, 2
	s_mul_i32 s8, s30, s23
	s_xor_b32 s6, s23, s25
	v_rcp_iflag_f32_e32 v1, v1
	s_sub_i32 s9, 0, s5
	s_sub_i32 s25, s4, s8
	s_abs_i32 s7, s23
	v_mul_f32_e32 v1, 0x4f7ffffe, v1
	v_cvt_u32_f32_e32 v1, v1
	s_ashr_i32 s6, s6, 31
	v_readfirstlane_b32 s4, v1
	s_mul_i32 s9, s9, s4
	s_mul_hi_u32 s8, s4, s9
	s_add_i32 s4, s4, s8
	s_mul_hi_u32 s4, s7, s4
	s_mul_i32 s8, s4, s5
	s_sub_i32 s7, s7, s8
	s_add_i32 s9, s4, 1
	s_sub_i32 s8, s7, s5
	s_cmp_ge_u32 s7, s5
	s_cselect_b32 s4, s9, s4
	s_cselect_b32 s7, s8, s7
	s_add_i32 s8, s4, 1
	s_cmp_ge_u32 s7, s5
	s_cselect_b32 s4, s8, s4
	s_xor_b32 s4, s4, s6
	s_sub_i32 s33, s4, s6
	s_abs_i32 s31, s33
	v_cvt_f32_u32_e32 v1, s31
	s_load_dwordx16 s[4:19], s[0:1], 0x0
	v_rcp_iflag_f32_e32 v1, v1
	s_waitcnt lgkmcnt(0)
	s_cmp_eq_u64 s[10:11], 0
	v_mul_f32_e32 v1, 0x4f7ffffe, v1
	v_cvt_u32_f32_e32 v1, v1
	s_nop 0
	v_readfirstlane_b32 s34, v1
	s_cbranch_scc1 .LBB62_2
; %bb.1:
	s_abs_i32 s28, s28
	v_cvt_f32_u32_e32 v1, s28
	s_sub_i32 s37, 0, s28
	s_abs_i32 s36, s30
	s_ashr_i32 s35, s30, 31
	v_rcp_iflag_f32_e32 v1, v1
	s_load_dwordx2 s[26:27], s[0:1], 0xc8
	v_mul_f32_e32 v1, 0x4f7ffffe, v1
	v_cvt_u32_f32_e32 v1, v1
	s_nop 0
	v_readfirstlane_b32 s38, v1
	s_mul_i32 s37, s37, s38
	s_mul_hi_u32 s37, s38, s37
	s_add_i32 s38, s38, s37
	s_mul_hi_u32 s37, s36, s38
	s_mul_i32 s37, s37, s28
	s_sub_i32 s36, s36, s37
	s_sub_i32 s37, s36, s28
	s_cmp_ge_u32 s36, s28
	s_cselect_b32 s36, s37, s36
	s_sub_i32 s37, s36, s28
	s_cmp_ge_u32 s36, s28
	s_cselect_b32 s28, s37, s36
	s_xor_b32 s28, s28, s35
	s_sub_i32 s28, s28, s35
	s_ashr_i32 s35, s28, 31
	s_waitcnt lgkmcnt(0)
	s_mul_hi_u32 s36, s26, s28
	s_mul_i32 s35, s26, s35
	s_mul_i32 s27, s27, s28
	s_add_i32 s35, s36, s35
	s_add_i32 s35, s35, s27
	s_mul_i32 s26, s26, s28
	s_add_u32 s26, s10, s26
	s_addc_u32 s27, s11, s35
.LBB62_2:
	s_load_dwordx4 s[36:39], s[0:1], 0x70
	v_lshrrev_b32_e32 v3, 10, v0
	v_bfe_u32 v3, v3, 1, 9
	v_lshl_add_u32 v9, s2, 2, v3
	v_mul_hi_u32 v3, s20, v9
	s_waitcnt lgkmcnt(0)
	s_mul_i32 s10, s30, s38
	s_ashr_i32 s28, s10, 31
	s_mul_i32 s11, s25, s37
	s_add_u32 s4, s4, s10
	s_addc_u32 s5, s5, s28
	s_ashr_i32 s10, s11, 31
	v_add_u32_e32 v3, v9, v3
	s_add_u32 s4, s4, s11
	v_lshrrev_b32_e32 v3, s21, v3
	s_addc_u32 s5, s5, s10
	s_ashr_i32 s11, s37, 31
	s_mov_b32 s10, s37
	v_mul_lo_u32 v3, v3, s22
	s_ashr_i32 s37, s36, 31
	v_sub_u32_e32 v3, v9, v3
	s_lshr_b64 s[20:21], s[36:37], 2
	v_mad_u64_u32 v[4:5], s[20:21], s20, v3, 0
	s_lshr_b64 s[38:39], s[10:11], 2
	v_mov_b32_e32 v6, v5
	s_lshr_b32 s10, s37, 2
	v_bfe_u32 v1, v0, 10, 10
	v_mad_u64_u32 v[6:7], s[20:21], s10, v3, v[6:7]
	v_lshlrev_b32_e32 v2, 1, v1
	v_mov_b32_e32 v5, v6
	v_and_b32_e32 v8, 0x3ff, v0
	v_mov_b32_e32 v7, 0
	v_lshl_add_u64 v[4:5], v[4:5], 2, s[4:5]
	v_lshlrev_b32_e32 v6, 4, v8
	v_and_b32_e32 v28, 2, v2
	s_lshr_b32 s10, s11, 2
	v_lshl_add_u64 v[14:15], v[4:5], 0, v[6:7]
	v_mul_lo_u32 v0, s10, v28
	v_mad_u64_u32 v[4:5], s[4:5], s38, v28, 0
	v_or_b32_e32 v5, v5, v0
	v_lshl_add_u64 v[16:17], v[4:5], 2, v[14:15]
	v_bitop3_b32 v18, v2, 3, 1 bitop3:0xc8
	global_load_dwordx4 v[4:7], v[16:17], off
	global_load_dwordx4 v[10:13], v[16:17], off offset:512
	v_mad_u64_u32 v[16:17], s[4:5], s38, v18, 0
	v_mov_b32_e32 v0, v17
	v_mad_u64_u32 v[18:19], s[4:5], s10, v18, v[0:1]
	v_mov_b32_e32 v17, v18
	v_lshl_add_u64 v[22:23], v[16:17], 2, v[14:15]
	global_load_dwordx4 v[14:17], v[22:23], off
	global_load_dwordx4 v[18:21], v[22:23], off offset:512
	s_load_dword s4, s[0:1], 0x40
	v_lshlrev_b32_e32 v30, 3, v8
	v_lshlrev_b32_e32 v0, 10, v1
	v_add_u32_e32 v22, 0x2200, v30
	v_add_u32_e32 v24, v22, v0
	v_or_b32_e32 v23, 1, v2
	v_lshl_add_u32 v22, v23, 9, v22
	s_cmp_eq_u64 s[14:15], 0
	s_waitcnt vmcnt(3) lgkmcnt(0)
	v_fma_mixlo_f16 v4, s4, v4, 0
	v_fma_mixlo_f16 v5, s4, v5, 0
	;; [unrolled: 1-line block ×4, first 2 shown]
	s_waitcnt vmcnt(2)
	v_fma_mixlo_f16 v10, s4, v10, 0
	v_fma_mixlo_f16 v11, s4, v11, 0
	;; [unrolled: 1-line block ×4, first 2 shown]
	v_lshlrev_b32_e32 v5, 16, v5
	v_and_b32_e32 v4, 0xffff, v4
	v_lshlrev_b32_e32 v7, 16, v7
	v_and_b32_e32 v6, 0xffff, v6
	;; [unrolled: 2-line block ×3, first 2 shown]
	s_waitcnt vmcnt(1)
	v_fma_mixlo_f16 v14, s4, v14, 0
	v_fma_mixlo_f16 v15, s4, v15, 0
	s_waitcnt vmcnt(0)
	v_fma_mixlo_f16 v18, s4, v18, 0
	v_fma_mixlo_f16 v19, s4, v19, 0
	v_lshlrev_b32_e32 v13, 16, v13
	v_and_b32_e32 v12, 0xffff, v12
	v_or_b32_e32 v4, v5, v4
	v_or3_b32 v5, v7, v6, 0
	v_or_b32_e32 v6, v11, v10
	v_fma_mixlo_f16 v16, s4, v16, 0
	v_fma_mixlo_f16 v17, s4, v17, 0
	;; [unrolled: 1-line block ×4, first 2 shown]
	v_lshlrev_b32_e32 v15, 16, v15
	v_and_b32_e32 v14, 0xffff, v14
	v_lshlrev_b32_e32 v19, 16, v19
	v_and_b32_e32 v18, 0xffff, v18
	v_or3_b32 v7, v13, v12, 0
	v_or3_b32 v4, 0, 0, v4
	;; [unrolled: 1-line block ×3, first 2 shown]
	v_lshlrev_b32_e32 v17, 16, v17
	v_and_b32_e32 v16, 0xffff, v16
	v_lshlrev_b32_e32 v21, 16, v21
	v_or_b32_e32 v10, v15, v14
	v_or_b32_e32 v12, v19, v18
	ds_write2_b64 v24, v[4:5], v[6:7] offset1:32
	v_and_b32_e32 v4, 0xffff, v20
	v_or3_b32 v11, v17, v16, 0
	v_or3_b32 v10, 0, 0, v10
	;; [unrolled: 1-line block ×4, first 2 shown]
	ds_write2_b64 v22, v[10:11], v[4:5] offset1:32
	s_waitcnt lgkmcnt(0)
	s_barrier
	s_cbranch_scc1 .LBB62_4
; %bb.3:
	s_load_dword s4, s[0:1], 0xd0
	s_mov_b32 s5, 0
	s_waitcnt lgkmcnt(0)
	s_mul_i32 s4, s4, s30
	s_add_i32 s4, s4, s2
	s_lshl_b64 s[4:5], s[4:5], 2
	s_add_u32 s4, s14, s4
	s_addc_u32 s5, s15, s5
	s_load_dword s24, s[4:5], 0x0
.LBB62_4:
	s_lshl_b32 s2, s3, 5
	v_lshlrev_b32_e32 v29, 2, v8
	s_waitcnt lgkmcnt(0)
	s_cmp_lt_i32 s2, s24
	v_mbcnt_lo_u32_b32 v4, -1, 0
	s_cbranch_scc1 .LBB62_19
; %bb.5:
	v_mbcnt_hi_u32_b32 v19, -1, v4
	v_and_b32_e32 v5, 0x60, v19
	v_add_u32_e32 v46, 32, v5
	v_xor_b32_e32 v47, 16, v19
	v_xor_b32_e32 v48, 8, v19
	;; [unrolled: 1-line block ×5, first 2 shown]
	s_cbranch_execz .LBB62_20
; %bb.6:
	v_mov_b32_e32 v11, 0
	v_mov_b32_e32 v27, 0xfeffffff
	;; [unrolled: 1-line block ×12, first 2 shown]
.LBB62_7:
	v_cmp_lt_i32_e32 vcc, v47, v46
	s_cmp_lg_u64 s[12:13], 0
	s_cselect_b64 s[4:5], -1, 0
	v_cndmask_b32_e32 v0, v19, v47, vcc
	v_lshlrev_b32_e32 v1, 2, v0
	ds_bpermute_b32 v0, v1, v10
	ds_bpermute_b32 v1, v1, v11
	v_cmp_lt_i32_e32 vcc, v48, v46
	s_cmp_eq_u32 s3, 0
	s_cselect_b64 s[6:7], -1, 0
	v_cndmask_b32_e32 v2, v19, v48, vcc
	v_lshlrev_b32_e32 v3, 2, v2
	s_waitcnt lgkmcnt(0)
	v_pk_add_f32 v[0:1], v[10:11], v[0:1]
	ds_bpermute_b32 v2, v3, v0
	ds_bpermute_b32 v3, v3, v1
	v_cmp_lt_i32_e32 vcc, v49, v46
	s_and_b64 s[4:5], s[6:7], s[4:5]
	s_waitcnt lgkmcnt(0)
	v_pk_add_f32 v[0:1], v[0:1], v[2:3]
	v_cndmask_b32_e32 v4, v19, v49, vcc
	v_lshlrev_b32_e32 v4, 2, v4
	ds_bpermute_b32 v2, v4, v0
	ds_bpermute_b32 v3, v4, v1
	v_cmp_lt_i32_e32 vcc, v50, v46
	s_waitcnt lgkmcnt(0)
	v_pk_add_f32 v[0:1], v[0:1], v[2:3]
	v_cndmask_b32_e32 v4, v19, v50, vcc
	v_lshlrev_b32_e32 v4, 2, v4
	ds_bpermute_b32 v2, v4, v0
	ds_bpermute_b32 v3, v4, v1
	v_cmp_lt_i32_e32 vcc, v51, v46
	s_waitcnt lgkmcnt(0)
	v_pk_add_f32 v[0:1], v[0:1], v[2:3]
	v_cndmask_b32_e32 v4, v19, v51, vcc
	v_lshlrev_b32_e32 v4, 2, v4
	ds_bpermute_b32 v2, v4, v0
	ds_bpermute_b32 v3, v4, v1
	s_and_b64 vcc, exec, s[4:5]
	s_waitcnt lgkmcnt(0)
	v_pk_add_f32 v[0:1], v[0:1], v[2:3]
	s_cbranch_vccz .LBB62_9
; %bb.8:
	v_add_u32_e32 v2, s25, v28
	v_ashrrev_i32_e32 v3, 31, v2
	v_lshl_add_u64 v[2:3], v[2:3], 2, s[12:13]
	global_load_dwordx2 v[2:3], v[2:3], off
	v_max_f32_e32 v4, v26, v26
	v_max_f32_e32 v11, v27, v27
	s_mov_b32 s2, 0x3fb8aa3b
	s_mov_b32 s4, 0xc2ce8ed0
	;; [unrolled: 1-line block ×3, first 2 shown]
	v_mov_b32_e32 v13, 0x7f800000
	s_waitcnt vmcnt(0)
	v_max_f32_e32 v10, v2, v2
	v_max_f32_e32 v10, v4, v10
	;; [unrolled: 1-line block ×3, first 2 shown]
	v_sub_f32_e32 v4, v26, v10
	v_max_f32_e32 v11, v11, v12
	v_sub_f32_e32 v12, v2, v10
	v_mul_f32_e32 v2, 0x3fb8aa3b, v4
	v_sub_f32_e32 v14, v27, v11
	v_sub_f32_e32 v15, v3, v11
	v_mul_f32_e32 v3, 0x3fb8aa3b, v12
	v_fma_f32 v18, v4, s2, -v2
	v_rndne_f32_e32 v19, v2
	v_mul_f32_e32 v16, 0x3fb8aa3b, v14
	v_fma_f32 v20, v12, s2, -v3
	v_rndne_f32_e32 v21, v3
	v_fmac_f32_e32 v18, 0x32a5705f, v4
	v_sub_f32_e32 v2, v2, v19
	v_mul_f32_e32 v17, 0x3fb8aa3b, v15
	v_fma_f32 v22, v14, s2, -v16
	v_rndne_f32_e32 v23, v16
	v_fmac_f32_e32 v20, 0x32a5705f, v12
	v_sub_f32_e32 v3, v3, v21
	v_add_f32_e32 v2, v2, v18
	v_fma_f32 v24, v15, s2, -v17
	v_rndne_f32_e32 v25, v17
	v_cvt_i32_f32_e32 v19, v19
	v_fmac_f32_e32 v22, 0x32a5705f, v14
	v_sub_f32_e32 v16, v16, v23
	v_add_f32_e32 v3, v3, v20
	v_exp_f32_e32 v2, v2
	v_cvt_i32_f32_e32 v21, v21
	v_fmac_f32_e32 v24, 0x32a5705f, v15
	v_sub_f32_e32 v17, v17, v25
	v_add_f32_e32 v16, v16, v22
	v_exp_f32_e32 v3, v3
	v_cvt_i32_f32_e32 v23, v23
	v_add_f32_e32 v17, v17, v24
	v_exp_f32_e32 v16, v16
	v_cvt_i32_f32_e32 v25, v25
	v_exp_f32_e32 v17, v17
	v_ldexp_f32 v2, v2, v19
	v_cmp_ngt_f32_e32 vcc, s4, v4
	v_ldexp_f32 v3, v3, v21
	v_ldexp_f32 v16, v16, v23
	v_cndmask_b32_e32 v2, 0, v2, vcc
	v_cmp_ngt_f32_e32 vcc, s4, v12
	v_ldexp_f32 v17, v17, v25
	v_mov_b64_e32 v[26:27], v[10:11]
	v_cndmask_b32_e32 v3, 0, v3, vcc
	v_cmp_ngt_f32_e32 vcc, s4, v14
	s_nop 1
	v_cndmask_b32_e32 v16, 0, v16, vcc
	v_cmp_ngt_f32_e32 vcc, s4, v15
	s_nop 1
	v_cndmask_b32_e32 v17, 0, v17, vcc
	v_cmp_nlt_f32_e32 vcc, s5, v4
	s_nop 1
	v_cndmask_b32_e32 v2, v13, v2, vcc
	v_cmp_nlt_f32_e32 vcc, s5, v12
	v_cvt_f16_f32_e32 v4, v2
	s_nop 0
	v_cndmask_b32_e32 v12, v13, v3, vcc
	v_cmp_nlt_f32_e32 vcc, s5, v14
	s_nop 1
	v_cndmask_b32_e32 v3, v13, v16, vcc
	v_cvt_f16_f32_e32 v14, v3
	v_cmp_nlt_f32_e32 vcc, s5, v15
	s_nop 1
	v_cndmask_b32_e32 v13, v13, v17, vcc
	v_pk_fma_f32 v[0:1], v[0:1], v[2:3], v[12:13]
	v_mul_u32_u24_e32 v2, 0x10001, v4
	v_mul_u32_u24_e32 v3, 0x10001, v14
	v_pk_mul_f16 v41, v41, v2
	v_pk_mul_f16 v44, v44, v2
	;; [unrolled: 1-line block ×8, first 2 shown]
.LBB62_9:
	v_cmp_gt_i32_e32 vcc, s22, v9
	s_and_saveexec_b64 s[4:5], vcc
	s_cbranch_execz .LBB62_18
; %bb.10:
	s_load_dword s6, s[0:1], 0xd4
	v_mov_b32_e32 v4, 1.0
	s_waitcnt lgkmcnt(0)
	s_cmp_lg_u32 s6, 1
	s_cselect_b64 s[0:1], -1, 0
	s_cmp_eq_u32 s6, 1
	s_cselect_b64 s[4:5], -1, 0
	s_and_b64 vcc, exec, s[0:1]
	s_cbranch_vccnz .LBB62_12
; %bb.11:
	v_div_scale_f32 v2, s[8:9], v0, v0, 1.0
	v_rcp_f32_e32 v3, v2
	v_div_scale_f32 v4, vcc, 1.0, v0, 1.0
	v_fma_f32 v10, -v2, v3, 1.0
	v_fmac_f32_e32 v3, v10, v3
	v_mul_f32_e32 v10, v4, v3
	v_fma_f32 v11, -v2, v10, v4
	v_fmac_f32_e32 v10, v11, v3
	v_fma_f32 v2, -v2, v10, v4
	v_div_fmas_f32 v2, v2, v3, v10
	v_div_fixup_f32 v4, v2, v0, 1.0
.LBB62_12:
	s_mul_i32 s30, s30, s22
	v_add_u32_e32 v2, s30, v9
	v_mul_lo_u32 v2, v2, s23
	v_add3_u32 v2, s25, v28, v2
	v_cmp_eq_u32_e32 vcc, 0, v8
	v_cvt_f32_f16_sdwa v9, v41 dst_sel:DWORD dst_unused:UNUSED_PAD src0_sel:WORD_1
	v_cvt_f32_f16_e32 v8, v41
	v_cvt_f32_f16_sdwa v11, v44 dst_sel:DWORD dst_unused:UNUSED_PAD src0_sel:WORD_1
	v_cvt_f32_f16_e32 v10, v44
	v_mul_lo_u32 v2, s6, v2
	v_add_u32_e32 v2, s3, v2
	v_lshl_add_u32 v12, v2, 8, v29
	v_mov_b32_e32 v13, 0
	v_lshl_add_u64 v[14:15], v[12:13], 2, s[16:17]
	v_pk_mul_f32 v[8:9], v[4:5], v[8:9] op_sel_hi:[0,1]
	v_pk_mul_f32 v[10:11], v[4:5], v[10:11] op_sel_hi:[0,1]
	global_store_dwordx4 v[14:15], v[8:11], off
	v_add_u32_e32 v12, 0x80, v12
	s_and_b64 s[0:1], vcc, s[0:1]
	v_cvt_f32_f16_sdwa v9, v43 dst_sel:DWORD dst_unused:UNUSED_PAD src0_sel:WORD_1
	v_cvt_f32_f16_e32 v8, v43
	v_cvt_f32_f16_sdwa v11, v42 dst_sel:DWORD dst_unused:UNUSED_PAD src0_sel:WORD_1
	v_cvt_f32_f16_e32 v10, v42
	v_lshl_add_u64 v[12:13], v[12:13], 2, s[16:17]
	v_pk_mul_f32 v[8:9], v[4:5], v[8:9] op_sel_hi:[0,1]
	v_pk_mul_f32 v[10:11], v[4:5], v[10:11] op_sel_hi:[0,1]
	global_store_dwordx4 v[12:13], v[8:11], off
	s_and_saveexec_b64 s[2:3], s[0:1]
	s_cbranch_execz .LBB62_14
; %bb.13:
	v_ashrrev_i32_e32 v3, 31, v2
	v_lshl_add_u64 v[8:9], v[2:3], 3, s[18:19]
	v_mov_b32_e32 v10, v26
	v_mov_b32_e32 v11, v0
	global_store_dwordx2 v[8:9], v[10:11], off
.LBB62_14:
	s_or_b64 exec, exec, s[2:3]
	s_andn2_b64 vcc, exec, s[4:5]
	v_mov_b32_e32 v0, 1.0
	s_cbranch_vccnz .LBB62_16
; %bb.15:
	v_div_scale_f32 v0, s[2:3], v1, v1, 1.0
	v_rcp_f32_e32 v3, v0
	v_div_scale_f32 v4, vcc, 1.0, v1, 1.0
	v_fma_f32 v8, -v0, v3, 1.0
	v_fmac_f32_e32 v3, v8, v3
	v_mul_f32_e32 v8, v4, v3
	v_fma_f32 v9, -v0, v8, v4
	v_fmac_f32_e32 v8, v9, v3
	v_fma_f32 v0, -v0, v8, v4
	v_div_fmas_f32 v0, v0, v3, v8
	v_div_fixup_f32 v0, v0, v1, 1.0
.LBB62_16:
	v_cvt_f32_f16_sdwa v9, v40 dst_sel:DWORD dst_unused:UNUSED_PAD src0_sel:WORD_1
	v_cvt_f32_f16_e32 v8, v40
	v_cvt_f32_f16_sdwa v11, v7 dst_sel:DWORD dst_unused:UNUSED_PAD src0_sel:WORD_1
	v_cvt_f32_f16_e32 v10, v7
	v_add_u32_e32 v2, s6, v2
	v_lshl_add_u32 v12, v2, 8, v29
	v_mov_b32_e32 v13, 0
	v_lshl_add_u64 v[14:15], v[12:13], 2, s[16:17]
	v_pk_mul_f32 v[8:9], v[0:1], v[8:9] op_sel_hi:[0,1]
	v_pk_mul_f32 v[10:11], v[0:1], v[10:11] op_sel_hi:[0,1]
	global_store_dwordx4 v[14:15], v[8:11], off
	v_cvt_f32_f16_sdwa v7, v6 dst_sel:DWORD dst_unused:UNUSED_PAD src0_sel:WORD_1
	v_cvt_f32_f16_e32 v6, v6
	v_cvt_f32_f16_sdwa v9, v5 dst_sel:DWORD dst_unused:UNUSED_PAD src0_sel:WORD_1
	v_cvt_f32_f16_e32 v8, v5
	v_add_u32_e32 v12, 0x80, v12
	v_lshl_add_u64 v[10:11], v[12:13], 2, s[16:17]
	v_pk_mul_f32 v[4:5], v[0:1], v[6:7] op_sel_hi:[0,1]
	v_pk_mul_f32 v[6:7], v[0:1], v[8:9] op_sel_hi:[0,1]
	global_store_dwordx4 v[10:11], v[4:7], off
	s_and_b64 exec, exec, s[0:1]
	s_cbranch_execz .LBB62_18
; %bb.17:
	v_ashrrev_i32_e32 v3, 31, v2
	v_lshl_add_u64 v[2:3], v[2:3], 3, s[18:19]
	v_mov_b32_e32 v0, v27
	global_store_dwordx2 v[2:3], v[0:1], off
.LBB62_18:
	s_endpgm
.LBB62_19:
                                        ; implicit-def: $vgpr19
                                        ; implicit-def: $vgpr46
                                        ; implicit-def: $vgpr47
                                        ; implicit-def: $vgpr48
                                        ; implicit-def: $vgpr49
                                        ; implicit-def: $vgpr50
                                        ; implicit-def: $vgpr51
.LBB62_20:
	s_sub_i32 s4, 0, s31
	s_mul_i32 s4, s4, s34
	s_mul_hi_u32 s4, s34, s4
	s_add_i32 s34, s34, s4
	s_load_dwordx4 s[36:39], s[0:1], 0x98
	s_load_dword s10, s[0:1], 0x54
	s_load_dwordx2 s[4:5], s[0:1], 0x8c
	s_ashr_i32 s28, s33, 31
	s_abs_i32 s15, s25
	s_waitcnt lgkmcnt(0)
	s_ashr_i32 s11, s38, 2
	s_mul_hi_u32 s33, s36, s30
	s_ashr_i32 s14, s4, 2
	s_ashr_i32 s4, s30, 31
	s_mul_i32 s38, s36, s4
	s_add_i32 s33, s33, s38
	s_mul_i32 s37, s37, s30
	s_ashr_i32 s21, s25, 31
	s_ashr_i32 s29, s29, 1
	s_add_i32 s33, s33, s37
	s_mul_i32 s36, s36, s30
	s_mul_hi_u32 s20, s15, s34
	s_add_u32 s6, s6, s36
	s_addc_u32 s7, s7, s33
	s_xor_b32 s21, s21, s28
	s_mul_i32 s28, s20, s31
	s_sub_i32 s15, s15, s28
	s_add_i32 s28, s20, 1
	s_sub_i32 s33, s15, s31
	s_cmp_ge_u32 s15, s31
	s_cselect_b32 s20, s28, s20
	s_cselect_b32 s15, s33, s15
	s_add_i32 s28, s20, 1
	s_cmp_ge_u32 s15, s31
	s_load_dwordx2 s[34:35], s[0:1], 0xa8
	s_cselect_b32 s15, s28, s20
	s_xor_b32 s15, s15, s21
	s_sub_i32 s21, s15, s21
	s_mul_i32 s5, s21, s5
	s_ashr_i32 s20, s5, 31
	s_add_u32 s15, s6, s5
	s_waitcnt lgkmcnt(0)
	s_mul_hi_u32 s5, s34, s30
	s_mul_i32 s4, s34, s4
	s_addc_u32 s20, s7, s20
	s_add_i32 s4, s5, s4
	s_mul_i32 s5, s35, s30
	s_add_i32 s4, s4, s5
	s_mul_i32 s5, s34, s30
	s_add_u32 s5, s8, s5
	s_mul_i32 s21, s21, s39
	s_addc_u32 s4, s9, s4
	s_ashr_i32 s6, s21, 31
	v_lshrrev_b32_e32 v5, 4, v8
	s_add_u32 s8, s5, s21
	v_add_u32_e32 v5, v5, v2
	v_and_b32_e32 v2, 60, v29
	v_add_u32_e32 v34, 0x2200, v0
	v_mov_b32_e32 v0, 0x4200
	s_addc_u32 s9, s4, s6
	v_lshlrev_b32_e32 v6, 2, v2
	s_movk_i32 s4, 0x110
	v_lshl_add_u32 v35, v1, 7, v0
	v_mul_lo_u32 v0, s11, v1
	v_mad_u32_u24 v31, v5, s4, v6
	v_mul_lo_u32 v14, s14, v5
	v_mad_u64_u32 v[18:19], s[4:5], v3, s29, v[8:9]
	v_lshlrev_b32_e32 v12, 2, v29
	v_lshl_add_u32 v6, s11, 3, v0
	v_mov_b32_e32 v13, 0
	v_lshl_add_u32 v16, s14, 4, v14
	v_lshl_add_u32 v36, v1, 9, v12
	v_ashrrev_i32_e32 v1, 31, v0
	v_ashrrev_i32_e32 v7, 31, v6
	s_add_u32 s4, s0, 0xd0
	v_ashrrev_i32_e32 v15, 31, v14
	v_add_u32_e32 v32, 0x1100, v31
	v_ashrrev_i32_e32 v17, 31, v16
	v_mul_u32_u24_e32 v33, 0x110, v8
	v_add_u32_e32 v37, 0x1000, v36
	s_addc_u32 s5, s1, 0
	v_mov_b32_e32 v45, 0xfeffffff
	v_lshlrev_b32_e32 v20, 2, v2
	v_mov_b32_e32 v21, v13
	s_mov_b32 s21, 0x3f200000
	s_mov_b32 s28, 0x3fb8aa3b
	;; [unrolled: 1-line block ×4, first 2 shown]
	v_mov_b32_e32 v38, 0x3ca908c9
	s_brev_b32 s33, -2
	s_mov_b32 s34, 0x10001
	v_lshlrev_b64 v[22:23], 2, v[0:1]
	v_lshlrev_b64 v[24:25], 2, v[6:7]
	v_mov_b32_e32 v39, 0x7f800000
	v_mbcnt_hi_u32_b32 v19, -1, v4
	v_mov_b32_e32 v5, v13
	v_mov_b32_e32 v6, v13
	;; [unrolled: 1-line block ×11, first 2 shown]
                                        ; implicit-def: $vgpr2
                                        ; implicit-def: $vgpr2
	;; [unrolled: 1-line block ×3, first 2 shown]
.LBB62_21:                              ; =>This Inner Loop Header: Depth=1
	s_mul_hi_i32 s7, s2, s14
	s_mul_i32 s6, s2, s14
	s_lshl_b64 s[6:7], s[6:7], 2
	s_add_u32 s6, s15, s6
	s_addc_u32 s7, s20, s7
	v_lshl_add_u64 v[0:1], v[14:15], 2, s[6:7]
	v_lshl_add_u64 v[0:1], v[0:1], 0, v[20:21]
	;; [unrolled: 1-line block ×4, first 2 shown]
	global_load_dwordx4 v[46:49], v[0:1], off
	global_load_dwordx4 v[50:53], v[2:3], off
	v_mov_b32_e32 v27, 0
	v_mov_b32_e32 v26, 0
	s_waitcnt vmcnt(1)
	ds_write_b128 v31, v[46:49]
	s_waitcnt vmcnt(0)
	ds_write_b128 v32, v[50:53]
	s_waitcnt lgkmcnt(0)
	s_barrier
	ds_read_b128 v[46:49], v33
	ds_read_b128 v[50:53], v34
	ds_read_b128 v[54:57], v34 offset:512
	s_waitcnt lgkmcnt(1)
	;;#ASMSTART
	v_dot2_f32_f16 v27, v46, v50, v27
	;;#ASMEND
	s_nop 0
	;;#ASMSTART
	v_dot2_f32_f16 v27, v47, v51, v27
	;;#ASMEND
	s_nop 0
	;;#ASMSTART
	v_dot2_f32_f16 v27, v48, v52, v27
	;;#ASMEND
	s_nop 0
	;;#ASMSTART
	v_dot2_f32_f16 v27, v49, v53, v27
	;;#ASMEND
	s_waitcnt lgkmcnt(0)
	;;#ASMSTART
	v_dot2_f32_f16 v26, v46, v54, v26
	;;#ASMEND
	s_nop 0
	;;#ASMSTART
	v_dot2_f32_f16 v26, v47, v55, v26
	;;#ASMEND
	s_nop 0
	;;#ASMSTART
	v_dot2_f32_f16 v26, v48, v56, v26
	;;#ASMEND
	s_nop 0
	;;#ASMSTART
	v_dot2_f32_f16 v26, v49, v57, v26
	;;#ASMEND
	ds_read_b128 v[46:49], v33 offset:16
	ds_read_b128 v[50:53], v34 offset:16
	ds_read_b128 v[54:57], v34 offset:528
	s_waitcnt lgkmcnt(1)
	;;#ASMSTART
	v_dot2_f32_f16 v27, v46, v50, v27
	;;#ASMEND
	s_nop 0
	;;#ASMSTART
	v_dot2_f32_f16 v27, v47, v51, v27
	;;#ASMEND
	s_nop 0
	;;#ASMSTART
	v_dot2_f32_f16 v27, v48, v52, v27
	;;#ASMEND
	s_nop 0
	;;#ASMSTART
	v_dot2_f32_f16 v27, v49, v53, v27
	;;#ASMEND
	s_waitcnt lgkmcnt(0)
	;;#ASMSTART
	v_dot2_f32_f16 v26, v46, v54, v26
	;;#ASMEND
	s_nop 0
	;;#ASMSTART
	v_dot2_f32_f16 v26, v47, v55, v26
	;;#ASMEND
	s_nop 0
	;;#ASMSTART
	v_dot2_f32_f16 v26, v48, v56, v26
	;;#ASMEND
	s_nop 0
	;;#ASMSTART
	v_dot2_f32_f16 v26, v49, v57, v26
	;;#ASMEND
	ds_read_b128 v[46:49], v33 offset:32
	ds_read_b128 v[50:53], v34 offset:32
	;; [unrolled: 35-line block ×15, first 2 shown]
	ds_read_b128 v[54:57], v34 offset:752
	s_waitcnt lgkmcnt(1)
	;;#ASMSTART
	v_dot2_f32_f16 v27, v46, v50, v27
	;;#ASMEND
	s_nop 0
	;;#ASMSTART
	v_dot2_f32_f16 v27, v47, v51, v27
	;;#ASMEND
	s_nop 0
	;; [unrolled: 4-line block ×3, first 2 shown]
	;;#ASMSTART
	v_dot2_f32_f16 v27, v49, v53, v27
	;;#ASMEND
	s_waitcnt lgkmcnt(0)
	;;#ASMSTART
	v_dot2_f32_f16 v26, v46, v54, v26
	;;#ASMEND
	s_nop 0
	;;#ASMSTART
	v_dot2_f32_f16 v26, v47, v55, v26
	;;#ASMEND
	s_nop 0
	;; [unrolled: 4-line block ×3, first 2 shown]
	;;#ASMSTART
	v_dot2_f32_f16 v26, v49, v57, v26
	;;#ASMEND
	s_barrier
	global_load_dwordx4 v[46:49], v[0:1], off offset:256
	global_load_dwordx4 v[50:53], v[2:3], off offset:256
	s_waitcnt vmcnt(1)
	ds_write_b128 v31, v[46:49]
	s_waitcnt vmcnt(0)
	ds_write_b128 v32, v[50:53]
	s_waitcnt lgkmcnt(0)
	s_barrier
	ds_read_b128 v[0:3], v33
	ds_read_b128 v[46:49], v34 offset:256
	ds_read_b128 v[50:53], v34 offset:768
	s_waitcnt lgkmcnt(1)
	;;#ASMSTART
	v_dot2_f32_f16 v27, v0, v46, v27
	;;#ASMEND
	s_nop 0
	;;#ASMSTART
	v_dot2_f32_f16 v27, v1, v47, v27
	;;#ASMEND
	s_nop 0
	;;#ASMSTART
	v_dot2_f32_f16 v27, v2, v48, v27
	;;#ASMEND
	s_nop 0
	;;#ASMSTART
	v_dot2_f32_f16 v27, v3, v49, v27
	;;#ASMEND
	s_waitcnt lgkmcnt(0)
	;;#ASMSTART
	v_dot2_f32_f16 v26, v0, v50, v26
	;;#ASMEND
	s_nop 0
	;;#ASMSTART
	v_dot2_f32_f16 v26, v1, v51, v26
	;;#ASMEND
	s_nop 0
	;;#ASMSTART
	v_dot2_f32_f16 v26, v2, v52, v26
	;;#ASMEND
	s_nop 0
	;;#ASMSTART
	v_dot2_f32_f16 v26, v3, v53, v26
	;;#ASMEND
	ds_read_b128 v[0:3], v33 offset:16
	ds_read_b128 v[46:49], v34 offset:272
	ds_read_b128 v[50:53], v34 offset:784
	s_waitcnt lgkmcnt(1)
	;;#ASMSTART
	v_dot2_f32_f16 v27, v0, v46, v27
	;;#ASMEND
	s_nop 0
	;;#ASMSTART
	v_dot2_f32_f16 v27, v1, v47, v27
	;;#ASMEND
	s_nop 0
	;;#ASMSTART
	v_dot2_f32_f16 v27, v2, v48, v27
	;;#ASMEND
	s_nop 0
	;;#ASMSTART
	v_dot2_f32_f16 v27, v3, v49, v27
	;;#ASMEND
	s_waitcnt lgkmcnt(0)
	;;#ASMSTART
	v_dot2_f32_f16 v26, v0, v50, v26
	;;#ASMEND
	s_nop 0
	;;#ASMSTART
	v_dot2_f32_f16 v26, v1, v51, v26
	;;#ASMEND
	s_nop 0
	;;#ASMSTART
	v_dot2_f32_f16 v26, v2, v52, v26
	;;#ASMEND
	s_nop 0
	;;#ASMSTART
	v_dot2_f32_f16 v26, v3, v53, v26
	;;#ASMEND
	ds_read_b128 v[0:3], v33 offset:32
	;; [unrolled: 35-line block ×14, first 2 shown]
	ds_read_b128 v[46:49], v34 offset:480
	ds_read_b128 v[50:53], v34 offset:992
	s_waitcnt lgkmcnt(1)
	;;#ASMSTART
	v_dot2_f32_f16 v27, v0, v46, v27
	;;#ASMEND
	s_nop 0
	;;#ASMSTART
	v_dot2_f32_f16 v27, v1, v47, v27
	;;#ASMEND
	s_nop 0
	;; [unrolled: 4-line block ×3, first 2 shown]
	;;#ASMSTART
	v_dot2_f32_f16 v27, v3, v49, v27
	;;#ASMEND
	s_waitcnt lgkmcnt(0)
	;;#ASMSTART
	v_dot2_f32_f16 v26, v0, v50, v26
	;;#ASMEND
	v_add_u32_e32 v50, s2, v18
	;;#ASMSTART
	v_dot2_f32_f16 v26, v1, v51, v26
	;;#ASMEND
	v_ashrrev_i32_e32 v51, 31, v50
	;;#ASMSTART
	v_dot2_f32_f16 v26, v2, v52, v26
	;;#ASMEND
	v_lshl_add_u64 v[54:55], v[50:51], 1, s[26:27]
	;;#ASMSTART
	v_dot2_f32_f16 v26, v3, v53, v26
	;;#ASMEND
	ds_read_b128 v[0:3], v33 offset:240
	ds_read_b128 v[46:49], v34 offset:496
	;; [unrolled: 1-line block ×3, first 2 shown]
	s_waitcnt lgkmcnt(1)
	;;#ASMSTART
	v_dot2_f32_f16 v27, v0, v46, v27
	;;#ASMEND
	s_nop 0
	;;#ASMSTART
	v_dot2_f32_f16 v27, v1, v47, v27
	;;#ASMEND
	s_nop 0
	;; [unrolled: 4-line block ×3, first 2 shown]
	;;#ASMSTART
	v_dot2_f32_f16 v27, v3, v49, v27
	;;#ASMEND
	s_waitcnt lgkmcnt(0)
	;;#ASMSTART
	v_dot2_f32_f16 v26, v0, v50, v26
	;;#ASMEND
                                        ; implicit-def: $vgpr0
	s_nop 0
	;;#ASMSTART
	v_dot2_f32_f16 v26, v1, v51, v26
	;;#ASMEND
	v_cmp_nlt_f32_e64 s[6:7], |v27|, s21
	;;#ASMSTART
	v_dot2_f32_f16 v26, v2, v52, v26
	;;#ASMEND
	s_nop 0
	;;#ASMSTART
	v_dot2_f32_f16 v26, v3, v53, v26
	;;#ASMEND
	global_load_ushort v53, v[54:55], off
	s_and_saveexec_b64 s[36:37], s[6:7]
	s_xor_b64 s[6:7], exec, s[36:37]
	s_cbranch_execz .LBB62_23
; %bb.22:                               ;   in Loop: Header=BB62_21 Depth=1
	v_add_f32_e64 v0, |v27|, |v27|
	v_mul_f32_e32 v1, 0x3fb8aa3b, v0
	v_rndne_f32_e32 v2, v1
	v_sub_f32_e32 v3, v1, v2
	v_fma_f32 v1, v0, s28, -v1
	v_fmac_f32_e32 v1, 0x32a5705f, v0
	v_add_f32_e32 v1, v3, v1
	v_cvt_i32_f32_e32 v2, v2
	v_exp_f32_e32 v1, v1
	v_cmp_ngt_f32_e32 vcc, s29, v0
	v_ldexp_f32 v1, v1, v2
	s_nop 0
	v_cndmask_b32_e32 v1, 0, v1, vcc
	v_cmp_nlt_f32_e32 vcc, s31, v0
	s_nop 1
	v_cndmask_b32_e32 v0, v39, v1, vcc
	v_add_f32_e32 v0, 1.0, v0
	v_rcp_f32_e32 v0, v0
	s_nop 0
	v_fma_f32 v0, v0, -2.0, 1.0
.LBB62_23:                              ;   in Loop: Header=BB62_21 Depth=1
	s_andn2_saveexec_b64 s[6:7], s[6:7]
; %bb.24:                               ;   in Loop: Header=BB62_21 Depth=1
	v_mul_f32_e32 v0, v27, v27
	v_fmamk_f32 v1, v0, 0xbbbac73d, v38
	v_fmaak_f32 v1, v0, v1, 0xbd5c1c4e
	v_fmaak_f32 v1, v0, v1, 0x3e088382
	;; [unrolled: 1-line block ×3, first 2 shown]
	v_mul_f32_e64 v1, |v27|, v1
	v_fma_f32 v0, v0, v1, |v27|
; %bb.25:                               ;   in Loop: Header=BB62_21 Depth=1
	s_or_b64 exec, exec, s[6:7]
	v_and_b32_e32 v1, 0x60, v19
	v_add_u32_e32 v46, 32, v1
	v_xor_b32_e32 v47, 16, v19
	v_cmp_lt_i32_e32 vcc, v47, v46
	v_bfi_b32 v0, s33, v0, v27
	s_waitcnt vmcnt(0)
	v_fma_mix_f32 v0, s10, v0, v53 op_sel_hi:[0,0,1]
	v_cndmask_b32_e32 v1, v19, v47, vcc
	v_lshlrev_b32_e32 v54, 2, v1
	v_add_f32_e32 v1, 0x40051340, v0
	v_max_f32_e32 v2, v45, v45
	v_max_f32_e32 v1, v2, v1
	ds_bpermute_b32 v2, v54, v1
	v_xor_b32_e32 v48, 8, v19
	v_cmp_lt_i32_e32 vcc, v48, v46
	v_xor_b32_e32 v49, 4, v19
	v_xor_b32_e32 v50, 2, v19
	v_cndmask_b32_e32 v3, v19, v48, vcc
	s_waitcnt lgkmcnt(0)
	v_max_f32_e32 v2, v2, v2
	v_lshlrev_b32_e32 v52, 2, v3
	v_max_f32_e32 v1, v1, v2
	ds_bpermute_b32 v2, v52, v1
	v_cmp_lt_i32_e32 vcc, v49, v46
	v_xor_b32_e32 v51, 1, v19
	v_cmp_nlt_f32_e64 s[6:7], |v26|, s21
	v_cndmask_b32_e32 v3, v19, v49, vcc
	s_waitcnt lgkmcnt(0)
	v_max_f32_e32 v2, v2, v2
	v_lshlrev_b32_e32 v27, 2, v3
	v_max_f32_e32 v1, v1, v2
	ds_bpermute_b32 v3, v27, v1
	v_cmp_lt_i32_e32 vcc, v50, v46
                                        ; implicit-def: $vgpr56
	s_waitcnt lgkmcnt(0)
	v_max_f32_e32 v3, v3, v3
	v_cndmask_b32_e32 v2, v19, v50, vcc
	v_lshlrev_b32_e32 v2, 2, v2
	v_max_f32_e32 v3, v1, v3
	ds_bpermute_b32 v55, v2, v3
	v_cmp_lt_i32_e32 vcc, v51, v46
	s_waitcnt lgkmcnt(0)
	v_max_f32_e32 v55, v55, v55
	v_cndmask_b32_e32 v1, v19, v51, vcc
	v_lshlrev_b32_e32 v1, 2, v1
	v_max_f32_e32 v3, v3, v55
	ds_bpermute_b32 v55, v1, v3
	s_and_saveexec_b64 s[36:37], s[6:7]
	s_xor_b64 s[6:7], exec, s[36:37]
	s_cbranch_execz .LBB62_27
; %bb.26:                               ;   in Loop: Header=BB62_21 Depth=1
	v_add_f32_e64 v56, |v26|, |v26|
	v_mul_f32_e32 v57, 0x3fb8aa3b, v56
	v_rndne_f32_e32 v58, v57
	v_sub_f32_e32 v59, v57, v58
	v_fma_f32 v57, v56, s28, -v57
	v_fmac_f32_e32 v57, 0x32a5705f, v56
	v_add_f32_e32 v57, v59, v57
	v_cvt_i32_f32_e32 v58, v58
	v_exp_f32_e32 v57, v57
	v_cmp_ngt_f32_e32 vcc, s29, v56
	v_ldexp_f32 v57, v57, v58
	s_nop 0
	v_cndmask_b32_e32 v57, 0, v57, vcc
	v_cmp_nlt_f32_e32 vcc, s31, v56
	s_nop 1
	v_cndmask_b32_e32 v56, v39, v57, vcc
	v_add_f32_e32 v56, 1.0, v56
	v_rcp_f32_e32 v56, v56
	s_nop 0
	v_fma_f32 v56, v56, -2.0, 1.0
.LBB62_27:                              ;   in Loop: Header=BB62_21 Depth=1
	s_andn2_saveexec_b64 s[6:7], s[6:7]
; %bb.28:                               ;   in Loop: Header=BB62_21 Depth=1
	v_mul_f32_e32 v56, v26, v26
	v_fmamk_f32 v57, v56, 0xbbbac73d, v38
	v_fmaak_f32 v57, v56, v57, 0xbd5c1c4e
	v_fmaak_f32 v57, v56, v57, 0x3e088382
	;; [unrolled: 1-line block ×3, first 2 shown]
	v_mul_f32_e64 v57, |v26|, v57
	v_fma_f32 v56, v56, v57, |v26|
; %bb.29:                               ;   in Loop: Header=BB62_21 Depth=1
	s_or_b64 exec, exec, s[6:7]
	v_cvt_f32_f16_e32 v62, v53
	v_bfi_b32 v26, s33, v56, v26
	v_max_f32_e32 v53, v4, v4
	s_waitcnt lgkmcnt(0)
	v_max_f32_e32 v63, v55, v55
	v_fmac_f32_e32 v62, s10, v26
	v_add_f32_e32 v26, 0x40051340, v62
	v_max_f32_e32 v26, v53, v26
	ds_bpermute_b32 v53, v54, v26
	s_mul_hi_i32 s7, s2, s11
	s_mul_i32 s6, s2, s11
	s_lshl_b64 s[6:7], s[6:7], 2
	s_add_u32 s6, s8, s6
	s_waitcnt lgkmcnt(0)
	v_max_f32_e32 v53, v53, v53
	v_max_f32_e32 v26, v26, v53
	ds_bpermute_b32 v52, v52, v26
	s_addc_u32 s7, s9, s7
	s_waitcnt lgkmcnt(0)
	s_barrier
	v_max_f32_e32 v52, v52, v52
	v_max_f32_e32 v54, v26, v52
	ds_bpermute_b32 v55, v27, v54
	v_lshl_add_u64 v[26:27], s[6:7], 0, v[22:23]
	v_lshl_add_u64 v[52:53], s[6:7], 0, v[24:25]
	;; [unrolled: 1-line block ×4, first 2 shown]
	s_waitcnt lgkmcnt(0)
	v_max_f32_e32 v52, v55, v55
	v_max_f32_e32 v64, v54, v52
	global_load_dwordx4 v[52:55], v[26:27], off
	global_load_dwordx4 v[56:59], v[60:61], off
	ds_bpermute_b32 v2, v2, v64
	v_max_f32_e32 v3, v3, v3
	v_max_f32_e32 v26, v3, v63
	v_sub_f32_e32 v3, v45, v26
	v_mul_f32_e32 v27, 0x3fb8aa3b, v3
	s_waitcnt lgkmcnt(0)
	v_max_f32_e32 v2, v2, v2
	v_max_f32_e32 v2, v64, v2
	ds_bpermute_b32 v1, v1, v2
	v_fma_f32 v45, v3, s28, -v27
	v_rndne_f32_e32 v60, v27
	v_fmac_f32_e32 v45, 0x32a5705f, v3
	v_sub_f32_e32 v27, v27, v60
	v_add_f32_e32 v27, v27, v45
	v_exp_f32_e32 v45, v27
	v_cvt_i32_f32_e32 v60, v60
	s_waitcnt lgkmcnt(0)
	v_max_f32_e32 v1, v1, v1
	v_max_f32_e32 v27, v2, v1
	v_sub_f32_e32 v2, v0, v26
	v_mul_f32_e32 v0, 0x3fb8aa3b, v2
	v_ldexp_f32 v1, v45, v60
	v_fma_f32 v45, v2, s28, -v0
	v_rndne_f32_e32 v60, v0
	v_fmac_f32_e32 v45, 0x32a5705f, v2
	v_sub_f32_e32 v0, v0, v60
	v_add_f32_e32 v0, v0, v45
	v_exp_f32_e32 v45, v0
	v_cvt_i32_f32_e32 v60, v60
	v_cmp_ngt_f32_e32 vcc, s29, v3
	v_add_u32_e32 v90, 0x800, v30
	s_or_b32 s6, s2, 16
	v_cndmask_b32_e32 v0, 0, v1, vcc
	v_cmp_nlt_f32_e32 vcc, s31, v3
	v_ldexp_f32 v1, v45, v60
	s_mul_hi_i32 s7, s6, s11
	v_cndmask_b32_e32 v0, v39, v0, vcc
	v_cvt_f16_f32_e32 v3, v0
	v_cmp_ngt_f32_e32 vcc, s29, v2
	s_mul_i32 s6, s6, s11
	s_lshl_b64 s[6:7], s[6:7], 2
	v_cndmask_b32_e32 v1, 0, v1, vcc
	v_cmp_nlt_f32_e32 vcc, s31, v2
	v_mul_u32_u24_e32 v60, 0x10001, v3
	v_pk_mul_f16 v64, v42, v60
	v_cndmask_b32_e32 v2, v39, v1, vcc
	v_sub_f32_e32 v1, v4, v27
	v_mul_f32_e32 v3, 0x3fb8aa3b, v1
	v_fma_f32 v4, v1, s28, -v3
	v_rndne_f32_e32 v45, v3
	v_fmac_f32_e32 v4, 0x32a5705f, v1
	v_sub_f32_e32 v3, v3, v45
	v_add_f32_e32 v3, v3, v4
	v_exp_f32_e32 v3, v3
	v_cvt_i32_f32_e32 v4, v45
	v_pk_mul_f16 v61, v44, v60
	v_pk_mul_f16 v63, v43, v60
	v_cmp_ngt_f32_e32 vcc, s29, v1
	v_ldexp_f32 v3, v3, v4
	v_sub_f32_e32 v4, v62, v27
	v_mul_f32_e32 v42, 0x3fb8aa3b, v4
	v_fma_f32 v43, v4, s28, -v42
	v_rndne_f32_e32 v44, v42
	v_fmac_f32_e32 v43, 0x32a5705f, v4
	v_sub_f32_e32 v42, v42, v44
	v_add_f32_e32 v42, v42, v43
	v_exp_f32_e32 v42, v42
	v_cvt_i32_f32_e32 v43, v44
	v_cndmask_b32_e32 v3, 0, v3, vcc
	v_cmp_nlt_f32_e32 vcc, s31, v1
	s_add_u32 s6, s8, s6
	s_addc_u32 s7, s9, s7
	v_cndmask_b32_e32 v1, v39, v3, vcc
	v_ldexp_f32 v3, v42, v43
	v_cvt_f16_f32_e32 v42, v1
	v_cmp_ngt_f32_e32 vcc, s29, v4
	v_add_u32_e32 v97, 0x1000, v30
	v_add_u32_e32 v101, 0x1800, v30
	v_cndmask_b32_e32 v3, 0, v3, vcc
	v_cmp_nlt_f32_e32 vcc, s31, v4
	v_mul_u32_u24_e32 v62, 0x10001, v42
	v_pk_mul_f16 v65, v7, v62
	v_cndmask_b32_e32 v3, v39, v3, vcc
	v_pk_fma_f32 v[10:11], v[10:11], v[0:1], v[2:3]
	v_add_u32_e32 v0, v35, v29
	v_cvt_pk_f16_f32 v1, v2, v3
	v_pk_mul_f16 v66, v6, v62
	v_pk_mul_f16 v67, v5, v62
	ds_write_b32 v0, v1
	s_waitcnt vmcnt(1)
	ds_write_b128 v36, v[52:55]
	s_waitcnt vmcnt(0)
	ds_write_b128 v37, v[56:59]
	s_waitcnt lgkmcnt(0)
	s_barrier
	ds_read_b128 v[42:45], v35
	ds_read2_b64 v[52:55], v30 offset1:32
	ds_read_b128 v[56:59], v35 offset:16
	ds_read_b128 v[4:7], v35 offset:32
	ds_read_b128 v[0:3], v35 offset:48
	s_waitcnt lgkmcnt(4)
	v_mul_u32_u24_sdwa v68, v42, s34 dst_sel:DWORD dst_unused:UNUSED_PAD src0_sel:WORD_0 src1_sel:DWORD
	v_mul_u32_u24_sdwa v42, v42, s34 dst_sel:DWORD dst_unused:UNUSED_PAD src0_sel:WORD_1 src1_sel:DWORD
	s_waitcnt lgkmcnt(3)
	v_pk_mul_f16 v69, v52, v68
	v_pk_mul_f16 v52, v52, v42
	v_pk_fma_f16 v41, v41, v60, v69
	v_pk_fma_f16 v40, v40, v62, v52
	;; [unrolled: 1-line block ×5, first 2 shown]
	ds_read2_b64 v[60:63], v30 offset0:64 offset1:96
	v_pk_fma_f16 v54, v54, v42, v66
	v_pk_fma_f16 v64, v55, v68, v64
	;; [unrolled: 1-line block ×3, first 2 shown]
	v_mul_u32_u24_sdwa v66, v43, s34 dst_sel:DWORD dst_unused:UNUSED_PAD src0_sel:WORD_0 src1_sel:DWORD
	v_mul_u32_u24_sdwa v67, v43, s34 dst_sel:DWORD dst_unused:UNUSED_PAD src0_sel:WORD_1 src1_sel:DWORD
	s_waitcnt lgkmcnt(0)
	v_pk_fma_f16 v68, v60, v66, v41
	v_pk_fma_f16 v60, v60, v67, v40
	ds_read2_b64 v[40:43], v30 offset0:128 offset1:160
	v_pk_fma_f16 v52, v61, v66, v52
	v_pk_fma_f16 v53, v61, v67, v53
	;; [unrolled: 1-line block ×5, first 2 shown]
	v_mul_u32_u24_sdwa v64, v44, s34 dst_sel:DWORD dst_unused:UNUSED_PAD src0_sel:WORD_0 src1_sel:DWORD
	v_mul_u32_u24_sdwa v44, v44, s34 dst_sel:DWORD dst_unused:UNUSED_PAD src0_sel:WORD_1 src1_sel:DWORD
	v_pk_fma_f16 v63, v63, v67, v55
	s_waitcnt lgkmcnt(0)
	v_pk_fma_f16 v65, v40, v64, v68
	v_pk_fma_f16 v40, v40, v44, v60
	;; [unrolled: 1-line block ×6, first 2 shown]
	ds_read2_b64 v[52:55], v30 offset0:192 offset1:224
	v_pk_fma_f16 v44, v43, v44, v63
	v_mul_u32_u24_sdwa v63, v45, s34 dst_sel:DWORD dst_unused:UNUSED_PAD src0_sel:WORD_0 src1_sel:DWORD
	v_mul_u32_u24_sdwa v45, v45, s34 dst_sel:DWORD dst_unused:UNUSED_PAD src0_sel:WORD_1 src1_sel:DWORD
	v_pk_fma_f16 v62, v43, v64, v62
	s_waitcnt lgkmcnt(0)
	v_pk_fma_f16 v64, v52, v63, v65
	v_pk_fma_f16 v52, v52, v45, v40
	;; [unrolled: 1-line block ×6, first 2 shown]
	ds_read2_b64 v[40:43], v90 offset1:32
	v_pk_fma_f16 v44, v55, v45, v44
	v_mul_u32_u24_sdwa v45, v56, s34 dst_sel:DWORD dst_unused:UNUSED_PAD src0_sel:WORD_0 src1_sel:DWORD
	v_mul_u32_u24_sdwa v56, v56, s34 dst_sel:DWORD dst_unused:UNUSED_PAD src0_sel:WORD_1 src1_sel:DWORD
	v_pk_fma_f16 v62, v55, v63, v62
	s_waitcnt lgkmcnt(0)
	v_pk_fma_f16 v63, v40, v45, v64
	v_pk_fma_f16 v40, v40, v56, v52
	;; [unrolled: 1-line block ×6, first 2 shown]
	ds_read2_b64 v[52:55], v90 offset0:64 offset1:96
	v_pk_fma_f16 v44, v43, v56, v44
	v_mul_u32_u24_sdwa v56, v57, s34 dst_sel:DWORD dst_unused:UNUSED_PAD src0_sel:WORD_0 src1_sel:DWORD
	v_mul_u32_u24_sdwa v57, v57, s34 dst_sel:DWORD dst_unused:UNUSED_PAD src0_sel:WORD_1 src1_sel:DWORD
	v_pk_fma_f16 v45, v43, v45, v62
	s_waitcnt lgkmcnt(0)
	v_pk_fma_f16 v62, v52, v56, v63
	v_pk_fma_f16 v52, v52, v57, v40
	;; [unrolled: 1-line block ×6, first 2 shown]
	ds_read2_b64 v[40:43], v90 offset0:128 offset1:160
	v_pk_fma_f16 v45, v55, v56, v45
	v_pk_fma_f16 v44, v55, v57, v44
	v_mul_u32_u24_sdwa v56, v58, s34 dst_sel:DWORD dst_unused:UNUSED_PAD src0_sel:WORD_0 src1_sel:DWORD
	v_mul_u32_u24_sdwa v57, v58, s34 dst_sel:DWORD dst_unused:UNUSED_PAD src0_sel:WORD_1 src1_sel:DWORD
	s_waitcnt lgkmcnt(0)
	v_pk_fma_f16 v58, v40, v56, v62
	v_pk_fma_f16 v40, v40, v57, v52
	;; [unrolled: 1-line block ×6, first 2 shown]
	ds_read2_b64 v[52:55], v90 offset0:192 offset1:224
	v_pk_fma_f16 v45, v43, v56, v45
	v_pk_fma_f16 v44, v43, v57, v44
	v_mul_u32_u24_sdwa v56, v59, s34 dst_sel:DWORD dst_unused:UNUSED_PAD src0_sel:WORD_0 src1_sel:DWORD
	v_mul_u32_u24_sdwa v57, v59, s34 dst_sel:DWORD dst_unused:UNUSED_PAD src0_sel:WORD_1 src1_sel:DWORD
	s_waitcnt lgkmcnt(0)
	v_pk_fma_f16 v98, v55, v56, v45
	v_pk_fma_f16 v99, v55, v57, v44
	v_lshl_add_u64 v[44:45], s[6:7], 0, v[22:23]
	v_lshl_add_u64 v[44:45], v[44:45], 0, v[12:13]
	;; [unrolled: 1-line block ×3, first 2 shown]
	v_pk_fma_f16 v91, v52, v56, v58
	v_pk_fma_f16 v92, v52, v57, v40
	;; [unrolled: 1-line block ×6, first 2 shown]
	ds_read2_b64 v[40:43], v97 offset1:32
	ds_read2_b64 v[52:55], v97 offset0:64 offset1:96
	ds_read2_b64 v[56:59], v97 offset0:128 offset1:160
	;; [unrolled: 1-line block ×3, first 2 shown]
	ds_read2_b64 v[64:67], v101 offset1:32
	ds_read2_b64 v[68:71], v101 offset0:64 offset1:96
	ds_read2_b64 v[72:75], v101 offset0:128 offset1:160
	;; [unrolled: 1-line block ×3, first 2 shown]
	s_waitcnt lgkmcnt(0)
	s_barrier
	v_lshl_add_u64 v[88:89], v[80:81], 0, v[12:13]
	global_load_dwordx4 v[80:83], v[44:45], off
	global_load_dwordx4 v[84:87], v[88:89], off
	v_mul_u32_u24_sdwa v100, v4, s34 dst_sel:DWORD dst_unused:UNUSED_PAD src0_sel:WORD_0 src1_sel:DWORD
	v_mul_u32_u24_sdwa v4, v4, s34 dst_sel:DWORD dst_unused:UNUSED_PAD src0_sel:WORD_1 src1_sel:DWORD
	v_pk_fma_f16 v44, v40, v100, v91
	v_pk_fma_f16 v40, v40, v4, v92
	v_pk_fma_f16 v45, v41, v100, v93
	v_pk_fma_f16 v41, v41, v4, v94
	v_pk_fma_f16 v88, v42, v100, v95
	v_pk_fma_f16 v42, v42, v4, v96
	v_pk_fma_f16 v89, v43, v100, v98
	v_pk_fma_f16 v4, v43, v4, v99
	v_mul_u32_u24_sdwa v43, v5, s34 dst_sel:DWORD dst_unused:UNUSED_PAD src0_sel:WORD_0 src1_sel:DWORD
	v_mul_u32_u24_sdwa v5, v5, s34 dst_sel:DWORD dst_unused:UNUSED_PAD src0_sel:WORD_1 src1_sel:DWORD
	v_pk_fma_f16 v44, v52, v43, v44
	v_pk_fma_f16 v40, v52, v5, v40
	v_pk_fma_f16 v45, v53, v43, v45
	v_pk_fma_f16 v41, v53, v5, v41
	v_pk_fma_f16 v52, v54, v43, v88
	v_pk_fma_f16 v42, v54, v5, v42
	v_pk_fma_f16 v43, v55, v43, v89
	v_pk_fma_f16 v4, v55, v5, v4
	;; [unrolled: 10-line block ×8, first 2 shown]
	s_waitcnt vmcnt(1)
	ds_write_b128 v36, v[80:83]
	s_waitcnt vmcnt(0)
	ds_write_b128 v37, v[84:87]
	s_waitcnt lgkmcnt(0)
	s_barrier
	ds_read_b128 v[0:3], v35 offset:64
	ds_read2_b64 v[4:7], v30 offset1:32
	ds_read_b128 v[40:43], v35 offset:80
	ds_read_b128 v[52:55], v35 offset:96
	;; [unrolled: 1-line block ×3, first 2 shown]
	s_waitcnt lgkmcnt(4)
	v_mul_u32_u24_sdwa v66, v0, s34 dst_sel:DWORD dst_unused:UNUSED_PAD src0_sel:WORD_0 src1_sel:DWORD
	v_mul_u32_u24_sdwa v0, v0, s34 dst_sel:DWORD dst_unused:UNUSED_PAD src0_sel:WORD_1 src1_sel:DWORD
	s_waitcnt lgkmcnt(3)
	v_pk_fma_f16 v44, v4, v66, v44
	v_pk_fma_f16 v4, v4, v0, v45
	;; [unrolled: 1-line block ×6, first 2 shown]
	ds_read2_b64 v[60:63], v30 offset0:64 offset1:96
	v_pk_fma_f16 v0, v7, v0, v65
	v_mul_u32_u24_sdwa v65, v1, s34 dst_sel:DWORD dst_unused:UNUSED_PAD src0_sel:WORD_0 src1_sel:DWORD
	v_mul_u32_u24_sdwa v1, v1, s34 dst_sel:DWORD dst_unused:UNUSED_PAD src0_sel:WORD_1 src1_sel:DWORD
	v_pk_fma_f16 v64, v7, v66, v64
	s_waitcnt lgkmcnt(0)
	v_pk_fma_f16 v44, v60, v65, v44
	v_pk_fma_f16 v60, v60, v1, v4
	;; [unrolled: 1-line block ×6, first 2 shown]
	ds_read2_b64 v[4:7], v30 offset0:128 offset1:160
	v_pk_fma_f16 v0, v63, v1, v0
	v_mul_u32_u24_sdwa v1, v2, s34 dst_sel:DWORD dst_unused:UNUSED_PAD src0_sel:WORD_0 src1_sel:DWORD
	v_mul_u32_u24_sdwa v2, v2, s34 dst_sel:DWORD dst_unused:UNUSED_PAD src0_sel:WORD_1 src1_sel:DWORD
	v_pk_fma_f16 v64, v63, v65, v64
	s_waitcnt lgkmcnt(0)
	v_pk_fma_f16 v44, v4, v1, v44
	v_pk_fma_f16 v4, v4, v2, v60
	v_pk_fma_f16 v45, v5, v1, v45
	v_pk_fma_f16 v5, v5, v2, v61
	v_pk_fma_f16 v65, v6, v1, v66
	v_pk_fma_f16 v6, v6, v2, v62
	ds_read2_b64 v[60:63], v30 offset0:192 offset1:224
	v_pk_fma_f16 v64, v7, v1, v64
	v_pk_fma_f16 v7, v7, v2, v0
	v_mul_u32_u24_sdwa v66, v3, s34 dst_sel:DWORD dst_unused:UNUSED_PAD src0_sel:WORD_0 src1_sel:DWORD
	v_mul_u32_u24_sdwa v67, v3, s34 dst_sel:DWORD dst_unused:UNUSED_PAD src0_sel:WORD_1 src1_sel:DWORD
	ds_read2_b64 v[0:3], v90 offset1:32
	s_waitcnt lgkmcnt(1)
	v_pk_fma_f16 v44, v60, v66, v44
	v_pk_fma_f16 v4, v60, v67, v4
	;; [unrolled: 1-line block ×8, first 2 shown]
	v_mul_u32_u24_sdwa v63, v40, s34 dst_sel:DWORD dst_unused:UNUSED_PAD src0_sel:WORD_0 src1_sel:DWORD
	v_mul_u32_u24_sdwa v40, v40, s34 dst_sel:DWORD dst_unused:UNUSED_PAD src0_sel:WORD_1 src1_sel:DWORD
	s_waitcnt lgkmcnt(0)
	v_pk_fma_f16 v44, v0, v63, v44
	v_pk_fma_f16 v0, v0, v40, v4
	v_pk_fma_f16 v45, v1, v63, v45
	v_pk_fma_f16 v1, v1, v40, v5
	v_pk_fma_f16 v60, v2, v63, v60
	v_pk_fma_f16 v2, v2, v40, v6
	ds_read2_b64 v[4:7], v90 offset0:64 offset1:96
	v_pk_fma_f16 v40, v3, v40, v62
	v_mul_u32_u24_sdwa v62, v41, s34 dst_sel:DWORD dst_unused:UNUSED_PAD src0_sel:WORD_0 src1_sel:DWORD
	v_mul_u32_u24_sdwa v41, v41, s34 dst_sel:DWORD dst_unused:UNUSED_PAD src0_sel:WORD_1 src1_sel:DWORD
	v_pk_fma_f16 v61, v3, v63, v61
	s_waitcnt lgkmcnt(0)
	v_pk_fma_f16 v44, v4, v62, v44
	v_pk_fma_f16 v4, v4, v41, v0
	v_pk_fma_f16 v45, v5, v62, v45
	v_pk_fma_f16 v5, v5, v41, v1
	v_pk_fma_f16 v60, v6, v62, v60
	v_pk_fma_f16 v6, v6, v41, v2
	ds_read2_b64 v[0:3], v90 offset0:128 offset1:160
	v_pk_fma_f16 v40, v7, v41, v40
	v_mul_u32_u24_sdwa v41, v42, s34 dst_sel:DWORD dst_unused:UNUSED_PAD src0_sel:WORD_0 src1_sel:DWORD
	v_mul_u32_u24_sdwa v42, v42, s34 dst_sel:DWORD dst_unused:UNUSED_PAD src0_sel:WORD_1 src1_sel:DWORD
	v_pk_fma_f16 v61, v7, v62, v61
	;; [unrolled: 12-line block ×3, first 2 shown]
	s_waitcnt lgkmcnt(0)
	v_pk_fma_f16 v44, v4, v42, v44
	v_pk_fma_f16 v4, v4, v43, v0
	;; [unrolled: 1-line block ×6, first 2 shown]
	ds_read2_b64 v[0:3], v97 offset1:32
	v_pk_fma_f16 v41, v7, v42, v41
	v_pk_fma_f16 v40, v7, v43, v40
	v_mul_u32_u24_sdwa v42, v52, s34 dst_sel:DWORD dst_unused:UNUSED_PAD src0_sel:WORD_0 src1_sel:DWORD
	v_mul_u32_u24_sdwa v43, v52, s34 dst_sel:DWORD dst_unused:UNUSED_PAD src0_sel:WORD_1 src1_sel:DWORD
	s_waitcnt lgkmcnt(0)
	v_pk_fma_f16 v44, v0, v42, v44
	v_pk_fma_f16 v0, v0, v43, v4
	v_pk_fma_f16 v45, v1, v42, v45
	v_pk_fma_f16 v1, v1, v43, v5
	v_pk_fma_f16 v52, v2, v42, v60
	v_pk_fma_f16 v2, v2, v43, v6
	ds_read2_b64 v[4:7], v97 offset0:64 offset1:96
	v_pk_fma_f16 v41, v3, v42, v41
	v_pk_fma_f16 v40, v3, v43, v40
	v_mul_u32_u24_sdwa v42, v53, s34 dst_sel:DWORD dst_unused:UNUSED_PAD src0_sel:WORD_0 src1_sel:DWORD
	v_mul_u32_u24_sdwa v43, v53, s34 dst_sel:DWORD dst_unused:UNUSED_PAD src0_sel:WORD_1 src1_sel:DWORD
	s_waitcnt lgkmcnt(0)
	v_pk_fma_f16 v44, v4, v42, v44
	v_pk_fma_f16 v4, v4, v43, v0
	v_pk_fma_f16 v45, v5, v42, v45
	v_pk_fma_f16 v5, v5, v43, v1
	v_pk_fma_f16 v52, v6, v42, v52
	v_pk_fma_f16 v6, v6, v43, v2
	ds_read2_b64 v[0:3], v97 offset0:128 offset1:160
	;; [unrolled: 12-line block ×3, first 2 shown]
	v_pk_fma_f16 v41, v3, v42, v41
	v_pk_fma_f16 v40, v3, v43, v40
	v_mul_u32_u24_sdwa v42, v55, s34 dst_sel:DWORD dst_unused:UNUSED_PAD src0_sel:WORD_0 src1_sel:DWORD
	v_mul_u32_u24_sdwa v43, v55, s34 dst_sel:DWORD dst_unused:UNUSED_PAD src0_sel:WORD_1 src1_sel:DWORD
	s_waitcnt lgkmcnt(0)
	v_pk_fma_f16 v44, v4, v42, v44
	v_pk_fma_f16 v4, v4, v43, v0
	;; [unrolled: 1-line block ×6, first 2 shown]
	ds_read2_b64 v[0:3], v101 offset1:32
	v_pk_fma_f16 v41, v7, v42, v41
	v_pk_fma_f16 v40, v7, v43, v40
	v_mul_u32_u24_sdwa v42, v56, s34 dst_sel:DWORD dst_unused:UNUSED_PAD src0_sel:WORD_0 src1_sel:DWORD
	v_mul_u32_u24_sdwa v43, v56, s34 dst_sel:DWORD dst_unused:UNUSED_PAD src0_sel:WORD_1 src1_sel:DWORD
	s_waitcnt lgkmcnt(0)
	v_pk_fma_f16 v44, v0, v42, v44
	v_pk_fma_f16 v0, v0, v43, v4
	;; [unrolled: 1-line block ×6, first 2 shown]
	ds_read2_b64 v[4:7], v101 offset0:64 offset1:96
	v_pk_fma_f16 v41, v3, v42, v41
	v_pk_fma_f16 v40, v3, v43, v40
	v_mul_u32_u24_sdwa v42, v57, s34 dst_sel:DWORD dst_unused:UNUSED_PAD src0_sel:WORD_0 src1_sel:DWORD
	v_mul_u32_u24_sdwa v43, v57, s34 dst_sel:DWORD dst_unused:UNUSED_PAD src0_sel:WORD_1 src1_sel:DWORD
	s_waitcnt lgkmcnt(0)
	v_pk_fma_f16 v44, v4, v42, v44
	v_pk_fma_f16 v4, v4, v43, v0
	;; [unrolled: 1-line block ×6, first 2 shown]
	ds_read2_b64 v[0:3], v101 offset0:128 offset1:160
	v_pk_fma_f16 v41, v7, v42, v41
	v_pk_fma_f16 v7, v7, v43, v40
	v_mul_u32_u24_sdwa v40, v58, s34 dst_sel:DWORD dst_unused:UNUSED_PAD src0_sel:WORD_0 src1_sel:DWORD
	v_mul_u32_u24_sdwa v42, v58, s34 dst_sel:DWORD dst_unused:UNUSED_PAD src0_sel:WORD_1 src1_sel:DWORD
	s_waitcnt lgkmcnt(0)
	v_pk_fma_f16 v43, v0, v40, v44
	v_pk_fma_f16 v0, v0, v42, v4
	;; [unrolled: 1-line block ×5, first 2 shown]
	ds_read2_b64 v[52:55], v101 offset0:192 offset1:224
	s_waitcnt lgkmcnt(0)
	s_barrier
	s_load_dword s6, s[4:5], 0x4
	v_pk_fma_f16 v2, v2, v42, v6
	v_pk_fma_f16 v45, v3, v40, v41
	;; [unrolled: 1-line block ×3, first 2 shown]
	v_mul_u32_u24_sdwa v42, v59, s34 dst_sel:DWORD dst_unused:UNUSED_PAD src0_sel:WORD_0 src1_sel:DWORD
	s_waitcnt lgkmcnt(0)
	s_lshl_b32 s6, s6, 5
	v_mul_u32_u24_sdwa v56, v59, s34 dst_sel:DWORD dst_unused:UNUSED_PAD src0_sel:WORD_1 src1_sel:DWORD
	s_add_i32 s2, s6, s2
	v_pk_fma_f16 v41, v52, v42, v43
	v_pk_fma_f16 v40, v52, v56, v0
	;; [unrolled: 1-line block ×7, first 2 shown]
	s_cmp_ge_i32 s2, s24
	v_pk_fma_f16 v5, v55, v56, v3
	s_cbranch_scc1 .LBB62_7
; %bb.30:                               ;   in Loop: Header=BB62_21 Depth=1
	v_mov_b32_e32 v45, v26
	v_mov_b32_e32 v4, v27
	s_branch .LBB62_21
	.section	.rodata,"a",@progbits
	.p2align	6, 0x0
	.amdhsa_kernel _ZL15flash_attn_tileILi256ELi256ELi4ELi4ELb1EEvPKcS1_S1_S1_S1_PKiPfP15HIP_vector_typeIfLj2EEffffjfiS5_IjLj3EEiiiiiiiiiiiliiliiiiil
		.amdhsa_group_segment_fixed_size 17920
		.amdhsa_private_segment_fixed_size 0
		.amdhsa_kernarg_size 464
		.amdhsa_user_sgpr_count 2
		.amdhsa_user_sgpr_dispatch_ptr 0
		.amdhsa_user_sgpr_queue_ptr 0
		.amdhsa_user_sgpr_kernarg_segment_ptr 1
		.amdhsa_user_sgpr_dispatch_id 0
		.amdhsa_user_sgpr_kernarg_preload_length 0
		.amdhsa_user_sgpr_kernarg_preload_offset 0
		.amdhsa_user_sgpr_private_segment_size 0
		.amdhsa_uses_dynamic_stack 0
		.amdhsa_enable_private_segment 0
		.amdhsa_system_sgpr_workgroup_id_x 1
		.amdhsa_system_sgpr_workgroup_id_y 1
		.amdhsa_system_sgpr_workgroup_id_z 1
		.amdhsa_system_sgpr_workgroup_info 0
		.amdhsa_system_vgpr_workitem_id 1
		.amdhsa_next_free_vgpr 102
		.amdhsa_next_free_sgpr 40
		.amdhsa_accum_offset 104
		.amdhsa_reserve_vcc 1
		.amdhsa_float_round_mode_32 0
		.amdhsa_float_round_mode_16_64 0
		.amdhsa_float_denorm_mode_32 3
		.amdhsa_float_denorm_mode_16_64 3
		.amdhsa_dx10_clamp 1
		.amdhsa_ieee_mode 1
		.amdhsa_fp16_overflow 0
		.amdhsa_tg_split 0
		.amdhsa_exception_fp_ieee_invalid_op 0
		.amdhsa_exception_fp_denorm_src 0
		.amdhsa_exception_fp_ieee_div_zero 0
		.amdhsa_exception_fp_ieee_overflow 0
		.amdhsa_exception_fp_ieee_underflow 0
		.amdhsa_exception_fp_ieee_inexact 0
		.amdhsa_exception_int_div_zero 0
	.end_amdhsa_kernel
	.section	.text._ZL15flash_attn_tileILi256ELi256ELi4ELi4ELb1EEvPKcS1_S1_S1_S1_PKiPfP15HIP_vector_typeIfLj2EEffffjfiS5_IjLj3EEiiiiiiiiiiiliiliiiiil,"axG",@progbits,_ZL15flash_attn_tileILi256ELi256ELi4ELi4ELb1EEvPKcS1_S1_S1_S1_PKiPfP15HIP_vector_typeIfLj2EEffffjfiS5_IjLj3EEiiiiiiiiiiiliiliiiiil,comdat
.Lfunc_end62:
	.size	_ZL15flash_attn_tileILi256ELi256ELi4ELi4ELb1EEvPKcS1_S1_S1_S1_PKiPfP15HIP_vector_typeIfLj2EEffffjfiS5_IjLj3EEiiiiiiiiiiiliiliiiiil, .Lfunc_end62-_ZL15flash_attn_tileILi256ELi256ELi4ELi4ELb1EEvPKcS1_S1_S1_S1_PKiPfP15HIP_vector_typeIfLj2EEffffjfiS5_IjLj3EEiiiiiiiiiiiliiliiiiil
                                        ; -- End function
	.set _ZL15flash_attn_tileILi256ELi256ELi4ELi4ELb1EEvPKcS1_S1_S1_S1_PKiPfP15HIP_vector_typeIfLj2EEffffjfiS5_IjLj3EEiiiiiiiiiiiliiliiiiil.num_vgpr, 102
	.set _ZL15flash_attn_tileILi256ELi256ELi4ELi4ELb1EEvPKcS1_S1_S1_S1_PKiPfP15HIP_vector_typeIfLj2EEffffjfiS5_IjLj3EEiiiiiiiiiiiliiliiiiil.num_agpr, 0
	.set _ZL15flash_attn_tileILi256ELi256ELi4ELi4ELb1EEvPKcS1_S1_S1_S1_PKiPfP15HIP_vector_typeIfLj2EEffffjfiS5_IjLj3EEiiiiiiiiiiiliiliiiiil.numbered_sgpr, 40
	.set _ZL15flash_attn_tileILi256ELi256ELi4ELi4ELb1EEvPKcS1_S1_S1_S1_PKiPfP15HIP_vector_typeIfLj2EEffffjfiS5_IjLj3EEiiiiiiiiiiiliiliiiiil.num_named_barrier, 0
	.set _ZL15flash_attn_tileILi256ELi256ELi4ELi4ELb1EEvPKcS1_S1_S1_S1_PKiPfP15HIP_vector_typeIfLj2EEffffjfiS5_IjLj3EEiiiiiiiiiiiliiliiiiil.private_seg_size, 0
	.set _ZL15flash_attn_tileILi256ELi256ELi4ELi4ELb1EEvPKcS1_S1_S1_S1_PKiPfP15HIP_vector_typeIfLj2EEffffjfiS5_IjLj3EEiiiiiiiiiiiliiliiiiil.uses_vcc, 1
	.set _ZL15flash_attn_tileILi256ELi256ELi4ELi4ELb1EEvPKcS1_S1_S1_S1_PKiPfP15HIP_vector_typeIfLj2EEffffjfiS5_IjLj3EEiiiiiiiiiiiliiliiiiil.uses_flat_scratch, 0
	.set _ZL15flash_attn_tileILi256ELi256ELi4ELi4ELb1EEvPKcS1_S1_S1_S1_PKiPfP15HIP_vector_typeIfLj2EEffffjfiS5_IjLj3EEiiiiiiiiiiiliiliiiiil.has_dyn_sized_stack, 0
	.set _ZL15flash_attn_tileILi256ELi256ELi4ELi4ELb1EEvPKcS1_S1_S1_S1_PKiPfP15HIP_vector_typeIfLj2EEffffjfiS5_IjLj3EEiiiiiiiiiiiliiliiiiil.has_recursion, 0
	.set _ZL15flash_attn_tileILi256ELi256ELi4ELi4ELb1EEvPKcS1_S1_S1_S1_PKiPfP15HIP_vector_typeIfLj2EEffffjfiS5_IjLj3EEiiiiiiiiiiiliiliiiiil.has_indirect_call, 0
	.section	.AMDGPU.csdata,"",@progbits
; Kernel info:
; codeLenInByte = 13636
; TotalNumSgprs: 46
; NumVgprs: 102
; NumAgprs: 0
; TotalNumVgprs: 102
; ScratchSize: 0
; MemoryBound: 0
; FloatMode: 240
; IeeeMode: 1
; LDSByteSize: 17920 bytes/workgroup (compile time only)
; SGPRBlocks: 5
; VGPRBlocks: 12
; NumSGPRsForWavesPerEU: 46
; NumVGPRsForWavesPerEU: 102
; AccumOffset: 104
; Occupancy: 4
; WaveLimiterHint : 1
; COMPUTE_PGM_RSRC2:SCRATCH_EN: 0
; COMPUTE_PGM_RSRC2:USER_SGPR: 2
; COMPUTE_PGM_RSRC2:TRAP_HANDLER: 0
; COMPUTE_PGM_RSRC2:TGID_X_EN: 1
; COMPUTE_PGM_RSRC2:TGID_Y_EN: 1
; COMPUTE_PGM_RSRC2:TGID_Z_EN: 1
; COMPUTE_PGM_RSRC2:TIDIG_COMP_CNT: 1
; COMPUTE_PGM_RSRC3_GFX90A:ACCUM_OFFSET: 25
; COMPUTE_PGM_RSRC3_GFX90A:TG_SPLIT: 0
	.section	.text._ZL15flash_attn_tileILi256ELi256ELi2ELi4ELb1EEvPKcS1_S1_S1_S1_PKiPfP15HIP_vector_typeIfLj2EEffffjfiS5_IjLj3EEiiiiiiiiiiiliiliiiiil,"axG",@progbits,_ZL15flash_attn_tileILi256ELi256ELi2ELi4ELb1EEvPKcS1_S1_S1_S1_PKiPfP15HIP_vector_typeIfLj2EEffffjfiS5_IjLj3EEiiiiiiiiiiiliiliiiiil,comdat
	.globl	_ZL15flash_attn_tileILi256ELi256ELi2ELi4ELb1EEvPKcS1_S1_S1_S1_PKiPfP15HIP_vector_typeIfLj2EEffffjfiS5_IjLj3EEiiiiiiiiiiiliiliiiiil ; -- Begin function _ZL15flash_attn_tileILi256ELi256ELi2ELi4ELb1EEvPKcS1_S1_S1_S1_PKiPfP15HIP_vector_typeIfLj2EEffffjfiS5_IjLj3EEiiiiiiiiiiiliiliiiiil
	.p2align	8
	.type	_ZL15flash_attn_tileILi256ELi256ELi2ELi4ELb1EEvPKcS1_S1_S1_S1_PKiPfP15HIP_vector_typeIfLj2EEffffjfiS5_IjLj3EEiiiiiiiiiiiliiliiiiil,@function
_ZL15flash_attn_tileILi256ELi256ELi2ELi4ELb1EEvPKcS1_S1_S1_S1_PKiPfP15HIP_vector_typeIfLj2EEffffjfiS5_IjLj3EEiiiiiiiiiiiliiliiiiil: ; @_ZL15flash_attn_tileILi256ELi256ELi2ELi4ELb1EEvPKcS1_S1_S1_S1_PKiPfP15HIP_vector_typeIfLj2EEffffjfiS5_IjLj3EEiiiiiiiiiiiliiliiiiil
; %bb.0:
	s_load_dwordx4 s[20:23], s[0:1], 0x5c
	s_load_dwordx2 s[28:29], s[0:1], 0x80
	s_load_dwordx2 s[34:35], s[0:1], 0xb8
	s_mov_b64 s[30:31], 0
	s_waitcnt lgkmcnt(0)
	s_ashr_i32 s5, s23, 31
	s_lshr_b32 s5, s5, 30
	s_add_i32 s5, s23, s5
	s_ashr_i32 s5, s5, 2
	v_cvt_f32_u32_e32 v1, s5
	s_sub_i32 s6, 0, s5
	v_rcp_iflag_f32_e32 v1, v1
	s_nop 0
	v_mul_f32_e32 v1, 0x4f7ffffe, v1
	v_cvt_u32_f32_e32 v1, v1
	s_nop 0
	v_readfirstlane_b32 s7, v1
	s_mul_i32 s6, s6, s7
	s_mul_hi_u32 s6, s7, s6
	s_add_i32 s7, s7, s6
	s_mul_hi_u32 s6, s4, s7
	s_mul_i32 s7, s6, s5
	s_sub_i32 s7, s4, s7
	s_add_i32 s8, s6, 1
	s_sub_i32 s9, s7, s5
	s_cmp_ge_u32 s7, s5
	s_cselect_b32 s6, s8, s6
	s_cselect_b32 s7, s9, s7
	s_add_i32 s8, s6, 1
	s_cmp_ge_u32 s7, s5
	s_cselect_b32 s33, s8, s6
	s_abs_i32 s5, s29
	v_cvt_f32_u32_e32 v1, s5
	s_lshl_b32 s4, s4, 2
	s_mul_i32 s8, s33, s23
	s_xor_b32 s6, s23, s29
	v_rcp_iflag_f32_e32 v1, v1
	s_sub_i32 s9, 0, s5
	s_sub_i32 s29, s4, s8
	s_abs_i32 s7, s23
	v_mul_f32_e32 v1, 0x4f7ffffe, v1
	v_cvt_u32_f32_e32 v1, v1
	s_ashr_i32 s6, s6, 31
	v_readfirstlane_b32 s4, v1
	s_mul_i32 s9, s9, s4
	s_mul_hi_u32 s8, s4, s9
	s_add_i32 s4, s4, s8
	s_mul_hi_u32 s4, s7, s4
	s_mul_i32 s8, s4, s5
	s_sub_i32 s7, s7, s8
	s_add_i32 s9, s4, 1
	s_sub_i32 s8, s7, s5
	s_cmp_ge_u32 s7, s5
	s_cselect_b32 s4, s9, s4
	s_cselect_b32 s7, s8, s7
	s_add_i32 s8, s4, 1
	s_cmp_ge_u32 s7, s5
	s_cselect_b32 s4, s8, s4
	s_xor_b32 s4, s4, s6
	s_sub_i32 s37, s4, s6
	s_abs_i32 s36, s37
	v_cvt_f32_u32_e32 v1, s36
	s_load_dwordx16 s[4:19], s[0:1], 0x0
	v_rcp_iflag_f32_e32 v1, v1
	s_waitcnt lgkmcnt(0)
	s_cmp_eq_u64 s[10:11], 0
	v_mul_f32_e32 v1, 0x4f7ffffe, v1
	v_cvt_u32_f32_e32 v1, v1
	s_nop 0
	v_readfirstlane_b32 s38, v1
	s_cbranch_scc1 .LBB63_2
; %bb.1:
	s_abs_i32 s26, s34
	v_cvt_f32_u32_e32 v1, s26
	s_sub_i32 s31, 0, s26
	s_abs_i32 s30, s33
	s_ashr_i32 s27, s33, 31
	v_rcp_iflag_f32_e32 v1, v1
	s_load_dwordx2 s[24:25], s[0:1], 0xc8
	v_mul_f32_e32 v1, 0x4f7ffffe, v1
	v_cvt_u32_f32_e32 v1, v1
	s_nop 0
	v_readfirstlane_b32 s34, v1
	s_mul_i32 s31, s31, s34
	s_mul_hi_u32 s31, s34, s31
	s_add_i32 s34, s34, s31
	s_mul_hi_u32 s31, s30, s34
	s_mul_i32 s31, s31, s26
	s_sub_i32 s30, s30, s31
	s_sub_i32 s31, s30, s26
	s_cmp_ge_u32 s30, s26
	s_cselect_b32 s30, s31, s30
	s_sub_i32 s31, s30, s26
	s_cmp_ge_u32 s30, s26
	s_cselect_b32 s26, s31, s30
	s_xor_b32 s26, s26, s27
	s_sub_i32 s26, s26, s27
	s_ashr_i32 s27, s26, 31
	s_waitcnt lgkmcnt(0)
	s_mul_hi_u32 s30, s24, s26
	s_mul_i32 s27, s24, s27
	s_mul_i32 s25, s25, s26
	s_add_i32 s27, s30, s27
	s_add_i32 s27, s27, s25
	s_mul_i32 s24, s24, s26
	s_add_u32 s30, s10, s24
	s_addc_u32 s31, s11, s27
.LBB63_2:
	s_load_dwordx4 s[24:27], s[0:1], 0x70
	v_lshrrev_b32_e32 v1, 10, v0
	v_bfe_u32 v1, v1, 2, 8
	v_lshl_add_u32 v34, s2, 1, v1
	v_bfe_u32 v9, v0, 10, 2
	s_waitcnt lgkmcnt(0)
	s_mul_i32 s10, s33, s26
	s_ashr_i32 s26, s10, 31
	s_mul_i32 s11, s29, s25
	s_add_u32 s4, s4, s10
	s_addc_u32 s5, s5, s26
	s_ashr_i32 s10, s11, 31
	s_add_u32 s4, s4, s11
	s_addc_u32 s5, s5, s10
	s_ashr_i32 s11, s25, 31
	s_mov_b32 s10, s25
	s_lshr_b64 s[26:27], s[10:11], 2
	v_mul_hi_u32 v1, s20, v34
	s_lshr_b32 s25, s11, 2
	v_mad_u64_u32 v[2:3], s[10:11], s26, v9, 0
	v_add_u32_e32 v1, v34, v1
	v_mov_b32_e32 v4, v3
	v_lshrrev_b32_e32 v1, s21, v1
	v_mad_u64_u32 v[4:5], s[10:11], s25, v9, v[4:5]
	v_mul_lo_u32 v1, v1, s22
	s_ashr_i32 s25, s24, 31
	v_sub_u32_e32 v1, v34, v1
	s_lshr_b64 s[10:11], s[24:25], 2
	v_mov_b32_e32 v3, v4
	v_mad_u64_u32 v[4:5], s[10:11], s10, v1, 0
	v_mov_b32_e32 v6, v5
	s_lshr_b32 s10, s25, 2
	v_mad_u64_u32 v[6:7], s[10:11], s10, v1, v[6:7]
	v_mov_b32_e32 v5, v6
	v_and_b32_e32 v8, 0x3ff, v0
	v_lshl_add_u64 v[2:3], v[2:3], 2, s[4:5]
	v_mov_b32_e32 v7, 0
	v_lshl_add_u64 v[2:3], v[4:5], 2, v[2:3]
	v_lshlrev_b32_e32 v6, 4, v8
	v_lshl_add_u64 v[2:3], v[2:3], 0, v[6:7]
	global_load_dwordx4 v[4:7], v[2:3], off
	global_load_dwordx4 v[10:13], v[2:3], off offset:512
	s_load_dword s4, s[0:1], 0x40
	v_bfe_u32 v0, v0, 10, 10
	v_lshlrev_b32_e32 v2, 9, v0
	v_lshlrev_b32_e32 v33, 3, v8
	v_add_u32_e32 v36, 0x4400, v2
	v_add_u32_e32 v3, v36, v33
	s_cmp_eq_u64 s[14:15], 0
	s_waitcnt vmcnt(1) lgkmcnt(0)
	v_fma_mixlo_f16 v4, s4, v4, 0
	v_fma_mixlo_f16 v5, s4, v5, 0
	;; [unrolled: 1-line block ×4, first 2 shown]
	s_waitcnt vmcnt(0)
	v_fma_mixlo_f16 v10, s4, v10, 0
	v_fma_mixlo_f16 v11, s4, v11, 0
	;; [unrolled: 1-line block ×4, first 2 shown]
	v_lshlrev_b32_e32 v5, 16, v5
	v_and_b32_e32 v4, 0xffff, v4
	v_lshlrev_b32_e32 v7, 16, v7
	v_and_b32_e32 v6, 0xffff, v6
	;; [unrolled: 2-line block ×4, first 2 shown]
	v_or_b32_e32 v4, v5, v4
	v_or3_b32 v5, v7, v6, 0
	v_or_b32_e32 v6, v11, v10
	v_or3_b32 v7, v13, v12, 0
	v_or3_b32 v4, 0, 0, v4
	;; [unrolled: 1-line block ×3, first 2 shown]
	ds_write2_b64 v3, v[4:5], v[6:7] offset1:32
	s_waitcnt lgkmcnt(0)
	s_barrier
	s_cbranch_scc1 .LBB63_4
; %bb.3:
	s_load_dword s4, s[0:1], 0xd0
	s_mov_b32 s5, 0
	s_waitcnt lgkmcnt(0)
	s_mul_i32 s4, s4, s33
	s_add_i32 s4, s4, s2
	s_lshl_b64 s[4:5], s[4:5], 2
	s_add_u32 s4, s14, s4
	s_addc_u32 s5, s15, s5
	s_load_dword s28, s[4:5], 0x0
.LBB63_4:
	s_lshl_b32 s2, s3, 6
	v_lshlrev_b32_e32 v35, 2, v8
	s_waitcnt lgkmcnt(0)
	s_cmp_lt_i32 s2, s28
	v_mbcnt_lo_u32_b32 v3, -1, 0
	s_cbranch_scc1 .LBB63_10
; %bb.5:
	v_mbcnt_hi_u32_b32 v21, -1, v3
	v_and_b32_e32 v4, 0x60, v21
	v_add_u32_e32 v56, 32, v4
	v_xor_b32_e32 v58, 16, v21
	v_xor_b32_e32 v57, 8, v21
	;; [unrolled: 1-line block ×5, first 2 shown]
	s_cbranch_execz .LBB63_11
; %bb.6:
	v_mov_b32_e32 v54, 0
	v_mov_b32_e32 v62, 0
	;; [unrolled: 1-line block ×6, first 2 shown]
.LBB63_7:
	v_cmp_lt_i32_e32 vcc, v58, v56
	s_cmp_lg_u64 s[12:13], 0
	s_cselect_b64 s[4:5], -1, 0
	v_cndmask_b32_e32 v0, v21, v58, vcc
	v_lshlrev_b32_e32 v0, 2, v0
	ds_bpermute_b32 v0, v0, v62
	v_cmp_lt_i32_e32 vcc, v57, v56
	s_cmp_eq_u32 s3, 0
	s_cselect_b64 s[6:7], -1, 0
	v_cndmask_b32_e32 v1, v21, v57, vcc
	v_lshlrev_b32_e32 v1, 2, v1
	s_waitcnt lgkmcnt(0)
	v_add_f32_e32 v0, v62, v0
	ds_bpermute_b32 v1, v1, v0
	v_cmp_lt_i32_e32 vcc, v59, v56
	s_and_b64 s[4:5], s[6:7], s[4:5]
	s_waitcnt lgkmcnt(0)
	v_add_f32_e32 v0, v0, v1
	v_cndmask_b32_e32 v2, v21, v59, vcc
	v_lshlrev_b32_e32 v2, 2, v2
	ds_bpermute_b32 v1, v2, v0
	v_cmp_lt_i32_e32 vcc, v60, v56
	s_waitcnt lgkmcnt(0)
	v_add_f32_e32 v0, v0, v1
	v_cndmask_b32_e32 v2, v21, v60, vcc
	v_lshlrev_b32_e32 v2, 2, v2
	ds_bpermute_b32 v1, v2, v0
	v_cmp_lt_i32_e32 vcc, v61, v56
	s_waitcnt lgkmcnt(0)
	v_add_f32_e32 v0, v0, v1
	v_cndmask_b32_e32 v2, v21, v61, vcc
	v_lshlrev_b32_e32 v2, 2, v2
	ds_bpermute_b32 v1, v2, v0
	s_and_b64 vcc, exec, s[4:5]
	s_waitcnt lgkmcnt(0)
	v_add_f32_e32 v33, v0, v1
	s_cbranch_vccz .LBB63_22
; %bb.8:
	v_add_u32_e32 v0, s29, v9
	v_ashrrev_i32_e32 v1, 31, v0
	v_lshl_add_u64 v[0:1], v[0:1], 2, s[12:13]
	global_load_dword v1, v[0:1], off
	v_max_f32_e32 v0, v32, v32
	s_mov_b32 s2, 0x3fb8aa3b
	s_mov_b32 s4, 0xc2ce8ed0
	s_waitcnt vmcnt(0)
	v_max_f32_e32 v2, v1, v1
	v_max_f32_e32 v0, v0, v2
	v_sub_f32_e32 v2, v32, v0
	v_sub_f32_e32 v1, v1, v0
	v_mul_f32_e32 v3, 0x3fb8aa3b, v2
	v_mul_f32_e32 v4, 0x3fb8aa3b, v1
	v_fma_f32 v5, v2, s2, -v3
	v_rndne_f32_e32 v6, v3
	v_fma_f32 v7, v1, s2, -v4
	v_rndne_f32_e32 v10, v4
	v_fmac_f32_e32 v5, 0x32a5705f, v2
	v_sub_f32_e32 v3, v3, v6
	v_fmac_f32_e32 v7, 0x32a5705f, v1
	v_sub_f32_e32 v4, v4, v10
	v_add_f32_e32 v3, v3, v5
	v_cvt_i32_f32_e32 v6, v6
	v_add_f32_e32 v4, v4, v7
	v_exp_f32_e32 v3, v3
	v_cvt_i32_f32_e32 v10, v10
	v_exp_f32_e32 v4, v4
	v_cmp_ngt_f32_e32 vcc, s4, v2
	v_ldexp_f32 v3, v3, v6
	s_mov_b32 s2, 0x42b17218
	v_ldexp_f32 v4, v4, v10
	v_cndmask_b32_e32 v3, 0, v3, vcc
	v_cmp_ngt_f32_e32 vcc, s4, v1
	v_mov_b32_e32 v5, 0x7f800000
	s_nop 0
	v_cndmask_b32_e32 v4, 0, v4, vcc
	v_cmp_nlt_f32_e32 vcc, s2, v2
	s_nop 1
	v_cndmask_b32_e32 v2, v5, v3, vcc
	v_cvt_f16_f32_e32 v3, v2
	v_cmp_nlt_f32_e32 vcc, s2, v1
	s_nop 1
	v_cndmask_b32_e32 v1, v5, v4, vcc
	v_fmac_f32_e32 v1, v33, v2
	v_mul_u32_u24_e32 v2, 0x10001, v3
	v_pk_mul_f16 v54, v54, v2
	v_pk_mul_f16 v53, v53, v2
	;; [unrolled: 1-line block ×4, first 2 shown]
	v_mov_b64_e32 v[32:33], v[0:1]
	v_cmp_gt_i32_e32 vcc, s22, v34
	s_and_saveexec_b64 s[4:5], vcc
	s_cbranch_execnz .LBB63_23
.LBB63_9:
	s_endpgm
.LBB63_10:
                                        ; implicit-def: $vgpr21
                                        ; implicit-def: $vgpr56
                                        ; implicit-def: $vgpr58
                                        ; implicit-def: $vgpr57
                                        ; implicit-def: $vgpr59
                                        ; implicit-def: $vgpr60
                                        ; implicit-def: $vgpr61
.LBB63_11:
	s_sub_i32 s4, 0, s36
	s_mul_i32 s4, s4, s38
	s_mul_hi_u32 s4, s38, s4
	s_add_i32 s38, s38, s4
	s_load_dwordx4 s[24:27], s[0:1], 0x98
	s_load_dword s10, s[0:1], 0x54
	s_load_dwordx2 s[4:5], s[0:1], 0x8c
	s_ashr_i32 s34, s37, 31
	s_abs_i32 s15, s29
	s_waitcnt lgkmcnt(0)
	s_ashr_i32 s11, s26, 2
	s_ashr_i32 s26, s35, 1
	;; [unrolled: 1-line block ×4, first 2 shown]
	s_mul_hi_u32 s35, s24, s33
	s_mul_i32 s37, s24, s4
	s_add_i32 s35, s35, s37
	s_mul_i32 s25, s25, s33
	s_mul_hi_u32 s20, s15, s38
	s_ashr_i32 s21, s29, 31
	s_add_i32 s35, s35, s25
	s_mul_i32 s24, s24, s33
	s_add_u32 s6, s6, s24
	s_mul_i32 s24, s20, s36
	s_addc_u32 s7, s7, s35
	s_sub_i32 s15, s15, s24
	s_xor_b32 s21, s21, s34
	s_add_i32 s24, s20, 1
	s_sub_i32 s25, s15, s36
	s_cmp_ge_u32 s15, s36
	s_cselect_b32 s20, s24, s20
	s_cselect_b32 s15, s25, s15
	s_add_i32 s24, s20, 1
	s_cmp_ge_u32 s15, s36
	s_load_dwordx2 s[38:39], s[0:1], 0xa8
	s_cselect_b32 s15, s24, s20
	s_xor_b32 s15, s15, s21
	s_sub_i32 s21, s15, s21
	s_mul_i32 s5, s21, s5
	s_ashr_i32 s20, s5, 31
	s_add_u32 s15, s6, s5
	s_waitcnt lgkmcnt(0)
	s_mul_hi_u32 s5, s38, s33
	s_mul_i32 s4, s38, s4
	s_addc_u32 s20, s7, s20
	s_add_i32 s4, s5, s4
	s_mul_i32 s5, s39, s33
	s_add_i32 s4, s4, s5
	s_mul_i32 s5, s38, s33
	s_add_u32 s5, s8, s5
	s_mul_i32 s21, s21, s27
	s_addc_u32 s4, s9, s4
	s_ashr_i32 s6, s21, 31
	v_lshrrev_b32_e32 v4, 4, v8
	s_add_u32 s8, s5, s21
	v_lshl_add_u32 v5, v0, 1, v4
	v_and_b32_e32 v4, 60, v35
	s_addc_u32 s9, s4, s6
	v_lshlrev_b32_e32 v6, 2, v4
	s_movk_i32 s4, 0x110
	v_mad_u32_u24 v37, v5, s4, v6
	v_mul_lo_u32 v12, s14, v5
	s_lshl_b32 s4, s14, 4
	v_add_u32_e32 v14, s4, v12
	v_add_u32_e32 v16, s4, v14
	;; [unrolled: 1-line block ×3, first 2 shown]
	v_mad_u64_u32 v[20:21], s[4:5], v1, s26, v[8:9]
	v_mov_b32_e32 v1, 0x5400
	v_lshlrev_b32_e32 v10, 2, v35
	v_mul_lo_u32 v6, s11, v0
	s_lshl_b32 s4, s11, 3
	v_lshl_add_u32 v42, v0, 7, v1
	v_add_u32_e32 v44, v2, v10
	v_lshl_add_u32 v2, v0, 9, v10
	v_add_u32_e32 v0, s4, v6
	v_add_u32_e32 v28, s4, v0
	;; [unrolled: 1-line block ×3, first 2 shown]
	v_mov_b32_e32 v11, 0
	v_ashrrev_i32_e32 v7, 31, v6
	v_ashrrev_i32_e32 v1, 31, v0
	;; [unrolled: 1-line block ×4, first 2 shown]
	s_add_u32 s4, s0, 0xd0
	v_ashrrev_i32_e32 v13, 31, v12
	v_add_u32_e32 v38, 0x1100, v37
	v_ashrrev_i32_e32 v15, 31, v14
	v_add_u32_e32 v39, 0x2200, v37
	;; [unrolled: 2-line block ×3, first 2 shown]
	v_ashrrev_i32_e32 v19, 31, v18
	v_mul_u32_u24_e32 v41, 0x110, v8
	v_lshl_add_u32 v43, v8, 1, v42
	v_add_u32_e32 v45, 0x1000, v2
	v_add_u32_e32 v46, 0x2000, v2
	;; [unrolled: 1-line block ×3, first 2 shown]
	s_addc_u32 s5, s1, 0
	v_mov_b32_e32 v55, 0xfeffffff
	v_lshlrev_b32_e32 v22, 2, v4
	v_mov_b32_e32 v23, v11
	s_mov_b32 s21, 0x3f200000
	s_mov_b32 s24, 0x3fb8aa3b
	;; [unrolled: 1-line block ×4, first 2 shown]
	v_mov_b32_e32 v48, 0x3ca908c9
	s_brev_b32 s27, -2
	s_mov_b32 s34, 0x10001
	v_lshlrev_b64 v[24:25], 2, v[6:7]
	v_lshlrev_b64 v[26:27], 2, v[0:1]
	;; [unrolled: 1-line block ×4, first 2 shown]
	v_mov_b32_e32 v49, 0x7f800000
	v_mbcnt_hi_u32_b32 v21, -1, v3
	v_mov_b32_e32 v51, v11
	v_mov_b32_e32 v52, v11
	;; [unrolled: 1-line block ×5, first 2 shown]
                                        ; implicit-def: $vgpr2
                                        ; implicit-def: $vgpr2
	;; [unrolled: 1-line block ×3, first 2 shown]
.LBB63_12:                              ; =>This Inner Loop Header: Depth=1
	s_mul_hi_i32 s7, s2, s14
	s_mul_i32 s6, s2, s14
	s_lshl_b64 s[6:7], s[6:7], 2
	s_add_u32 s6, s15, s6
	s_addc_u32 s7, s20, s7
	v_lshl_add_u64 v[0:1], v[12:13], 2, s[6:7]
	v_lshl_add_u64 v[4:5], v[16:17], 2, s[6:7]
	;; [unrolled: 1-line block ×7, first 2 shown]
	global_load_dwordx4 v[56:59], v[0:1], off
	global_load_dwordx4 v[60:63], v[2:3], off
	v_lshl_add_u64 v[6:7], v[6:7], 0, v[22:23]
	global_load_dwordx4 v[64:67], v[4:5], off
	global_load_dwordx4 v[68:71], v[6:7], off
	v_mov_b32_e32 v32, 0
	s_waitcnt vmcnt(3)
	ds_write_b128 v37, v[56:59]
	s_waitcnt vmcnt(2)
	ds_write_b128 v38, v[60:63]
	;; [unrolled: 2-line block ×4, first 2 shown]
	s_waitcnt lgkmcnt(0)
	s_barrier
	ds_read_b128 v[58:61], v41
	ds_read_b128 v[62:65], v36
	ds_read_b128 v[66:69], v41 offset:8704
	s_waitcnt lgkmcnt(1)
	;;#ASMSTART
	v_dot2_f32_f16 v32, v58, v62, v32
	;;#ASMEND
	s_nop 0
	;;#ASMSTART
	v_dot2_f32_f16 v32, v59, v63, v32
	;;#ASMEND
	v_mov_b32_e32 v56, 0
	;;#ASMSTART
	v_dot2_f32_f16 v32, v60, v64, v32
	;;#ASMEND
	s_nop 0
	;;#ASMSTART
	v_dot2_f32_f16 v32, v61, v65, v32
	;;#ASMEND
	s_waitcnt lgkmcnt(0)
	;;#ASMSTART
	v_dot2_f32_f16 v56, v66, v62, v56
	;;#ASMEND
	s_nop 0
	;;#ASMSTART
	v_dot2_f32_f16 v56, v67, v63, v56
	;;#ASMEND
	s_nop 0
	;;#ASMSTART
	v_dot2_f32_f16 v56, v68, v64, v56
	;;#ASMEND
	s_nop 0
	;;#ASMSTART
	v_dot2_f32_f16 v56, v69, v65, v56
	;;#ASMEND
	ds_read_b128 v[58:61], v41 offset:16
	ds_read_b128 v[62:65], v36 offset:16
	ds_read_b128 v[66:69], v41 offset:8720
	s_waitcnt lgkmcnt(1)
	;;#ASMSTART
	v_dot2_f32_f16 v32, v58, v62, v32
	;;#ASMEND
	s_nop 0
	;;#ASMSTART
	v_dot2_f32_f16 v32, v59, v63, v32
	;;#ASMEND
	s_nop 0
	;;#ASMSTART
	v_dot2_f32_f16 v32, v60, v64, v32
	;;#ASMEND
	s_nop 0
	;;#ASMSTART
	v_dot2_f32_f16 v32, v61, v65, v32
	;;#ASMEND
	s_waitcnt lgkmcnt(0)
	;;#ASMSTART
	v_dot2_f32_f16 v56, v66, v62, v56
	;;#ASMEND
	s_nop 0
	;;#ASMSTART
	v_dot2_f32_f16 v56, v67, v63, v56
	;;#ASMEND
	s_nop 0
	;;#ASMSTART
	v_dot2_f32_f16 v56, v68, v64, v56
	;;#ASMEND
	s_nop 0
	;;#ASMSTART
	v_dot2_f32_f16 v56, v69, v65, v56
	;;#ASMEND
	ds_read_b128 v[58:61], v41 offset:32
	ds_read_b128 v[62:65], v36 offset:32
	ds_read_b128 v[66:69], v41 offset:8736
	s_waitcnt lgkmcnt(1)
	;;#ASMSTART
	v_dot2_f32_f16 v32, v58, v62, v32
	;;#ASMEND
	s_nop 0
	;;#ASMSTART
	v_dot2_f32_f16 v32, v59, v63, v32
	;;#ASMEND
	s_nop 0
	;; [unrolled: 35-line block ×15, first 2 shown]
	;;#ASMSTART
	v_dot2_f32_f16 v32, v60, v64, v32
	;;#ASMEND
	s_nop 0
	;;#ASMSTART
	v_dot2_f32_f16 v32, v61, v65, v32
	;;#ASMEND
	s_waitcnt lgkmcnt(0)
	;;#ASMSTART
	v_dot2_f32_f16 v56, v66, v62, v56
	;;#ASMEND
	s_nop 0
	;;#ASMSTART
	v_dot2_f32_f16 v56, v67, v63, v56
	;;#ASMEND
	s_nop 0
	;; [unrolled: 4-line block ×3, first 2 shown]
	;;#ASMSTART
	v_dot2_f32_f16 v56, v69, v65, v56
	;;#ASMEND
	s_barrier
	global_load_dwordx4 v[58:61], v[0:1], off offset:256
	global_load_dwordx4 v[62:65], v[2:3], off offset:256
	;; [unrolled: 1-line block ×4, first 2 shown]
	s_waitcnt vmcnt(3)
	ds_write_b128 v37, v[58:61]
	s_waitcnt vmcnt(2)
	ds_write_b128 v38, v[62:65]
	;; [unrolled: 2-line block ×4, first 2 shown]
	s_waitcnt lgkmcnt(0)
	s_barrier
	ds_read_b128 v[0:3], v41
	ds_read_b128 v[4:7], v36 offset:256
	ds_read_b128 v[58:61], v41 offset:8704
	s_waitcnt lgkmcnt(1)
	;;#ASMSTART
	v_dot2_f32_f16 v32, v0, v4, v32
	;;#ASMEND
	s_nop 0
	;;#ASMSTART
	v_dot2_f32_f16 v32, v1, v5, v32
	;;#ASMEND
	s_nop 0
	;;#ASMSTART
	v_dot2_f32_f16 v32, v2, v6, v32
	;;#ASMEND
	s_nop 0
	;;#ASMSTART
	v_dot2_f32_f16 v32, v3, v7, v32
	;;#ASMEND
	s_waitcnt lgkmcnt(0)
	;;#ASMSTART
	v_dot2_f32_f16 v56, v58, v4, v56
	;;#ASMEND
	s_nop 0
	;;#ASMSTART
	v_dot2_f32_f16 v56, v59, v5, v56
	;;#ASMEND
	s_nop 0
	;;#ASMSTART
	v_dot2_f32_f16 v56, v60, v6, v56
	;;#ASMEND
	s_nop 0
	;;#ASMSTART
	v_dot2_f32_f16 v56, v61, v7, v56
	;;#ASMEND
	ds_read_b128 v[0:3], v41 offset:16
	ds_read_b128 v[4:7], v36 offset:272
	ds_read_b128 v[58:61], v41 offset:8720
	s_waitcnt lgkmcnt(1)
	;;#ASMSTART
	v_dot2_f32_f16 v32, v0, v4, v32
	;;#ASMEND
	s_nop 0
	;;#ASMSTART
	v_dot2_f32_f16 v32, v1, v5, v32
	;;#ASMEND
	s_nop 0
	;;#ASMSTART
	v_dot2_f32_f16 v32, v2, v6, v32
	;;#ASMEND
	s_nop 0
	;;#ASMSTART
	v_dot2_f32_f16 v32, v3, v7, v32
	;;#ASMEND
	s_waitcnt lgkmcnt(0)
	;;#ASMSTART
	v_dot2_f32_f16 v56, v58, v4, v56
	;;#ASMEND
	s_nop 0
	;;#ASMSTART
	v_dot2_f32_f16 v56, v59, v5, v56
	;;#ASMEND
	s_nop 0
	;;#ASMSTART
	v_dot2_f32_f16 v56, v60, v6, v56
	;;#ASMEND
	s_nop 0
	;;#ASMSTART
	v_dot2_f32_f16 v56, v61, v7, v56
	;;#ASMEND
	ds_read_b128 v[0:3], v41 offset:32
	;; [unrolled: 35-line block ×15, first 2 shown]
	ds_read_b128 v[4:7], v36 offset:496
	ds_read_b128 v[58:61], v41 offset:8944
	s_waitcnt lgkmcnt(1)
	;;#ASMSTART
	v_dot2_f32_f16 v32, v0, v4, v32
	;;#ASMEND
	s_nop 0
	;;#ASMSTART
	v_dot2_f32_f16 v32, v1, v5, v32
	;;#ASMEND
	s_nop 0
	;;#ASMSTART
	v_dot2_f32_f16 v32, v2, v6, v32
	;;#ASMEND
	s_nop 0
	;;#ASMSTART
	v_dot2_f32_f16 v32, v3, v7, v32
	;;#ASMEND
	s_waitcnt lgkmcnt(0)
	;;#ASMSTART
	v_dot2_f32_f16 v56, v58, v4, v56
	;;#ASMEND
                                        ; implicit-def: $vgpr3
	s_nop 0
	;;#ASMSTART
	v_dot2_f32_f16 v56, v59, v5, v56
	;;#ASMEND
	v_cmp_nlt_f32_e64 s[6:7], |v32|, s21
	;;#ASMSTART
	v_dot2_f32_f16 v56, v60, v6, v56
	;;#ASMEND
	s_nop 0
	;;#ASMSTART
	v_dot2_f32_f16 v56, v61, v7, v56
	;;#ASMEND
	s_and_saveexec_b64 s[36:37], s[6:7]
	s_xor_b64 s[6:7], exec, s[36:37]
	s_cbranch_execz .LBB63_14
; %bb.13:                               ;   in Loop: Header=BB63_12 Depth=1
	v_add_f32_e64 v0, |v32|, |v32|
	v_mul_f32_e32 v1, 0x3fb8aa3b, v0
	v_rndne_f32_e32 v2, v1
	v_sub_f32_e32 v3, v1, v2
	v_fma_f32 v1, v0, s24, -v1
	v_fmac_f32_e32 v1, 0x32a5705f, v0
	v_add_f32_e32 v1, v3, v1
	v_cvt_i32_f32_e32 v2, v2
	v_exp_f32_e32 v1, v1
	v_cmp_ngt_f32_e32 vcc, s25, v0
	v_ldexp_f32 v1, v1, v2
	s_nop 0
	v_cndmask_b32_e32 v1, 0, v1, vcc
	v_cmp_nlt_f32_e32 vcc, s26, v0
	s_nop 1
	v_cndmask_b32_e32 v0, v49, v1, vcc
	v_add_f32_e32 v0, 1.0, v0
	v_rcp_f32_e32 v0, v0
	s_nop 0
	v_fma_f32 v3, v0, -2.0, 1.0
.LBB63_14:                              ;   in Loop: Header=BB63_12 Depth=1
	s_andn2_saveexec_b64 s[6:7], s[6:7]
; %bb.15:                               ;   in Loop: Header=BB63_12 Depth=1
	v_mul_f32_e32 v0, v32, v32
	v_fmamk_f32 v1, v0, 0xbbbac73d, v48
	v_fmaak_f32 v1, v0, v1, 0xbd5c1c4e
	v_fmaak_f32 v1, v0, v1, 0x3e088382
	;; [unrolled: 1-line block ×3, first 2 shown]
	v_mul_f32_e64 v1, |v32|, v1
	v_fma_f32 v3, v0, v1, |v32|
; %bb.16:                               ;   in Loop: Header=BB63_12 Depth=1
	s_or_b64 exec, exec, s[6:7]
	v_add_u32_e32 v0, s2, v20
	v_ashrrev_i32_e32 v1, 31, v0
	v_lshl_add_u64 v[0:1], v[0:1], 1, s[30:31]
	global_load_ushort v2, v[0:1], off
	v_cmp_nlt_f32_e64 s[6:7], |v56|, s21
                                        ; implicit-def: $vgpr4
	s_and_saveexec_b64 s[36:37], s[6:7]
	s_xor_b64 s[6:7], exec, s[36:37]
	s_cbranch_execz .LBB63_18
; %bb.17:                               ;   in Loop: Header=BB63_12 Depth=1
	v_add_f32_e64 v4, |v56|, |v56|
	v_mul_f32_e32 v5, 0x3fb8aa3b, v4
	v_rndne_f32_e32 v6, v5
	v_sub_f32_e32 v7, v5, v6
	v_fma_f32 v5, v4, s24, -v5
	v_fmac_f32_e32 v5, 0x32a5705f, v4
	v_add_f32_e32 v5, v7, v5
	v_cvt_i32_f32_e32 v6, v6
	v_exp_f32_e32 v5, v5
	v_cmp_ngt_f32_e32 vcc, s25, v4
	v_ldexp_f32 v5, v5, v6
	s_nop 0
	v_cndmask_b32_e32 v5, 0, v5, vcc
	v_cmp_nlt_f32_e32 vcc, s26, v4
	s_nop 1
	v_cndmask_b32_e32 v4, v49, v5, vcc
	v_add_f32_e32 v4, 1.0, v4
	v_rcp_f32_e32 v4, v4
	s_nop 0
	v_fma_f32 v4, v4, -2.0, 1.0
.LBB63_18:                              ;   in Loop: Header=BB63_12 Depth=1
	s_andn2_saveexec_b64 s[6:7], s[6:7]
; %bb.19:                               ;   in Loop: Header=BB63_12 Depth=1
	v_mul_f32_e32 v4, v56, v56
	v_fmamk_f32 v5, v4, 0xbbbac73d, v48
	v_fmaak_f32 v5, v4, v5, 0xbd5c1c4e
	v_fmaak_f32 v5, v4, v5, 0x3e088382
	;; [unrolled: 1-line block ×3, first 2 shown]
	v_mul_f32_e64 v5, |v56|, v5
	v_fma_f32 v4, v4, v5, |v56|
; %bb.20:                               ;   in Loop: Header=BB63_12 Depth=1
	s_or_b64 exec, exec, s[6:7]
	global_load_ushort v64, v[0:1], off offset:64
	v_and_b32_e32 v1, 0x60, v21
	v_bfi_b32 v0, s27, v3, v32
	v_xor_b32_e32 v57, 8, v21
	v_bfi_b32 v32, s27, v4, v56
	s_mul_hi_i32 s7, s2, s11
	s_mul_i32 s6, s2, s11
	v_add_u32_e32 v56, 32, v1
	v_xor_b32_e32 v58, 16, v21
	s_lshl_b64 s[6:7], s[6:7], 2
	v_cmp_lt_i32_e32 vcc, v57, v56
	s_waitcnt vmcnt(1)
	v_fma_mix_f32 v74, s10, v0, v2 op_sel_hi:[0,0,1]
	s_add_u32 s6, s8, s6
	v_cndmask_b32_e32 v0, v21, v57, vcc
	v_cmp_lt_i32_e32 vcc, v58, v56
	s_addc_u32 s7, s9, s7
	v_lshlrev_b32_e32 v67, 2, v0
	v_cndmask_b32_e32 v1, v21, v58, vcc
	v_lshlrev_b32_e32 v66, 2, v1
	v_lshl_add_u64 v[0:1], s[6:7], 0, v[24:25]
	v_add_f32_e32 v65, 0x40051340, v74
	v_lshl_add_u64 v[60:61], v[0:1], 0, v[10:11]
	v_lshl_add_u64 v[2:3], s[6:7], 0, v[26:27]
	;; [unrolled: 1-line block ×4, first 2 shown]
	s_barrier
	v_lshl_add_u64 v[62:63], v[2:3], 0, v[10:11]
	v_lshl_add_u64 v[70:71], v[4:5], 0, v[10:11]
	v_lshl_add_u64 v[72:73], v[6:7], 0, v[10:11]
	v_xor_b32_e32 v59, 4, v21
	v_cmp_lt_i32_e32 vcc, v59, v56
	v_add_u32_e32 v105, 0x800, v33
	v_add_u32_e32 v106, 0x1000, v33
	;; [unrolled: 1-line block ×6, first 2 shown]
	s_or_b32 s6, s2, 32
	s_mul_hi_i32 s7, s6, s11
	s_mul_i32 s6, s6, s11
	s_lshl_b64 s[6:7], s[6:7], 2
	s_add_u32 s6, s8, s6
	s_addc_u32 s7, s9, s7
	v_add_u32_e32 v114, 0x3800, v33
	s_waitcnt vmcnt(0)
	v_fma_mix_f32 v75, s10, v32, v64 op_sel_hi:[0,0,1]
	v_add_f32_e32 v0, 0x40051340, v75
	v_max3_f32 v32, v55, v65, v0
	ds_bpermute_b32 v64, v66, v32
	global_load_dwordx4 v[0:3], v[60:61], off
	global_load_dwordx4 v[4:7], v[62:63], off
	v_cndmask_b32_e32 v61, v21, v59, vcc
	v_lshlrev_b32_e32 v61, 2, v61
	s_waitcnt lgkmcnt(0)
	v_max_f32_e32 v60, v64, v64
	v_max_f32_e32 v32, v32, v60
	ds_bpermute_b32 v60, v67, v32
	global_load_dwordx4 v[62:65], v[70:71], off
	global_load_dwordx4 v[66:69], v[72:73], off
	s_waitcnt lgkmcnt(0)
	v_max_f32_e32 v60, v60, v60
	v_max_f32_e32 v32, v32, v60
	ds_bpermute_b32 v61, v61, v32
	v_xor_b32_e32 v60, 2, v21
	v_cmp_lt_i32_e32 vcc, v60, v56
	s_waitcnt lgkmcnt(0)
	v_max_f32_e32 v61, v61, v61
	v_cndmask_b32_e32 v70, v21, v60, vcc
	v_lshlrev_b32_e32 v70, 2, v70
	v_max_f32_e32 v32, v32, v61
	ds_bpermute_b32 v70, v70, v32
	v_xor_b32_e32 v61, 1, v21
	v_cmp_lt_i32_e32 vcc, v61, v56
	s_waitcnt lgkmcnt(0)
	v_max_f32_e32 v70, v70, v70
	v_cndmask_b32_e32 v71, v21, v61, vcc
	v_lshlrev_b32_e32 v71, 2, v71
	v_max_f32_e32 v32, v32, v70
	ds_bpermute_b32 v70, v71, v32
	s_waitcnt lgkmcnt(0)
	v_max_f32_e32 v70, v70, v70
	v_max_f32_e32 v32, v32, v70
	v_sub_f32_e32 v70, v74, v32
	v_sub_f32_e32 v71, v75, v32
	v_mul_f32_e32 v72, 0x3fb8aa3b, v70
	v_sub_f32_e32 v55, v55, v32
	v_mul_f32_e32 v73, 0x3fb8aa3b, v71
	v_fma_f32 v75, v70, s24, -v72
	v_rndne_f32_e32 v76, v72
	v_mul_f32_e32 v74, 0x3fb8aa3b, v55
	v_fma_f32 v77, v71, s24, -v73
	v_rndne_f32_e32 v78, v73
	v_fmac_f32_e32 v75, 0x32a5705f, v70
	v_sub_f32_e32 v72, v72, v76
	v_fma_f32 v79, v55, s24, -v74
	v_rndne_f32_e32 v80, v74
	v_fmac_f32_e32 v77, 0x32a5705f, v71
	v_sub_f32_e32 v73, v73, v78
	v_add_f32_e32 v72, v72, v75
	v_cvt_i32_f32_e32 v76, v76
	v_fmac_f32_e32 v79, 0x32a5705f, v55
	v_sub_f32_e32 v74, v74, v80
	v_add_f32_e32 v73, v73, v77
	v_exp_f32_e32 v72, v72
	v_cvt_i32_f32_e32 v78, v78
	v_add_f32_e32 v74, v74, v79
	v_exp_f32_e32 v73, v73
	v_cvt_i32_f32_e32 v80, v80
	v_exp_f32_e32 v74, v74
	v_ldexp_f32 v72, v72, v76
	v_cmp_ngt_f32_e32 vcc, s25, v70
	v_ldexp_f32 v73, v73, v78
	v_ldexp_f32 v74, v74, v80
	v_cndmask_b32_e32 v72, 0, v72, vcc
	v_cmp_ngt_f32_e32 vcc, s25, v71
	s_nop 1
	v_cndmask_b32_e32 v73, 0, v73, vcc
	v_cmp_ngt_f32_e32 vcc, s25, v55
	s_nop 1
	v_cndmask_b32_e32 v74, 0, v74, vcc
	v_cmp_nlt_f32_e32 vcc, s26, v70
	s_nop 1
	v_cndmask_b32_e32 v102, v49, v72, vcc
	v_cmp_nlt_f32_e32 vcc, s26, v71
	v_cvt_f16_f32_e32 v70, v102
	s_nop 0
	v_cndmask_b32_e32 v103, v49, v73, vcc
	v_cmp_nlt_f32_e32 vcc, s26, v55
	v_cvt_f16_f32_e32 v71, v103
	ds_write_b16 v43, v70
	ds_write_b16 v43, v71 offset:64
	s_waitcnt vmcnt(3)
	ds_write_b128 v44, v[0:3]
	s_waitcnt vmcnt(2)
	ds_write_b128 v45, v[4:7]
	;; [unrolled: 2-line block ×4, first 2 shown]
	v_cndmask_b32_e32 v104, v49, v74, vcc
	v_cvt_f16_f32_e32 v55, v104
	s_waitcnt lgkmcnt(0)
	s_barrier
	ds_read2_b64 v[62:65], v33 offset1:32
	ds_read_b128 v[66:69], v42
	ds_read_b128 v[70:73], v42 offset:16
	ds_read_b128 v[4:7], v42 offset:32
	;; [unrolled: 1-line block ×3, first 2 shown]
	ds_read2_b64 v[74:77], v33 offset0:64 offset1:96
	ds_read2_b64 v[78:81], v33 offset0:128 offset1:160
	;; [unrolled: 1-line block ×3, first 2 shown]
	s_waitcnt lgkmcnt(6)
	v_mul_u32_u24_sdwa v86, v66, s34 dst_sel:DWORD dst_unused:UNUSED_PAD src0_sel:WORD_0 src1_sel:DWORD
	v_mul_u32_u24_e32 v55, 0x10001, v55
	v_pk_mul_f16 v62, v62, v86
	v_pk_mul_f16 v52, v52, v55
	v_mul_u32_u24_sdwa v66, v66, s34 dst_sel:DWORD dst_unused:UNUSED_PAD src0_sel:WORD_1 src1_sel:DWORD
	v_pk_mul_f16 v63, v63, v86
	v_pk_fma_f16 v54, v54, v55, v62
	v_mul_u32_u24_sdwa v87, v67, s34 dst_sel:DWORD dst_unused:UNUSED_PAD src0_sel:WORD_0 src1_sel:DWORD
	v_pk_fma_f16 v52, v64, v86, v52
	v_pk_fma_f16 v53, v53, v55, v63
	s_waitcnt lgkmcnt(2)
	v_pk_fma_f16 v54, v74, v66, v54
	v_pk_mul_f16 v51, v51, v55
	v_pk_fma_f16 v52, v76, v66, v52
	v_pk_fma_f16 v53, v75, v66, v53
	s_waitcnt lgkmcnt(1)
	v_pk_fma_f16 v54, v78, v87, v54
	v_mul_u32_u24_sdwa v64, v67, s34 dst_sel:DWORD dst_unused:UNUSED_PAD src0_sel:WORD_1 src1_sel:DWORD
	v_pk_fma_f16 v51, v65, v86, v51
	v_pk_fma_f16 v62, v79, v87, v53
	;; [unrolled: 1-line block ×3, first 2 shown]
	s_waitcnt lgkmcnt(0)
	v_pk_fma_f16 v65, v82, v64, v54
	ds_read2_b64 v[52:55], v105 offset1:32
	v_pk_fma_f16 v51, v77, v66, v51
	v_mul_u32_u24_sdwa v74, v68, s34 dst_sel:DWORD dst_unused:UNUSED_PAD src0_sel:WORD_0 src1_sel:DWORD
	v_pk_fma_f16 v51, v81, v87, v51
	v_pk_fma_f16 v66, v83, v64, v62
	v_pk_fma_f16 v67, v84, v64, v63
	v_pk_fma_f16 v51, v85, v64, v51
	s_waitcnt lgkmcnt(0)
	v_pk_fma_f16 v52, v52, v74, v65
	ds_read2_b64 v[62:65], v105 offset0:64 offset1:96
	v_mul_u32_u24_sdwa v68, v68, s34 dst_sel:DWORD dst_unused:UNUSED_PAD src0_sel:WORD_1 src1_sel:DWORD
	v_pk_fma_f16 v66, v53, v74, v66
	v_pk_fma_f16 v67, v54, v74, v67
	;; [unrolled: 1-line block ×3, first 2 shown]
	s_waitcnt lgkmcnt(0)
	v_pk_fma_f16 v62, v62, v68, v52
	ds_read2_b64 v[52:55], v105 offset0:128 offset1:160
	v_pk_fma_f16 v66, v63, v68, v66
	v_pk_fma_f16 v67, v64, v68, v67
	;; [unrolled: 1-line block ×3, first 2 shown]
	v_mul_u32_u24_sdwa v68, v69, s34 dst_sel:DWORD dst_unused:UNUSED_PAD src0_sel:WORD_0 src1_sel:DWORD
	s_waitcnt lgkmcnt(0)
	v_pk_fma_f16 v52, v52, v68, v62
	ds_read2_b64 v[62:65], v105 offset0:192 offset1:224
	v_pk_fma_f16 v66, v53, v68, v66
	v_pk_fma_f16 v67, v54, v68, v67
	;; [unrolled: 1-line block ×3, first 2 shown]
	v_mul_u32_u24_sdwa v68, v69, s34 dst_sel:DWORD dst_unused:UNUSED_PAD src0_sel:WORD_1 src1_sel:DWORD
	s_waitcnt lgkmcnt(0)
	v_pk_fma_f16 v62, v62, v68, v52
	ds_read2_b64 v[52:55], v106 offset1:32
	v_pk_fma_f16 v66, v63, v68, v66
	v_pk_fma_f16 v67, v64, v68, v67
	;; [unrolled: 1-line block ×3, first 2 shown]
	v_mul_u32_u24_sdwa v68, v70, s34 dst_sel:DWORD dst_unused:UNUSED_PAD src0_sel:WORD_0 src1_sel:DWORD
	s_waitcnt lgkmcnt(0)
	v_pk_fma_f16 v52, v52, v68, v62
	ds_read2_b64 v[62:65], v106 offset0:64 offset1:96
	v_pk_fma_f16 v66, v53, v68, v66
	v_pk_fma_f16 v67, v54, v68, v67
	;; [unrolled: 1-line block ×3, first 2 shown]
	v_mul_u32_u24_sdwa v68, v70, s34 dst_sel:DWORD dst_unused:UNUSED_PAD src0_sel:WORD_1 src1_sel:DWORD
	s_waitcnt lgkmcnt(0)
	v_pk_fma_f16 v62, v62, v68, v52
	ds_read2_b64 v[52:55], v106 offset0:128 offset1:160
	v_pk_fma_f16 v66, v63, v68, v66
	v_pk_fma_f16 v67, v64, v68, v67
	;; [unrolled: 1-line block ×3, first 2 shown]
	v_mul_u32_u24_sdwa v68, v71, s34 dst_sel:DWORD dst_unused:UNUSED_PAD src0_sel:WORD_0 src1_sel:DWORD
	s_waitcnt lgkmcnt(0)
	v_pk_fma_f16 v52, v52, v68, v62
	ds_read2_b64 v[62:65], v106 offset0:192 offset1:224
	v_pk_fma_f16 v66, v53, v68, v66
	v_pk_fma_f16 v67, v54, v68, v67
	;; [unrolled: 1-line block ×3, first 2 shown]
	v_mul_u32_u24_sdwa v68, v71, s34 dst_sel:DWORD dst_unused:UNUSED_PAD src0_sel:WORD_1 src1_sel:DWORD
	s_waitcnt lgkmcnt(0)
	v_pk_fma_f16 v62, v62, v68, v52
	ds_read2_b64 v[52:55], v107 offset1:32
	v_pk_fma_f16 v66, v63, v68, v66
	v_pk_fma_f16 v67, v64, v68, v67
	;; [unrolled: 1-line block ×3, first 2 shown]
	v_mul_u32_u24_sdwa v68, v72, s34 dst_sel:DWORD dst_unused:UNUSED_PAD src0_sel:WORD_0 src1_sel:DWORD
	s_waitcnt lgkmcnt(0)
	v_pk_fma_f16 v52, v52, v68, v62
	ds_read2_b64 v[62:65], v107 offset0:64 offset1:96
	v_pk_fma_f16 v66, v53, v68, v66
	v_pk_fma_f16 v67, v54, v68, v67
	;; [unrolled: 1-line block ×3, first 2 shown]
	v_mul_u32_u24_sdwa v68, v72, s34 dst_sel:DWORD dst_unused:UNUSED_PAD src0_sel:WORD_1 src1_sel:DWORD
	s_waitcnt lgkmcnt(0)
	v_pk_fma_f16 v62, v62, v68, v52
	ds_read2_b64 v[52:55], v107 offset0:128 offset1:160
	v_pk_fma_f16 v66, v63, v68, v66
	v_pk_fma_f16 v67, v64, v68, v67
	;; [unrolled: 1-line block ×3, first 2 shown]
	v_mul_u32_u24_sdwa v68, v73, s34 dst_sel:DWORD dst_unused:UNUSED_PAD src0_sel:WORD_0 src1_sel:DWORD
	s_waitcnt lgkmcnt(0)
	v_pk_fma_f16 v52, v52, v68, v62
	ds_read2_b64 v[62:65], v107 offset0:192 offset1:224
	v_pk_fma_f16 v66, v53, v68, v66
	v_pk_fma_f16 v67, v54, v68, v67
	;; [unrolled: 1-line block ×3, first 2 shown]
	v_mul_u32_u24_sdwa v68, v73, s34 dst_sel:DWORD dst_unused:UNUSED_PAD src0_sel:WORD_1 src1_sel:DWORD
	s_waitcnt lgkmcnt(0)
	v_pk_fma_f16 v62, v62, v68, v52
	ds_read2_b64 v[52:55], v108 offset1:32
	v_pk_fma_f16 v66, v63, v68, v66
	v_pk_fma_f16 v67, v64, v68, v67
	;; [unrolled: 1-line block ×3, first 2 shown]
	v_mul_u32_u24_sdwa v68, v4, s34 dst_sel:DWORD dst_unused:UNUSED_PAD src0_sel:WORD_0 src1_sel:DWORD
	s_waitcnt lgkmcnt(0)
	v_pk_fma_f16 v52, v52, v68, v62
	ds_read2_b64 v[62:65], v108 offset0:64 offset1:96
	v_mul_u32_u24_sdwa v4, v4, s34 dst_sel:DWORD dst_unused:UNUSED_PAD src0_sel:WORD_1 src1_sel:DWORD
	v_pk_fma_f16 v66, v53, v68, v66
	v_pk_fma_f16 v67, v54, v68, v67
	;; [unrolled: 1-line block ×3, first 2 shown]
	s_waitcnt lgkmcnt(0)
	v_pk_fma_f16 v62, v62, v4, v52
	ds_read2_b64 v[52:55], v108 offset0:128 offset1:160
	v_pk_fma_f16 v66, v63, v4, v66
	v_pk_fma_f16 v67, v64, v4, v67
	;; [unrolled: 1-line block ×3, first 2 shown]
	v_mul_u32_u24_sdwa v51, v5, s34 dst_sel:DWORD dst_unused:UNUSED_PAD src0_sel:WORD_0 src1_sel:DWORD
	s_waitcnt lgkmcnt(0)
	v_pk_fma_f16 v52, v52, v51, v62
	ds_read2_b64 v[62:65], v108 offset0:192 offset1:224
	v_mul_u32_u24_sdwa v5, v5, s34 dst_sel:DWORD dst_unused:UNUSED_PAD src0_sel:WORD_1 src1_sel:DWORD
	v_pk_fma_f16 v66, v53, v51, v66
	v_pk_fma_f16 v67, v54, v51, v67
	;; [unrolled: 1-line block ×3, first 2 shown]
	s_waitcnt lgkmcnt(0)
	v_pk_fma_f16 v51, v62, v5, v52
	ds_read2_b64 v[52:55], v109 offset1:32
	v_pk_fma_f16 v66, v63, v5, v66
	v_pk_fma_f16 v67, v64, v5, v67
	;; [unrolled: 1-line block ×3, first 2 shown]
	ds_read2_b64 v[62:65], v109 offset0:64 offset1:96
	v_mul_u32_u24_sdwa v5, v6, s34 dst_sel:DWORD dst_unused:UNUSED_PAD src0_sel:WORD_0 src1_sel:DWORD
	s_waitcnt lgkmcnt(1)
	v_pk_fma_f16 v51, v52, v5, v51
	v_pk_fma_f16 v66, v53, v5, v66
	;; [unrolled: 1-line block ×4, first 2 shown]
	v_mul_u32_u24_sdwa v5, v6, s34 dst_sel:DWORD dst_unused:UNUSED_PAD src0_sel:WORD_1 src1_sel:DWORD
	ds_read2_b64 v[52:55], v109 offset0:128 offset1:160
	s_waitcnt lgkmcnt(1)
	v_pk_fma_f16 v6, v62, v5, v51
	v_pk_fma_f16 v51, v63, v5, v66
	;; [unrolled: 1-line block ×4, first 2 shown]
	ds_read2_b64 v[62:65], v109 offset0:192 offset1:224
	v_mul_u32_u24_sdwa v5, v7, s34 dst_sel:DWORD dst_unused:UNUSED_PAD src0_sel:WORD_0 src1_sel:DWORD
	s_waitcnt lgkmcnt(1)
	v_pk_fma_f16 v6, v52, v5, v6
	v_pk_fma_f16 v52, v54, v5, v66
	v_mul_u32_u24_sdwa v54, v7, s34 dst_sel:DWORD dst_unused:UNUSED_PAD src0_sel:WORD_1 src1_sel:DWORD
	v_pk_fma_f16 v51, v53, v5, v51
	v_pk_fma_f16 v53, v55, v5, v4
	s_waitcnt lgkmcnt(0)
	v_pk_fma_f16 v55, v62, v54, v6
	ds_read2_b64 v[4:7], v110 offset1:32
	v_pk_fma_f16 v51, v63, v54, v51
	v_pk_fma_f16 v62, v64, v54, v52
	;; [unrolled: 1-line block ×3, first 2 shown]
	v_mul_u32_u24_sdwa v64, v0, s34 dst_sel:DWORD dst_unused:UNUSED_PAD src0_sel:WORD_0 src1_sel:DWORD
	s_waitcnt lgkmcnt(0)
	v_pk_fma_f16 v112, v6, v64, v62
	v_pk_fma_f16 v113, v7, v64, v63
	v_lshl_add_u64 v[62:63], s[6:7], 0, v[24:25]
	v_lshl_add_u64 v[62:63], v[62:63], 0, v[10:11]
	;; [unrolled: 1-line block ×3, first 2 shown]
	v_pk_fma_f16 v111, v4, v64, v55
	ds_read2_b64 v[52:55], v110 offset0:64 offset1:96
	v_pk_fma_f16 v51, v5, v64, v51
	ds_read2_b64 v[4:7], v110 offset0:128 offset1:160
	ds_read2_b64 v[64:67], v110 offset0:192 offset1:224
	ds_read2_b64 v[68:71], v114 offset1:32
	ds_read2_b64 v[72:75], v114 offset0:64 offset1:96
	ds_read2_b64 v[76:79], v114 offset0:128 offset1:160
	;; [unrolled: 1-line block ×3, first 2 shown]
	s_waitcnt lgkmcnt(0)
	s_barrier
	v_lshl_add_u64 v[92:93], v[84:85], 0, v[10:11]
	global_load_dwordx4 v[84:87], v[62:63], off
	global_load_dwordx4 v[88:91], v[92:93], off
	v_lshl_add_u64 v[62:63], s[6:7], 0, v[28:29]
	v_lshl_add_u64 v[62:63], v[62:63], 0, v[10:11]
	;; [unrolled: 1-line block ×4, first 2 shown]
	global_load_dwordx4 v[92:95], v[62:63], off
	global_load_dwordx4 v[96:99], v[100:101], off
	v_mul_u32_u24_sdwa v0, v0, s34 dst_sel:DWORD dst_unused:UNUSED_PAD src0_sel:WORD_1 src1_sel:DWORD
	v_pk_fma_f16 v52, v52, v0, v111
	v_pk_fma_f16 v51, v53, v0, v51
	;; [unrolled: 1-line block ×4, first 2 shown]
	v_mul_u32_u24_sdwa v54, v1, s34 dst_sel:DWORD dst_unused:UNUSED_PAD src0_sel:WORD_0 src1_sel:DWORD
	v_pk_fma_f16 v4, v4, v54, v52
	v_pk_fma_f16 v5, v5, v54, v51
	;; [unrolled: 1-line block ×4, first 2 shown]
	v_mul_u32_u24_sdwa v1, v1, s34 dst_sel:DWORD dst_unused:UNUSED_PAD src0_sel:WORD_1 src1_sel:DWORD
	v_pk_fma_f16 v4, v64, v1, v4
	v_pk_fma_f16 v5, v65, v1, v5
	;; [unrolled: 1-line block ×4, first 2 shown]
	v_mul_u32_u24_sdwa v1, v2, s34 dst_sel:DWORD dst_unused:UNUSED_PAD src0_sel:WORD_0 src1_sel:DWORD
	v_pk_fma_f16 v4, v68, v1, v4
	v_pk_fma_f16 v5, v69, v1, v5
	;; [unrolled: 1-line block ×4, first 2 shown]
	v_mul_u32_u24_sdwa v1, v2, s34 dst_sel:DWORD dst_unused:UNUSED_PAD src0_sel:WORD_1 src1_sel:DWORD
	v_pk_fma_f16 v2, v72, v1, v4
	v_pk_fma_f16 v4, v73, v1, v5
	;; [unrolled: 1-line block ×4, first 2 shown]
	v_mul_u32_u24_sdwa v1, v3, s34 dst_sel:DWORD dst_unused:UNUSED_PAD src0_sel:WORD_0 src1_sel:DWORD
	v_add_f32_e32 v62, v102, v103
	v_pk_fma_f16 v2, v76, v1, v2
	v_pk_fma_f16 v4, v77, v1, v4
	;; [unrolled: 1-line block ×4, first 2 shown]
	v_mul_u32_u24_sdwa v1, v3, s34 dst_sel:DWORD dst_unused:UNUSED_PAD src0_sel:WORD_1 src1_sel:DWORD
	v_fmac_f32_e32 v62, v50, v104
	v_pk_fma_f16 v54, v80, v1, v2
	v_pk_fma_f16 v55, v81, v1, v4
	;; [unrolled: 1-line block ×4, first 2 shown]
	s_waitcnt vmcnt(3)
	ds_write_b128 v44, v[84:87]
	s_waitcnt vmcnt(2)
	ds_write_b128 v45, v[88:91]
	;; [unrolled: 2-line block ×4, first 2 shown]
	s_waitcnt lgkmcnt(0)
	s_barrier
	ds_read_b128 v[50:53], v42 offset:64
	ds_read2_b64 v[64:67], v33 offset1:32
	ds_read_b128 v[68:71], v42 offset:80
	ds_read_b128 v[4:7], v42 offset:96
	;; [unrolled: 1-line block ×3, first 2 shown]
	ds_read2_b64 v[72:75], v33 offset0:64 offset1:96
	s_waitcnt lgkmcnt(5)
	v_mul_u32_u24_sdwa v77, v50, s34 dst_sel:DWORD dst_unused:UNUSED_PAD src0_sel:WORD_0 src1_sel:DWORD
	s_waitcnt lgkmcnt(4)
	v_pk_fma_f16 v54, v64, v77, v54
	v_pk_fma_f16 v55, v65, v77, v55
	;; [unrolled: 1-line block ×4, first 2 shown]
	v_mul_u32_u24_sdwa v50, v50, s34 dst_sel:DWORD dst_unused:UNUSED_PAD src0_sel:WORD_1 src1_sel:DWORD
	ds_read2_b64 v[64:67], v33 offset0:128 offset1:160
	s_waitcnt lgkmcnt(1)
	v_pk_fma_f16 v54, v72, v50, v54
	v_pk_fma_f16 v55, v73, v50, v55
	;; [unrolled: 1-line block ×4, first 2 shown]
	ds_read2_b64 v[72:75], v33 offset0:192 offset1:224
	v_mul_u32_u24_sdwa v76, v51, s34 dst_sel:DWORD dst_unused:UNUSED_PAD src0_sel:WORD_0 src1_sel:DWORD
	s_waitcnt lgkmcnt(1)
	v_pk_fma_f16 v54, v64, v76, v54
	v_pk_fma_f16 v55, v65, v76, v55
	;; [unrolled: 1-line block ×4, first 2 shown]
	v_mul_u32_u24_sdwa v51, v51, s34 dst_sel:DWORD dst_unused:UNUSED_PAD src0_sel:WORD_1 src1_sel:DWORD
	ds_read2_b64 v[64:67], v105 offset1:32
	s_waitcnt lgkmcnt(1)
	v_pk_fma_f16 v54, v72, v51, v54
	v_pk_fma_f16 v55, v73, v51, v55
	;; [unrolled: 1-line block ×4, first 2 shown]
	ds_read2_b64 v[72:75], v105 offset0:64 offset1:96
	v_mul_u32_u24_sdwa v51, v52, s34 dst_sel:DWORD dst_unused:UNUSED_PAD src0_sel:WORD_0 src1_sel:DWORD
	s_waitcnt lgkmcnt(1)
	v_pk_fma_f16 v54, v64, v51, v54
	v_pk_fma_f16 v55, v65, v51, v55
	;; [unrolled: 1-line block ×4, first 2 shown]
	v_mul_u32_u24_sdwa v51, v52, s34 dst_sel:DWORD dst_unused:UNUSED_PAD src0_sel:WORD_1 src1_sel:DWORD
	ds_read2_b64 v[64:67], v105 offset0:128 offset1:160
	s_waitcnt lgkmcnt(1)
	v_pk_fma_f16 v52, v72, v51, v54
	v_pk_fma_f16 v54, v73, v51, v55
	;; [unrolled: 1-line block ×4, first 2 shown]
	ds_read2_b64 v[72:75], v105 offset0:192 offset1:224
	v_mul_u32_u24_sdwa v51, v53, s34 dst_sel:DWORD dst_unused:UNUSED_PAD src0_sel:WORD_0 src1_sel:DWORD
	s_waitcnt lgkmcnt(1)
	v_pk_fma_f16 v52, v64, v51, v52
	v_mul_u32_u24_sdwa v64, v53, s34 dst_sel:DWORD dst_unused:UNUSED_PAD src0_sel:WORD_1 src1_sel:DWORD
	v_pk_fma_f16 v54, v65, v51, v54
	v_pk_fma_f16 v55, v66, v51, v55
	;; [unrolled: 1-line block ×3, first 2 shown]
	s_waitcnt lgkmcnt(0)
	v_pk_fma_f16 v65, v72, v64, v52
	ds_read2_b64 v[50:53], v106 offset1:32
	v_mul_u32_u24_sdwa v72, v68, s34 dst_sel:DWORD dst_unused:UNUSED_PAD src0_sel:WORD_0 src1_sel:DWORD
	v_pk_fma_f16 v54, v73, v64, v54
	v_pk_fma_f16 v55, v74, v64, v55
	;; [unrolled: 1-line block ×3, first 2 shown]
	s_waitcnt lgkmcnt(0)
	v_pk_fma_f16 v50, v50, v72, v65
	ds_read2_b64 v[64:67], v106 offset0:64 offset1:96
	v_mul_u32_u24_sdwa v68, v68, s34 dst_sel:DWORD dst_unused:UNUSED_PAD src0_sel:WORD_1 src1_sel:DWORD
	v_pk_fma_f16 v54, v51, v72, v54
	v_pk_fma_f16 v55, v52, v72, v55
	;; [unrolled: 1-line block ×3, first 2 shown]
	s_waitcnt lgkmcnt(0)
	v_pk_fma_f16 v64, v64, v68, v50
	ds_read2_b64 v[50:53], v106 offset0:128 offset1:160
	v_pk_fma_f16 v54, v65, v68, v54
	v_pk_fma_f16 v55, v66, v68, v55
	;; [unrolled: 1-line block ×3, first 2 shown]
	v_mul_u32_u24_sdwa v68, v69, s34 dst_sel:DWORD dst_unused:UNUSED_PAD src0_sel:WORD_0 src1_sel:DWORD
	s_waitcnt lgkmcnt(0)
	v_pk_fma_f16 v50, v50, v68, v64
	ds_read2_b64 v[64:67], v106 offset0:192 offset1:224
	v_pk_fma_f16 v54, v51, v68, v54
	v_pk_fma_f16 v55, v52, v68, v55
	;; [unrolled: 1-line block ×3, first 2 shown]
	v_mul_u32_u24_sdwa v68, v69, s34 dst_sel:DWORD dst_unused:UNUSED_PAD src0_sel:WORD_1 src1_sel:DWORD
	s_waitcnt lgkmcnt(0)
	v_pk_fma_f16 v64, v64, v68, v50
	ds_read2_b64 v[50:53], v107 offset1:32
	v_pk_fma_f16 v54, v65, v68, v54
	v_pk_fma_f16 v55, v66, v68, v55
	;; [unrolled: 1-line block ×3, first 2 shown]
	v_mul_u32_u24_sdwa v68, v70, s34 dst_sel:DWORD dst_unused:UNUSED_PAD src0_sel:WORD_0 src1_sel:DWORD
	s_waitcnt lgkmcnt(0)
	v_pk_fma_f16 v50, v50, v68, v64
	ds_read2_b64 v[64:67], v107 offset0:64 offset1:96
	v_pk_fma_f16 v54, v51, v68, v54
	v_pk_fma_f16 v55, v52, v68, v55
	;; [unrolled: 1-line block ×3, first 2 shown]
	v_mul_u32_u24_sdwa v68, v70, s34 dst_sel:DWORD dst_unused:UNUSED_PAD src0_sel:WORD_1 src1_sel:DWORD
	s_waitcnt lgkmcnt(0)
	v_pk_fma_f16 v64, v64, v68, v50
	ds_read2_b64 v[50:53], v107 offset0:128 offset1:160
	v_pk_fma_f16 v54, v65, v68, v54
	v_pk_fma_f16 v55, v66, v68, v55
	;; [unrolled: 1-line block ×3, first 2 shown]
	v_mul_u32_u24_sdwa v68, v71, s34 dst_sel:DWORD dst_unused:UNUSED_PAD src0_sel:WORD_0 src1_sel:DWORD
	s_waitcnt lgkmcnt(0)
	v_pk_fma_f16 v50, v50, v68, v64
	ds_read2_b64 v[64:67], v107 offset0:192 offset1:224
	v_pk_fma_f16 v54, v51, v68, v54
	v_pk_fma_f16 v55, v52, v68, v55
	;; [unrolled: 1-line block ×3, first 2 shown]
	v_mul_u32_u24_sdwa v68, v71, s34 dst_sel:DWORD dst_unused:UNUSED_PAD src0_sel:WORD_1 src1_sel:DWORD
	s_waitcnt lgkmcnt(0)
	v_pk_fma_f16 v64, v64, v68, v50
	ds_read2_b64 v[50:53], v108 offset1:32
	v_pk_fma_f16 v54, v65, v68, v54
	v_pk_fma_f16 v55, v66, v68, v55
	;; [unrolled: 1-line block ×3, first 2 shown]
	v_mul_u32_u24_sdwa v68, v4, s34 dst_sel:DWORD dst_unused:UNUSED_PAD src0_sel:WORD_0 src1_sel:DWORD
	s_waitcnt lgkmcnt(0)
	v_pk_fma_f16 v50, v50, v68, v64
	ds_read2_b64 v[64:67], v108 offset0:64 offset1:96
	v_mul_u32_u24_sdwa v4, v4, s34 dst_sel:DWORD dst_unused:UNUSED_PAD src0_sel:WORD_1 src1_sel:DWORD
	v_pk_fma_f16 v54, v51, v68, v54
	v_pk_fma_f16 v55, v52, v68, v55
	;; [unrolled: 1-line block ×3, first 2 shown]
	s_waitcnt lgkmcnt(0)
	v_pk_fma_f16 v64, v64, v4, v50
	ds_read2_b64 v[50:53], v108 offset0:128 offset1:160
	v_pk_fma_f16 v54, v65, v4, v54
	v_pk_fma_f16 v55, v66, v4, v55
	;; [unrolled: 1-line block ×3, first 2 shown]
	v_mul_u32_u24_sdwa v63, v5, s34 dst_sel:DWORD dst_unused:UNUSED_PAD src0_sel:WORD_0 src1_sel:DWORD
	s_waitcnt lgkmcnt(0)
	v_pk_fma_f16 v50, v50, v63, v64
	ds_read2_b64 v[64:67], v108 offset0:192 offset1:224
	v_mul_u32_u24_sdwa v5, v5, s34 dst_sel:DWORD dst_unused:UNUSED_PAD src0_sel:WORD_1 src1_sel:DWORD
	v_pk_fma_f16 v54, v51, v63, v54
	v_pk_fma_f16 v55, v52, v63, v55
	;; [unrolled: 1-line block ×3, first 2 shown]
	s_waitcnt lgkmcnt(0)
	v_pk_fma_f16 v63, v64, v5, v50
	ds_read2_b64 v[50:53], v109 offset1:32
	v_pk_fma_f16 v54, v65, v5, v54
	v_pk_fma_f16 v55, v66, v5, v55
	;; [unrolled: 1-line block ×3, first 2 shown]
	ds_read2_b64 v[64:67], v109 offset0:64 offset1:96
	v_mul_u32_u24_sdwa v5, v6, s34 dst_sel:DWORD dst_unused:UNUSED_PAD src0_sel:WORD_0 src1_sel:DWORD
	s_waitcnt lgkmcnt(1)
	v_pk_fma_f16 v50, v50, v5, v63
	v_pk_fma_f16 v54, v51, v5, v54
	;; [unrolled: 1-line block ×4, first 2 shown]
	v_mul_u32_u24_sdwa v5, v6, s34 dst_sel:DWORD dst_unused:UNUSED_PAD src0_sel:WORD_1 src1_sel:DWORD
	s_waitcnt lgkmcnt(0)
	v_pk_fma_f16 v6, v64, v5, v50
	ds_read2_b64 v[50:53], v109 offset0:128 offset1:160
	v_pk_fma_f16 v54, v65, v5, v54
	v_pk_fma_f16 v55, v66, v5, v55
	;; [unrolled: 1-line block ×3, first 2 shown]
	ds_read2_b64 v[64:67], v109 offset0:192 offset1:224
	v_mul_u32_u24_sdwa v5, v7, s34 dst_sel:DWORD dst_unused:UNUSED_PAD src0_sel:WORD_0 src1_sel:DWORD
	s_waitcnt lgkmcnt(1)
	v_pk_fma_f16 v6, v50, v5, v6
	v_pk_fma_f16 v50, v51, v5, v54
	;; [unrolled: 1-line block ×4, first 2 shown]
	v_mul_u32_u24_sdwa v53, v7, s34 dst_sel:DWORD dst_unused:UNUSED_PAD src0_sel:WORD_1 src1_sel:DWORD
	s_waitcnt lgkmcnt(0)
	v_pk_fma_f16 v54, v64, v53, v6
	ds_read2_b64 v[4:7], v110 offset1:32
	v_pk_fma_f16 v55, v65, v53, v50
	v_pk_fma_f16 v63, v66, v53, v51
	;; [unrolled: 1-line block ×3, first 2 shown]
	ds_read2_b64 v[50:53], v110 offset0:64 offset1:96
	v_mul_u32_u24_sdwa v65, v0, s34 dst_sel:DWORD dst_unused:UNUSED_PAD src0_sel:WORD_0 src1_sel:DWORD
	s_waitcnt lgkmcnt(1)
	v_pk_fma_f16 v4, v4, v65, v54
	v_mul_u32_u24_sdwa v0, v0, s34 dst_sel:DWORD dst_unused:UNUSED_PAD src0_sel:WORD_1 src1_sel:DWORD
	v_pk_fma_f16 v54, v5, v65, v55
	v_pk_fma_f16 v55, v6, v65, v63
	;; [unrolled: 1-line block ×3, first 2 shown]
	s_waitcnt lgkmcnt(0)
	v_pk_fma_f16 v50, v50, v0, v4
	ds_read2_b64 v[4:7], v110 offset0:128 offset1:160
	v_pk_fma_f16 v54, v51, v0, v54
	v_pk_fma_f16 v55, v52, v0, v55
	v_pk_fma_f16 v0, v53, v0, v63
	v_mul_u32_u24_sdwa v63, v1, s34 dst_sel:DWORD dst_unused:UNUSED_PAD src0_sel:WORD_0 src1_sel:DWORD
	s_waitcnt lgkmcnt(0)
	v_pk_fma_f16 v4, v4, v63, v50
	ds_read2_b64 v[50:53], v110 offset0:192 offset1:224
	v_mul_u32_u24_sdwa v1, v1, s34 dst_sel:DWORD dst_unused:UNUSED_PAD src0_sel:WORD_1 src1_sel:DWORD
	v_pk_fma_f16 v54, v5, v63, v54
	v_pk_fma_f16 v55, v6, v63, v55
	;; [unrolled: 1-line block ×3, first 2 shown]
	s_waitcnt lgkmcnt(0)
	v_pk_fma_f16 v50, v50, v1, v4
	ds_read2_b64 v[4:7], v114 offset1:32
	v_pk_fma_f16 v54, v51, v1, v54
	v_pk_fma_f16 v55, v52, v1, v55
	v_pk_fma_f16 v0, v53, v1, v0
	v_mul_u32_u24_sdwa v1, v2, s34 dst_sel:DWORD dst_unused:UNUSED_PAD src0_sel:WORD_0 src1_sel:DWORD
	s_waitcnt lgkmcnt(0)
	v_pk_fma_f16 v4, v4, v1, v50
	ds_read2_b64 v[50:53], v114 offset0:64 offset1:96
	v_pk_fma_f16 v54, v5, v1, v54
	v_pk_fma_f16 v55, v6, v1, v55
	;; [unrolled: 1-line block ×3, first 2 shown]
	v_mul_u32_u24_sdwa v1, v2, s34 dst_sel:DWORD dst_unused:UNUSED_PAD src0_sel:WORD_1 src1_sel:DWORD
	s_waitcnt lgkmcnt(0)
	v_pk_fma_f16 v2, v50, v1, v4
	ds_read2_b64 v[4:7], v114 offset0:128 offset1:160
	v_pk_fma_f16 v50, v51, v1, v54
	v_pk_fma_f16 v51, v52, v1, v55
	;; [unrolled: 1-line block ×3, first 2 shown]
	v_mul_u32_u24_sdwa v1, v3, s34 dst_sel:DWORD dst_unused:UNUSED_PAD src0_sel:WORD_0 src1_sel:DWORD
	s_waitcnt lgkmcnt(0)
	v_pk_fma_f16 v2, v4, v1, v2
	v_pk_fma_f16 v50, v5, v1, v50
	;; [unrolled: 1-line block ×4, first 2 shown]
	ds_read2_b64 v[4:7], v114 offset0:192 offset1:224
	s_waitcnt lgkmcnt(0)
	s_barrier
	s_load_dword s6, s[4:5], 0x4
	v_mul_u32_u24_sdwa v1, v3, s34 dst_sel:DWORD dst_unused:UNUSED_PAD src0_sel:WORD_1 src1_sel:DWORD
	v_pk_fma_f16 v54, v4, v1, v2
	v_pk_fma_f16 v53, v5, v1, v50
	v_pk_fma_f16 v52, v6, v1, v51
	s_waitcnt lgkmcnt(0)
	s_lshl_b32 s6, s6, 6
	s_add_i32 s2, s6, s2
	s_cmp_ge_i32 s2, s28
	v_pk_fma_f16 v51, v7, v1, v0
	s_cbranch_scc1 .LBB63_7
; %bb.21:                               ;   in Loop: Header=BB63_12 Depth=1
	v_mov_b32_e32 v55, v32
	v_mov_b32_e32 v50, v62
	s_branch .LBB63_12
.LBB63_22:
	v_mov_b32_e32 v1, v33
	v_cmp_gt_i32_e32 vcc, s22, v34
	s_and_saveexec_b64 s[4:5], vcc
	s_cbranch_execz .LBB63_9
.LBB63_23:
	s_load_dword s2, s[0:1], 0xd4
	v_div_scale_f32 v0, s[0:1], v1, v1, 1.0
	v_rcp_f32_e32 v2, v0
	s_mul_i32 s33, s33, s22
	s_waitcnt lgkmcnt(0)
	s_cmp_lg_u32 s2, 1
	s_cselect_b64 s[0:1], -1, 0
	v_fma_f32 v3, -v0, v2, 1.0
	v_fmac_f32_e32 v2, v3, v2
	v_div_scale_f32 v3, vcc, 1.0, v1, 1.0
	v_mul_f32_e32 v4, v3, v2
	v_fma_f32 v5, -v0, v4, v3
	v_fmac_f32_e32 v4, v5, v2
	v_fma_f32 v0, -v0, v4, v3
	v_div_fmas_f32 v0, v0, v2, v4
	v_div_fixup_f32 v0, v0, v1, 1.0
	v_cndmask_b32_e64 v6, v0, 1.0, s[0:1]
	v_add_u32_e32 v0, s33, v34
	v_mul_lo_u32 v0, v0, s23
	v_add3_u32 v0, s29, v9, v0
	v_cvt_f32_f16_sdwa v3, v54 dst_sel:DWORD dst_unused:UNUSED_PAD src0_sel:WORD_1
	v_cvt_f32_f16_e32 v2, v54
	v_cvt_f32_f16_sdwa v5, v53 dst_sel:DWORD dst_unused:UNUSED_PAD src0_sel:WORD_1
	v_cvt_f32_f16_e32 v4, v53
	v_mul_lo_u32 v0, s2, v0
	v_add_u32_e32 v0, s3, v0
	v_lshl_add_u32 v10, v0, 8, v35
	v_mov_b32_e32 v11, 0
	v_cmp_eq_u32_e32 vcc, 0, v8
	v_lshl_add_u64 v[8:9], v[10:11], 2, s[16:17]
	v_pk_mul_f32 v[2:3], v[6:7], v[2:3] op_sel_hi:[0,1]
	v_pk_mul_f32 v[4:5], v[6:7], v[4:5] op_sel_hi:[0,1]
	global_store_dwordx4 v[8:9], v[2:5], off
	v_add_u32_e32 v10, 0x80, v10
	s_and_b64 s[0:1], vcc, s[0:1]
	v_cvt_f32_f16_sdwa v3, v52 dst_sel:DWORD dst_unused:UNUSED_PAD src0_sel:WORD_1
	v_cvt_f32_f16_e32 v2, v52
	v_cvt_f32_f16_sdwa v5, v51 dst_sel:DWORD dst_unused:UNUSED_PAD src0_sel:WORD_1
	v_cvt_f32_f16_e32 v4, v51
	v_lshl_add_u64 v[8:9], v[10:11], 2, s[16:17]
	v_pk_mul_f32 v[2:3], v[6:7], v[2:3] op_sel_hi:[0,1]
	v_pk_mul_f32 v[4:5], v[6:7], v[4:5] op_sel_hi:[0,1]
	global_store_dwordx4 v[8:9], v[2:5], off
	s_and_b64 exec, exec, s[0:1]
	s_cbranch_execz .LBB63_9
; %bb.24:
	v_mov_b32_e32 v2, s18
	v_mov_b32_e32 v3, s19
	v_ashrrev_i32_e32 v1, 31, v0
	v_lshl_add_u64 v[0:1], v[0:1], 3, v[2:3]
	global_store_dwordx2 v[0:1], v[32:33], off
	s_endpgm
	.section	.rodata,"a",@progbits
	.p2align	6, 0x0
	.amdhsa_kernel _ZL15flash_attn_tileILi256ELi256ELi2ELi4ELb1EEvPKcS1_S1_S1_S1_PKiPfP15HIP_vector_typeIfLj2EEffffjfiS5_IjLj3EEiiiiiiiiiiiliiliiiiil
		.amdhsa_group_segment_fixed_size 22528
		.amdhsa_private_segment_fixed_size 0
		.amdhsa_kernarg_size 464
		.amdhsa_user_sgpr_count 2
		.amdhsa_user_sgpr_dispatch_ptr 0
		.amdhsa_user_sgpr_queue_ptr 0
		.amdhsa_user_sgpr_kernarg_segment_ptr 1
		.amdhsa_user_sgpr_dispatch_id 0
		.amdhsa_user_sgpr_kernarg_preload_length 0
		.amdhsa_user_sgpr_kernarg_preload_offset 0
		.amdhsa_user_sgpr_private_segment_size 0
		.amdhsa_uses_dynamic_stack 0
		.amdhsa_enable_private_segment 0
		.amdhsa_system_sgpr_workgroup_id_x 1
		.amdhsa_system_sgpr_workgroup_id_y 1
		.amdhsa_system_sgpr_workgroup_id_z 1
		.amdhsa_system_sgpr_workgroup_info 0
		.amdhsa_system_vgpr_workitem_id 1
		.amdhsa_next_free_vgpr 115
		.amdhsa_next_free_sgpr 75
		.amdhsa_accum_offset 116
		.amdhsa_reserve_vcc 1
		.amdhsa_float_round_mode_32 0
		.amdhsa_float_round_mode_16_64 0
		.amdhsa_float_denorm_mode_32 3
		.amdhsa_float_denorm_mode_16_64 3
		.amdhsa_dx10_clamp 1
		.amdhsa_ieee_mode 1
		.amdhsa_fp16_overflow 0
		.amdhsa_tg_split 0
		.amdhsa_exception_fp_ieee_invalid_op 0
		.amdhsa_exception_fp_denorm_src 0
		.amdhsa_exception_fp_ieee_div_zero 0
		.amdhsa_exception_fp_ieee_overflow 0
		.amdhsa_exception_fp_ieee_underflow 0
		.amdhsa_exception_fp_ieee_inexact 0
		.amdhsa_exception_int_div_zero 0
	.end_amdhsa_kernel
	.section	.text._ZL15flash_attn_tileILi256ELi256ELi2ELi4ELb1EEvPKcS1_S1_S1_S1_PKiPfP15HIP_vector_typeIfLj2EEffffjfiS5_IjLj3EEiiiiiiiiiiiliiliiiiil,"axG",@progbits,_ZL15flash_attn_tileILi256ELi256ELi2ELi4ELb1EEvPKcS1_S1_S1_S1_PKiPfP15HIP_vector_typeIfLj2EEffffjfiS5_IjLj3EEiiiiiiiiiiiliiliiiiil,comdat
.Lfunc_end63:
	.size	_ZL15flash_attn_tileILi256ELi256ELi2ELi4ELb1EEvPKcS1_S1_S1_S1_PKiPfP15HIP_vector_typeIfLj2EEffffjfiS5_IjLj3EEiiiiiiiiiiiliiliiiiil, .Lfunc_end63-_ZL15flash_attn_tileILi256ELi256ELi2ELi4ELb1EEvPKcS1_S1_S1_S1_PKiPfP15HIP_vector_typeIfLj2EEffffjfiS5_IjLj3EEiiiiiiiiiiiliiliiiiil
                                        ; -- End function
	.set _ZL15flash_attn_tileILi256ELi256ELi2ELi4ELb1EEvPKcS1_S1_S1_S1_PKiPfP15HIP_vector_typeIfLj2EEffffjfiS5_IjLj3EEiiiiiiiiiiiliiliiiiil.num_vgpr, 115
	.set _ZL15flash_attn_tileILi256ELi256ELi2ELi4ELb1EEvPKcS1_S1_S1_S1_PKiPfP15HIP_vector_typeIfLj2EEffffjfiS5_IjLj3EEiiiiiiiiiiiliiliiiiil.num_agpr, 0
	.set _ZL15flash_attn_tileILi256ELi256ELi2ELi4ELb1EEvPKcS1_S1_S1_S1_PKiPfP15HIP_vector_typeIfLj2EEffffjfiS5_IjLj3EEiiiiiiiiiiiliiliiiiil.numbered_sgpr, 40
	.set _ZL15flash_attn_tileILi256ELi256ELi2ELi4ELb1EEvPKcS1_S1_S1_S1_PKiPfP15HIP_vector_typeIfLj2EEffffjfiS5_IjLj3EEiiiiiiiiiiiliiliiiiil.num_named_barrier, 0
	.set _ZL15flash_attn_tileILi256ELi256ELi2ELi4ELb1EEvPKcS1_S1_S1_S1_PKiPfP15HIP_vector_typeIfLj2EEffffjfiS5_IjLj3EEiiiiiiiiiiiliiliiiiil.private_seg_size, 0
	.set _ZL15flash_attn_tileILi256ELi256ELi2ELi4ELb1EEvPKcS1_S1_S1_S1_PKiPfP15HIP_vector_typeIfLj2EEffffjfiS5_IjLj3EEiiiiiiiiiiiliiliiiiil.uses_vcc, 1
	.set _ZL15flash_attn_tileILi256ELi256ELi2ELi4ELb1EEvPKcS1_S1_S1_S1_PKiPfP15HIP_vector_typeIfLj2EEffffjfiS5_IjLj3EEiiiiiiiiiiiliiliiiiil.uses_flat_scratch, 0
	.set _ZL15flash_attn_tileILi256ELi256ELi2ELi4ELb1EEvPKcS1_S1_S1_S1_PKiPfP15HIP_vector_typeIfLj2EEffffjfiS5_IjLj3EEiiiiiiiiiiiliiliiiiil.has_dyn_sized_stack, 0
	.set _ZL15flash_attn_tileILi256ELi256ELi2ELi4ELb1EEvPKcS1_S1_S1_S1_PKiPfP15HIP_vector_typeIfLj2EEffffjfiS5_IjLj3EEiiiiiiiiiiiliiliiiiil.has_recursion, 0
	.set _ZL15flash_attn_tileILi256ELi256ELi2ELi4ELb1EEvPKcS1_S1_S1_S1_PKiPfP15HIP_vector_typeIfLj2EEffffjfiS5_IjLj3EEiiiiiiiiiiiliiliiiiil.has_indirect_call, 0
	.section	.AMDGPU.csdata,"",@progbits
; Kernel info:
; codeLenInByte = 13400
; TotalNumSgprs: 46
; NumVgprs: 115
; NumAgprs: 0
; TotalNumVgprs: 115
; ScratchSize: 0
; MemoryBound: 0
; FloatMode: 240
; IeeeMode: 1
; LDSByteSize: 22528 bytes/workgroup (compile time only)
; SGPRBlocks: 10
; VGPRBlocks: 14
; NumSGPRsForWavesPerEU: 81
; NumVGPRsForWavesPerEU: 115
; AccumOffset: 116
; Occupancy: 4
; WaveLimiterHint : 1
; COMPUTE_PGM_RSRC2:SCRATCH_EN: 0
; COMPUTE_PGM_RSRC2:USER_SGPR: 2
; COMPUTE_PGM_RSRC2:TRAP_HANDLER: 0
; COMPUTE_PGM_RSRC2:TGID_X_EN: 1
; COMPUTE_PGM_RSRC2:TGID_Y_EN: 1
; COMPUTE_PGM_RSRC2:TGID_Z_EN: 1
; COMPUTE_PGM_RSRC2:TIDIG_COMP_CNT: 1
; COMPUTE_PGM_RSRC3_GFX90A:ACCUM_OFFSET: 28
; COMPUTE_PGM_RSRC3_GFX90A:TG_SPLIT: 0
	.section	.text._ZL15flash_attn_tileILi256ELi256ELi1ELi4ELb1EEvPKcS1_S1_S1_S1_PKiPfP15HIP_vector_typeIfLj2EEffffjfiS5_IjLj3EEiiiiiiiiiiiliiliiiiil,"axG",@progbits,_ZL15flash_attn_tileILi256ELi256ELi1ELi4ELb1EEvPKcS1_S1_S1_S1_PKiPfP15HIP_vector_typeIfLj2EEffffjfiS5_IjLj3EEiiiiiiiiiiiliiliiiiil,comdat
	.globl	_ZL15flash_attn_tileILi256ELi256ELi1ELi4ELb1EEvPKcS1_S1_S1_S1_PKiPfP15HIP_vector_typeIfLj2EEffffjfiS5_IjLj3EEiiiiiiiiiiiliiliiiiil ; -- Begin function _ZL15flash_attn_tileILi256ELi256ELi1ELi4ELb1EEvPKcS1_S1_S1_S1_PKiPfP15HIP_vector_typeIfLj2EEffffjfiS5_IjLj3EEiiiiiiiiiiiliiliiiiil
	.p2align	8
	.type	_ZL15flash_attn_tileILi256ELi256ELi1ELi4ELb1EEvPKcS1_S1_S1_S1_PKiPfP15HIP_vector_typeIfLj2EEffffjfiS5_IjLj3EEiiiiiiiiiiiliiliiiiil,@function
_ZL15flash_attn_tileILi256ELi256ELi1ELi4ELb1EEvPKcS1_S1_S1_S1_PKiPfP15HIP_vector_typeIfLj2EEffffjfiS5_IjLj3EEiiiiiiiiiiiliiliiiiil: ; @_ZL15flash_attn_tileILi256ELi256ELi1ELi4ELb1EEvPKcS1_S1_S1_S1_PKiPfP15HIP_vector_typeIfLj2EEffffjfiS5_IjLj3EEiiiiiiiiiiiliiliiiiil
; %bb.0:
	s_load_dwordx4 s[20:23], s[0:1], 0x5c
	s_load_dwordx2 s[28:29], s[0:1], 0x80
	s_load_dwordx2 s[34:35], s[0:1], 0xb8
	s_mov_b64 s[30:31], 0
	s_waitcnt lgkmcnt(0)
	s_ashr_i32 s5, s23, 31
	s_lshr_b32 s5, s5, 30
	s_add_i32 s5, s23, s5
	s_ashr_i32 s5, s5, 2
	v_cvt_f32_u32_e32 v1, s5
	s_sub_i32 s6, 0, s5
	v_rcp_iflag_f32_e32 v1, v1
	s_nop 0
	v_mul_f32_e32 v1, 0x4f7ffffe, v1
	v_cvt_u32_f32_e32 v1, v1
	s_nop 0
	v_readfirstlane_b32 s7, v1
	s_mul_i32 s6, s6, s7
	s_mul_hi_u32 s6, s7, s6
	s_add_i32 s7, s7, s6
	s_mul_hi_u32 s6, s4, s7
	s_mul_i32 s7, s6, s5
	s_sub_i32 s7, s4, s7
	s_add_i32 s8, s6, 1
	s_sub_i32 s9, s7, s5
	s_cmp_ge_u32 s7, s5
	s_cselect_b32 s6, s8, s6
	s_cselect_b32 s7, s9, s7
	s_add_i32 s8, s6, 1
	s_cmp_ge_u32 s7, s5
	s_cselect_b32 s33, s8, s6
	s_abs_i32 s5, s29
	v_cvt_f32_u32_e32 v1, s5
	s_lshl_b32 s4, s4, 2
	s_mul_i32 s8, s33, s23
	s_xor_b32 s6, s23, s29
	v_rcp_iflag_f32_e32 v1, v1
	s_sub_i32 s9, 0, s5
	s_sub_i32 s29, s4, s8
	s_abs_i32 s7, s23
	v_mul_f32_e32 v1, 0x4f7ffffe, v1
	v_cvt_u32_f32_e32 v1, v1
	s_ashr_i32 s6, s6, 31
	v_readfirstlane_b32 s4, v1
	s_mul_i32 s9, s9, s4
	s_mul_hi_u32 s8, s4, s9
	s_add_i32 s4, s4, s8
	s_mul_hi_u32 s4, s7, s4
	s_mul_i32 s8, s4, s5
	s_sub_i32 s7, s7, s8
	s_add_i32 s9, s4, 1
	s_sub_i32 s8, s7, s5
	s_cmp_ge_u32 s7, s5
	s_cselect_b32 s4, s9, s4
	s_cselect_b32 s7, s8, s7
	s_add_i32 s8, s4, 1
	s_cmp_ge_u32 s7, s5
	s_cselect_b32 s4, s8, s4
	s_xor_b32 s4, s4, s6
	s_sub_i32 s37, s4, s6
	s_abs_i32 s36, s37
	v_cvt_f32_u32_e32 v1, s36
	s_load_dwordx16 s[4:19], s[0:1], 0x0
	v_rcp_iflag_f32_e32 v1, v1
	s_waitcnt lgkmcnt(0)
	s_cmp_eq_u64 s[10:11], 0
	v_mul_f32_e32 v1, 0x4f7ffffe, v1
	v_cvt_u32_f32_e32 v1, v1
	s_nop 0
	v_readfirstlane_b32 s38, v1
	s_cbranch_scc1 .LBB64_2
; %bb.1:
	s_abs_i32 s26, s34
	v_cvt_f32_u32_e32 v1, s26
	s_sub_i32 s31, 0, s26
	s_abs_i32 s30, s33
	s_ashr_i32 s27, s33, 31
	v_rcp_iflag_f32_e32 v1, v1
	s_load_dwordx2 s[24:25], s[0:1], 0xc8
	v_mul_f32_e32 v1, 0x4f7ffffe, v1
	v_cvt_u32_f32_e32 v1, v1
	s_nop 0
	v_readfirstlane_b32 s34, v1
	s_mul_i32 s31, s31, s34
	s_mul_hi_u32 s31, s34, s31
	s_add_i32 s34, s34, s31
	s_mul_hi_u32 s31, s30, s34
	s_mul_i32 s31, s31, s26
	s_sub_i32 s30, s30, s31
	s_sub_i32 s31, s30, s26
	s_cmp_ge_u32 s30, s26
	s_cselect_b32 s30, s31, s30
	s_sub_i32 s31, s30, s26
	s_cmp_ge_u32 s30, s26
	s_cselect_b32 s26, s31, s30
	s_xor_b32 s26, s26, s27
	s_sub_i32 s26, s26, s27
	s_ashr_i32 s27, s26, 31
	s_waitcnt lgkmcnt(0)
	s_mul_hi_u32 s30, s24, s26
	s_mul_i32 s27, s24, s27
	s_mul_i32 s25, s25, s26
	s_add_i32 s27, s30, s27
	s_add_i32 s27, s27, s25
	s_mul_i32 s24, s24, s26
	s_add_u32 s30, s10, s24
	s_addc_u32 s31, s11, s27
.LBB64_2:
	s_load_dwordx4 s[24:27], s[0:1], 0x70
	v_lshrrev_b32_e32 v10, 10, v0
	v_bfe_u32 v1, v10, 3, 7
	v_bfe_u32 v40, v0, 10, 10
	v_add_u32_e32 v36, s2, v1
	s_waitcnt lgkmcnt(0)
	s_mul_i32 s10, s33, s26
	s_ashr_i32 s26, s10, 31
	s_mul_i32 s11, s29, s25
	s_add_u32 s4, s4, s10
	s_addc_u32 s5, s5, s26
	s_ashr_i32 s10, s11, 31
	s_add_u32 s4, s4, s11
	s_addc_u32 s5, s5, s10
	s_ashr_i32 s11, s25, 31
	s_mov_b32 s10, s25
	v_bfe_u32 v39, v40, 1, 2
	s_lshr_b64 s[26:27], s[10:11], 2
	v_mul_hi_u32 v1, s20, v36
	s_lshr_b32 s25, s11, 2
	v_mad_u64_u32 v[2:3], s[10:11], s26, v39, 0
	v_add_u32_e32 v1, v36, v1
	v_mov_b32_e32 v4, v3
	v_lshrrev_b32_e32 v1, s21, v1
	v_mad_u64_u32 v[4:5], s[10:11], s25, v39, v[4:5]
	v_mul_lo_u32 v1, v1, s22
	s_ashr_i32 s25, s24, 31
	v_sub_u32_e32 v1, v36, v1
	s_lshr_b64 s[10:11], s[24:25], 2
	v_mad_u64_u32 v[6:7], s[10:11], s10, v1, 0
	v_mov_b32_e32 v3, v4
	v_mov_b32_e32 v4, v7
	s_lshr_b32 s10, s25, 2
	v_mad_u64_u32 v[4:5], s[10:11], s10, v1, v[4:5]
	v_mov_b32_e32 v7, v4
	v_and_b32_e32 v37, 0x3ff, v0
	v_lshl_add_u64 v[2:3], v[2:3], 2, s[4:5]
	v_lshlrev_b32_e32 v0, 9, v40
	v_mov_b32_e32 v5, 0
	v_lshl_add_u64 v[2:3], v[6:7], 2, v[2:3]
	v_and_b32_e32 v4, 0x200, v0
	v_lshl_add_u64 v[2:3], v[2:3], 0, v[4:5]
	v_lshlrev_b32_e32 v4, 4, v37
	v_lshl_add_u64 v[2:3], v[2:3], 0, v[4:5]
	global_load_dwordx4 v[6:9], v[2:3], off
	s_load_dword s4, s[0:1], 0x40
	v_lshlrev_b32_e32 v3, 8, v40
	v_bfe_u32 v2, v10, 1, 9
	v_and_b32_e32 v3, 0x100, v3
	v_lshlrev_b32_e32 v0, 3, v37
	v_lshl_or_b32 v2, v2, 9, v3
	v_add_u32_e32 v5, v2, v0
	s_cmp_eq_u64 s[14:15], 0
	s_waitcnt vmcnt(0) lgkmcnt(0)
	v_fma_mixlo_f16 v2, s4, v6, 0
	v_fma_mixlo_f16 v3, s4, v8, 0
	v_mov_b32_e32 v6, v9
	v_and_b32_e32 v8, 0xffff, v2
	v_and_b32_e32 v9, 0xffff, v3
	v_pk_mul_f32 v[2:3], s[4:5], v[6:7] op_sel_hi:[0,1]
	v_cvt_pk_f16_f32 v2, v2, v3
	v_lshlrev_b32_e32 v3, 16, v2
	v_and_b32_e32 v2, 0xffff0000, v2
	v_or_b32_e32 v2, v2, v8
	v_or3_b32 v3, v3, v9, 0
	v_or3_b32 v2, 0, 0, v2
	ds_write_b64 v5, v[2:3] offset:17408
	s_waitcnt lgkmcnt(0)
	s_barrier
	s_cbranch_scc1 .LBB64_4
; %bb.3:
	s_load_dword s4, s[0:1], 0xd0
	s_mov_b32 s5, 0
	s_waitcnt lgkmcnt(0)
	s_mul_i32 s4, s4, s33
	s_add_i32 s4, s4, s2
	s_lshl_b64 s[4:5], s[4:5], 2
	s_add_u32 s4, s14, s4
	s_addc_u32 s5, s15, s5
	s_load_dword s28, s[4:5], 0x0
.LBB64_4:
	s_lshl_b32 s2, s3, 6
	v_lshlrev_b32_e32 v38, 2, v37
	s_waitcnt lgkmcnt(0)
	s_cmp_lt_i32 s2, s28
	v_mbcnt_lo_u32_b32 v2, -1, 0
	v_and_b32_e32 v5, 1, v40
	s_cbranch_scc1 .LBB64_7
; %bb.5:
	v_mbcnt_hi_u32_b32 v17, -1, v2
	v_and_b32_e32 v3, 0x60, v17
	v_add_u32_e32 v29, 32, v3
	v_xor_b32_e32 v30, 16, v17
	v_xor_b32_e32 v31, 8, v17
	;; [unrolled: 1-line block ×5, first 2 shown]
	v_and_b32_e32 v6, 1, v40
	v_cmp_eq_u32_e64 s[4:5], 0, v37
	s_cbranch_execz .LBB64_8
; %bb.6:
	v_mov_b32_e32 v3, 0
	v_mov_b32_e32 v46, 0
	v_mov_b32_e32 v28, 0xfeffffff
	v_mov_b32_e32 v2, v3
	v_mov_b32_e32 v1, v3
	v_mov_b32_e32 v0, v3
	s_branch .LBB64_18
.LBB64_7:
                                        ; implicit-def: $vgpr17
                                        ; implicit-def: $vgpr29
                                        ; implicit-def: $vgpr30
                                        ; implicit-def: $vgpr31
                                        ; implicit-def: $vgpr32
                                        ; implicit-def: $vgpr33
                                        ; implicit-def: $vgpr34
                                        ; implicit-def: $vgpr6
	v_cmp_eq_u32_e64 s[4:5], 0, v37
.LBB64_8:
	s_sub_i32 s10, 0, s36
	s_mul_i32 s10, s10, s38
	s_mul_hi_u32 s10, s38, s10
	s_add_i32 s38, s38, s10
	s_load_dwordx4 s[40:43], s[0:1], 0x98
	s_load_dword s20, s[0:1], 0x54
	s_load_dwordx2 s[10:11], s[0:1], 0x8c
	s_abs_i32 s25, s29
	s_mul_hi_u32 s26, s25, s38
	s_ashr_i32 s34, s37, 31
	s_waitcnt lgkmcnt(0)
	s_mul_hi_u32 s37, s40, s33
	s_ashr_i32 s24, s10, 2
	s_ashr_i32 s10, s33, 31
	s_mul_i32 s38, s40, s10
	s_add_i32 s37, s37, s38
	s_mul_i32 s38, s41, s33
	s_ashr_i32 s27, s29, 31
	s_ashr_i32 s21, s42, 2
	;; [unrolled: 1-line block ×3, first 2 shown]
	s_add_i32 s37, s37, s38
	s_mul_i32 s38, s40, s33
	s_add_u32 s6, s6, s38
	s_addc_u32 s7, s7, s37
	s_xor_b32 s27, s27, s34
	s_mul_i32 s34, s26, s36
	s_sub_i32 s25, s25, s34
	s_add_i32 s34, s26, 1
	s_sub_i32 s37, s25, s36
	s_cmp_ge_u32 s25, s36
	s_cselect_b32 s26, s34, s26
	s_cselect_b32 s25, s37, s25
	s_add_i32 s34, s26, 1
	s_cmp_ge_u32 s25, s36
	s_cselect_b32 s25, s34, s26
	s_load_dwordx2 s[14:15], s[0:1], 0xa8
	s_xor_b32 s25, s25, s27
	s_sub_i32 s27, s25, s27
	s_mul_i32 s11, s27, s11
	s_ashr_i32 s26, s11, 31
	s_add_u32 s25, s6, s11
	s_addc_u32 s26, s7, s26
	s_waitcnt lgkmcnt(0)
	s_mul_hi_u32 s6, s14, s33
	s_mul_i32 s7, s14, s10
	s_add_i32 s6, s6, s7
	s_mul_i32 s7, s15, s33
	s_add_i32 s6, s6, s7
	s_mul_i32 s7, s14, s33
	s_add_u32 s7, s8, s7
	s_mul_i32 s27, s27, s43
	s_addc_u32 s6, s9, s6
	s_ashr_i32 s8, s27, 31
	s_add_u32 s27, s7, s27
	v_lshrrev_b32_e32 v6, 4, v37
	v_and_b32_e32 v18, 60, v38
	s_addc_u32 s34, s6, s8
	v_lshl_add_u32 v6, v40, 1, v6
	v_lshlrev_b32_e32 v8, 2, v18
	s_movk_i32 s6, 0x110
	v_mad_u32_u24 v41, v6, s6, v8
	v_mul_lo_u32 v8, s24, v6
	s_lshl_b32 s6, s24, 4
	v_lshlrev_b32_e32 v6, 5, v40
	v_lshlrev_b32_e32 v3, 6, v40
	v_add_u32_e32 v10, s6, v8
	v_and_b32_e32 v19, 32, v6
	v_mov_b32_e32 v7, 0
	v_add_u32_e32 v12, s6, v10
	v_add_u32_e32 v6, v19, v37
	v_and_b32_e32 v3, 0xff80, v3
	v_mov_b32_e32 v16, 0x4400
	v_add_u32_e32 v14, s6, v12
	v_lshl_add_u32 v47, v3, 2, v16
	v_mad_u64_u32 v[16:17], s[6:7], v1, s35, v[6:7]
	v_mul_u32_u24_e32 v45, 0x110, v6
	v_and_b32_e32 v6, 1, v37
	s_movk_i32 s6, 0x3fe
	v_and_or_b32 v6, v40, s6, v6
	v_mul_lo_u32 v20, s21, v40
	s_lshl_b32 s6, s21, 3
	v_add_u32_e32 v22, s6, v20
	v_mov_b32_e32 v1, 0x4e00
	v_add_u32_e32 v24, s6, v22
	v_lshl_add_u32 v48, v40, 2, v1
	v_lshl_add_u32 v49, v6, 2, v1
	v_add_u32_e32 v1, 0x4c00, v3
	v_lshlrev_b32_e32 v6, 2, v38
	v_add_u32_e32 v26, s6, v24
	v_lshl_or_b32 v3, v19, 1, v1
	v_lshl_add_u32 v51, v40, 9, v6
	v_ashrrev_i32_e32 v21, 31, v20
	v_ashrrev_i32_e32 v23, 31, v22
	;; [unrolled: 1-line block ×4, first 2 shown]
	v_lshl_add_u32 v56, v5, 9, v0
	s_add_u32 s14, s0, 0xd0
                                        ; implicit-def: $vgpr0
                                        ; implicit-def: $vgpr0
	;; [unrolled: 1-line block ×3, first 2 shown]
	v_ashrrev_i32_e32 v9, 31, v8
	v_add_u32_e32 v42, 0x1100, v41
	v_ashrrev_i32_e32 v11, 31, v10
	v_add_u32_e32 v43, 0x2200, v41
	;; [unrolled: 2-line block ×3, first 2 shown]
	v_ashrrev_i32_e32 v15, 31, v14
	v_lshl_add_u32 v50, v37, 1, v3
	v_add_u32_e32 v52, 0x1000, v51
	v_add_u32_e32 v53, 0x2000, v51
	;; [unrolled: 1-line block ×3, first 2 shown]
	v_lshl_or_b32 v55, v5, 1, v1
	s_addc_u32 s15, s1, 0
	v_mov_b32_e32 v59, 0xfeffffff
	v_lshlrev_b32_e32 v18, 2, v18
	v_mov_b32_e32 v19, v7
	s_mov_b32 s35, 0x3f200000
	s_mov_b32 s36, 0x3fb8aa3b
	;; [unrolled: 1-line block ×4, first 2 shown]
	v_mov_b32_e32 v57, 0x3ca908c9
	v_mbcnt_hi_u32_b32 v17, -1, v2
	s_brev_b32 s39, -2
	v_lshlrev_b64 v[20:21], 2, v[20:21]
	v_lshlrev_b64 v[22:23], 2, v[22:23]
	;; [unrolled: 1-line block ×4, first 2 shown]
	v_mov_b32_e32 v58, 0x7f800000
	v_mov_b32_e32 v0, v7
	;; [unrolled: 1-line block ×6, first 2 shown]
.LBB64_9:                               ; =>This Inner Loop Header: Depth=1
	s_mul_hi_i32 s7, s2, s24
	s_mul_i32 s6, s2, s24
	s_lshl_b64 s[6:7], s[6:7], 2
	s_add_u32 s6, s25, s6
	s_addc_u32 s7, s26, s7
	v_lshl_add_u64 v[28:29], v[8:9], 2, s[6:7]
	v_lshl_add_u64 v[32:33], v[12:13], 2, s[6:7]
	;; [unrolled: 1-line block ×7, first 2 shown]
	global_load_dwordx4 v[60:63], v[28:29], off
	global_load_dwordx4 v[64:67], v[30:31], off
	v_lshl_add_u64 v[34:35], v[34:35], 0, v[18:19]
	global_load_dwordx4 v[68:71], v[32:33], off
	global_load_dwordx4 v[72:75], v[34:35], off
	s_waitcnt vmcnt(3)
	ds_write_b128 v41, v[60:63]
	s_waitcnt vmcnt(2)
	ds_write_b128 v42, v[64:67]
	;; [unrolled: 2-line block ×4, first 2 shown]
	s_waitcnt lgkmcnt(0)
	s_barrier
	ds_read_b128 v[62:65], v45
	ds_read_b128 v[66:69], v47
	v_mov_b32_e32 v60, 0
	s_waitcnt lgkmcnt(0)
	;;#ASMSTART
	v_dot2_f32_f16 v60, v62, v66, v60
	;;#ASMEND
	s_nop 0
	;;#ASMSTART
	v_dot2_f32_f16 v60, v63, v67, v60
	;;#ASMEND
	s_nop 0
	;;#ASMSTART
	v_dot2_f32_f16 v60, v64, v68, v60
	;;#ASMEND
	s_nop 0
	;;#ASMSTART
	v_dot2_f32_f16 v60, v65, v69, v60
	;;#ASMEND
	ds_read_b128 v[62:65], v45 offset:16
	ds_read_b128 v[66:69], v47 offset:16
	s_waitcnt lgkmcnt(0)
	;;#ASMSTART
	v_dot2_f32_f16 v60, v62, v66, v60
	;;#ASMEND
	s_nop 0
	;;#ASMSTART
	v_dot2_f32_f16 v60, v63, v67, v60
	;;#ASMEND
	s_nop 0
	;;#ASMSTART
	v_dot2_f32_f16 v60, v64, v68, v60
	;;#ASMEND
	s_nop 0
	;;#ASMSTART
	v_dot2_f32_f16 v60, v65, v69, v60
	;;#ASMEND
	ds_read_b128 v[62:65], v45 offset:32
	ds_read_b128 v[66:69], v47 offset:32
	;; [unrolled: 18-line block ×15, first 2 shown]
	s_waitcnt lgkmcnt(0)
	;;#ASMSTART
	v_dot2_f32_f16 v60, v62, v66, v60
	;;#ASMEND
	s_nop 0
	;;#ASMSTART
	v_dot2_f32_f16 v60, v63, v67, v60
	;;#ASMEND
	s_nop 0
	;; [unrolled: 4-line block ×3, first 2 shown]
	;;#ASMSTART
	v_dot2_f32_f16 v60, v65, v69, v60
	;;#ASMEND
	s_barrier
	global_load_dwordx4 v[62:65], v[28:29], off offset:256
	global_load_dwordx4 v[66:69], v[30:31], off offset:256
	;; [unrolled: 1-line block ×4, first 2 shown]
	s_waitcnt vmcnt(3)
	ds_write_b128 v41, v[62:65]
	s_waitcnt vmcnt(2)
	ds_write_b128 v42, v[66:69]
	s_waitcnt vmcnt(1)
	ds_write_b128 v43, v[70:73]
	s_waitcnt vmcnt(0)
	ds_write_b128 v44, v[74:77]
	s_waitcnt lgkmcnt(0)
	s_barrier
	ds_read_b128 v[28:31], v45
	ds_read_b128 v[32:35], v47 offset:256
	s_waitcnt lgkmcnt(0)
	;;#ASMSTART
	v_dot2_f32_f16 v60, v28, v32, v60
	;;#ASMEND
	s_nop 0
	;;#ASMSTART
	v_dot2_f32_f16 v60, v29, v33, v60
	;;#ASMEND
	v_add_u32_e32 v62, s2, v16
	;;#ASMSTART
	v_dot2_f32_f16 v60, v30, v34, v60
	;;#ASMEND
	v_ashrrev_i32_e32 v63, 31, v62
	;;#ASMSTART
	v_dot2_f32_f16 v60, v31, v35, v60
	;;#ASMEND
	ds_read_b128 v[28:31], v45 offset:16
	ds_read_b128 v[32:35], v47 offset:272
	s_waitcnt lgkmcnt(0)
	;;#ASMSTART
	v_dot2_f32_f16 v60, v28, v32, v60
	;;#ASMEND
	s_nop 0
	;;#ASMSTART
	v_dot2_f32_f16 v60, v29, v33, v60
	;;#ASMEND
	v_lshl_add_u64 v[62:63], v[62:63], 1, s[30:31]
	;;#ASMSTART
	v_dot2_f32_f16 v60, v30, v34, v60
	;;#ASMEND
	s_nop 0
	;;#ASMSTART
	v_dot2_f32_f16 v60, v31, v35, v60
	;;#ASMEND
	ds_read_b128 v[28:31], v45 offset:32
	ds_read_b128 v[32:35], v47 offset:288
	s_waitcnt lgkmcnt(0)
	;;#ASMSTART
	v_dot2_f32_f16 v60, v28, v32, v60
	;;#ASMEND
	s_nop 0
	;;#ASMSTART
	v_dot2_f32_f16 v60, v29, v33, v60
	;;#ASMEND
	s_nop 0
	;;#ASMSTART
	v_dot2_f32_f16 v60, v30, v34, v60
	;;#ASMEND
	s_nop 0
	;;#ASMSTART
	v_dot2_f32_f16 v60, v31, v35, v60
	;;#ASMEND
	ds_read_b128 v[28:31], v45 offset:48
	ds_read_b128 v[32:35], v47 offset:304
	s_waitcnt lgkmcnt(0)
	;;#ASMSTART
	v_dot2_f32_f16 v60, v28, v32, v60
	;;#ASMEND
	s_nop 0
	;;#ASMSTART
	v_dot2_f32_f16 v60, v29, v33, v60
	;;#ASMEND
	s_nop 0
	;; [unrolled: 18-line block ×14, first 2 shown]
	;;#ASMSTART
	v_dot2_f32_f16 v60, v30, v34, v60
	;;#ASMEND
	s_nop 0
	;;#ASMSTART
	v_dot2_f32_f16 v60, v31, v35, v60
	;;#ASMEND
	global_load_ushort v28, v[62:63], off
	v_cmp_nlt_f32_e64 s[6:7], |v60|, s35
                                        ; implicit-def: $vgpr31
	s_and_saveexec_b64 s[8:9], s[6:7]
	s_xor_b64 s[6:7], exec, s[8:9]
	s_cbranch_execz .LBB64_11
; %bb.10:                               ;   in Loop: Header=BB64_9 Depth=1
	v_add_f32_e64 v29, |v60|, |v60|
	v_mul_f32_e32 v30, 0x3fb8aa3b, v29
	v_rndne_f32_e32 v31, v30
	v_sub_f32_e32 v32, v30, v31
	v_fma_f32 v30, v29, s36, -v30
	v_fmac_f32_e32 v30, 0x32a5705f, v29
	v_add_f32_e32 v30, v32, v30
	v_cvt_i32_f32_e32 v31, v31
	v_exp_f32_e32 v30, v30
	v_cmp_ngt_f32_e32 vcc, s37, v29
	v_ldexp_f32 v30, v30, v31
	s_nop 0
	v_cndmask_b32_e32 v30, 0, v30, vcc
	v_cmp_nlt_f32_e32 vcc, s38, v29
	s_nop 1
	v_cndmask_b32_e32 v29, v58, v30, vcc
	v_add_f32_e32 v29, 1.0, v29
	v_rcp_f32_e32 v29, v29
	s_nop 0
	v_fma_f32 v31, v29, -2.0, 1.0
.LBB64_11:                              ;   in Loop: Header=BB64_9 Depth=1
	s_andn2_saveexec_b64 s[6:7], s[6:7]
; %bb.12:                               ;   in Loop: Header=BB64_9 Depth=1
	v_mul_f32_e32 v29, v60, v60
	v_fmamk_f32 v30, v29, 0xbbbac73d, v57
	v_fmaak_f32 v30, v29, v30, 0xbd5c1c4e
	v_fmaak_f32 v30, v29, v30, 0x3e088382
	;; [unrolled: 1-line block ×3, first 2 shown]
	v_mul_f32_e64 v30, |v60|, v30
	v_fma_f32 v31, v29, v30, |v60|
; %bb.13:                               ;   in Loop: Header=BB64_9 Depth=1
	s_or_b64 exec, exec, s[6:7]
	v_and_b32_e32 v29, 0x60, v17
	v_add_u32_e32 v29, 32, v29
	v_xor_b32_e32 v30, 16, v17
	v_bfi_b32 v31, s39, v31, v60
	v_cmp_lt_i32_e32 vcc, v30, v29
	s_waitcnt vmcnt(0)
	v_fma_mix_f32 v35, s20, v31, v28 op_sel_hi:[0,0,1]
	v_add_f32_e32 v28, 0x40051340, v35
	v_cndmask_b32_e32 v32, v17, v30, vcc
	v_max_f32_e32 v31, v59, v59
	v_lshlrev_b32_e32 v32, 2, v32
	v_max_f32_e32 v28, v31, v28
	ds_bpermute_b32 v32, v32, v28
	v_xor_b32_e32 v31, 8, v17
	v_cmp_lt_i32_e32 vcc, v31, v29
	s_waitcnt lgkmcnt(0)
	v_max_f32_e32 v32, v32, v32
	v_cndmask_b32_e32 v33, v17, v31, vcc
	v_lshlrev_b32_e32 v33, 2, v33
	v_max_f32_e32 v28, v28, v32
	ds_bpermute_b32 v33, v33, v28
	v_xor_b32_e32 v32, 4, v17
	v_cmp_lt_i32_e32 vcc, v32, v29
	s_waitcnt lgkmcnt(0)
	v_max_f32_e32 v33, v33, v33
	v_cndmask_b32_e32 v34, v17, v32, vcc
	;; [unrolled: 8-line block ×4, first 2 shown]
	v_lshlrev_b32_e32 v61, 2, v61
	v_max_f32_e32 v28, v28, v60
	ds_bpermute_b32 v60, v61, v28
	s_and_saveexec_b64 s[6:7], s[4:5]
	s_cbranch_execz .LBB64_15
; %bb.14:                               ;   in Loop: Header=BB64_9 Depth=1
	s_waitcnt lgkmcnt(0)
	v_max_f32_e32 v60, v60, v60
	v_max_f32_e32 v28, v28, v28
	;; [unrolled: 1-line block ×3, first 2 shown]
	ds_write_b32 v48, v28
.LBB64_15:                              ;   in Loop: Header=BB64_9 Depth=1
	s_or_b64 exec, exec, s[6:7]
	s_mul_hi_i32 s7, s2, s21
	s_mul_i32 s6, s2, s21
	s_lshl_b64 s[6:7], s[6:7], 2
	s_add_u32 s6, s27, s6
	s_addc_u32 s7, s34, s7
	s_waitcnt lgkmcnt(0)
	v_lshl_add_u64 v[60:61], s[6:7], 0, v[20:21]
	v_lshl_add_u64 v[68:69], v[60:61], 0, v[6:7]
	;; [unrolled: 1-line block ×3, first 2 shown]
	s_barrier
	v_lshl_add_u64 v[70:71], v[60:61], 0, v[6:7]
	global_load_dwordx4 v[60:63], v[68:69], off
	global_load_dwordx4 v[64:67], v[70:71], off
	v_lshl_add_u64 v[68:69], s[6:7], 0, v[24:25]
	v_lshl_add_u64 v[76:77], v[68:69], 0, v[6:7]
	;; [unrolled: 1-line block ×4, first 2 shown]
	global_load_dwordx4 v[68:71], v[76:77], off
	global_load_dwordx4 v[72:75], v[78:79], off
	ds_read_b32 v28, v49
	v_and_b32_e32 v76, 0x7e, v17
	v_add_u32_e32 v76, 2, v76
	v_cmp_lt_i32_e32 vcc, v34, v76
	v_add_u32_e32 v106, 0x800, v56
	v_add_u32_e32 v107, 0x1000, v56
	v_cndmask_b32_e32 v76, v17, v34, vcc
	v_lshlrev_b32_e32 v76, 2, v76
	s_waitcnt lgkmcnt(0)
	ds_bpermute_b32 v76, v76, v28
	v_max_f32_e32 v28, v28, v28
	v_add_u32_e32 v108, 0x1800, v56
	v_add_u32_e32 v109, 0x2000, v56
	;; [unrolled: 1-line block ×3, first 2 shown]
	s_waitcnt lgkmcnt(0)
	v_max_f32_e32 v76, v76, v76
	v_max_f32_e32 v28, v28, v76
	v_sub_f32_e32 v35, v35, v28
	v_mul_f32_e32 v76, 0x3fb8aa3b, v35
	v_sub_f32_e32 v59, v59, v28
	v_fma_f32 v78, v35, s36, -v76
	v_rndne_f32_e32 v79, v76
	v_mul_f32_e32 v77, 0x3fb8aa3b, v59
	v_fmac_f32_e32 v78, 0x32a5705f, v35
	v_sub_f32_e32 v76, v76, v79
	v_fma_f32 v80, v59, s36, -v77
	v_rndne_f32_e32 v81, v77
	v_add_f32_e32 v76, v76, v78
	v_cvt_i32_f32_e32 v79, v79
	v_fmac_f32_e32 v80, 0x32a5705f, v59
	v_sub_f32_e32 v77, v77, v81
	v_exp_f32_e32 v76, v76
	v_add_f32_e32 v77, v77, v80
	v_cvt_i32_f32_e32 v81, v81
	v_exp_f32_e32 v77, v77
	v_cmp_ngt_f32_e32 vcc, s37, v35
	v_cmp_nlt_f32_e64 s[8:9], s38, v35
	v_ldexp_f32 v35, v76, v79
	v_cndmask_b32_e32 v35, 0, v35, vcc
	v_cmp_ngt_f32_e64 s[6:7], s37, v59
	v_cmp_nlt_f32_e64 s[10:11], s38, v59
	v_ldexp_f32 v59, v77, v81
	v_cndmask_b32_e64 v35, v58, v35, s[8:9]
	v_cndmask_b32_e64 v59, 0, v59, s[6:7]
	v_cvt_f16_f32_e32 v77, v35
	v_cndmask_b32_e64 v59, v58, v59, s[10:11]
	v_cvt_f16_f32_e32 v76, v59
	s_or_b32 s6, s2, 32
	ds_write_b16 v50, v77
	s_mul_hi_i32 s7, s6, s21
	v_mul_u32_u24_e32 v76, 0x10001, v76
	v_pk_mul_f16 v2, v2, v76
	v_pk_mul_f16 v3, v3, v76
	s_mul_i32 s6, s6, s21
	s_lshl_b64 s[6:7], s[6:7], 2
	s_add_u32 s6, s27, s6
	s_addc_u32 s7, s34, s7
	v_lshl_add_u64 v[80:81], s[6:7], 0, v[20:21]
	v_add_u32_e32 v115, 0x3000, v56
	v_add_u32_e32 v116, 0x3800, v56
	v_lshl_add_u64 v[88:89], v[80:81], 0, v[6:7]
	v_lshl_add_u64 v[80:81], s[6:7], 0, v[22:23]
	;; [unrolled: 1-line block ×3, first 2 shown]
	v_fma_f32 v46, v46, v59, v35
	s_waitcnt vmcnt(3)
	ds_write_b128 v51, v[60:63]
	s_waitcnt vmcnt(2)
	ds_write_b128 v52, v[64:67]
	;; [unrolled: 2-line block ×4, first 2 shown]
	s_waitcnt lgkmcnt(0)
	s_barrier
	ds_read2_b64 v[60:63], v56 offset1:32
	ds_read_u16 v68, v55
	ds_read_u16 v69, v55 offset:4
	ds_read_u16 v70, v55 offset:8
	;; [unrolled: 1-line block ×15, first 2 shown]
	ds_read2_b64 v[64:67], v56 offset0:128 offset1:160
	s_waitcnt lgkmcnt(14)
	v_mul_u32_u24_e32 v68, 0x10001, v68
	v_pk_mul_f16 v60, v60, v68
	v_pk_mul_f16 v61, v61, v68
	v_pk_fma_f16 v0, v0, v76, v60
	v_pk_fma_f16 v60, v1, v76, v61
	;; [unrolled: 1-line block ×4, first 2 shown]
	v_mul_u32_u24_e32 v63, 0x10001, v69
	s_waitcnt lgkmcnt(0)
	v_pk_fma_f16 v64, v64, v63, v0
	ds_read2_b64 v[0:3], v106 offset1:32
	v_pk_fma_f16 v65, v65, v63, v60
	v_pk_fma_f16 v66, v66, v63, v61
	v_pk_fma_f16 v67, v67, v63, v62
	ds_read2_b64 v[60:63], v106 offset0:128 offset1:160
	v_mul_u32_u24_e32 v68, 0x10001, v70
	s_waitcnt lgkmcnt(1)
	v_pk_fma_f16 v0, v0, v68, v64
	v_pk_fma_f16 v64, v1, v68, v65
	;; [unrolled: 1-line block ×4, first 2 shown]
	v_mul_u32_u24_e32 v67, 0x10001, v71
	s_waitcnt lgkmcnt(0)
	v_pk_fma_f16 v60, v60, v67, v0
	ds_read2_b64 v[0:3], v107 offset1:32
	v_pk_fma_f16 v64, v61, v67, v64
	v_pk_fma_f16 v65, v62, v67, v65
	v_pk_fma_f16 v66, v63, v67, v66
	v_mul_u32_u24_e32 v67, 0x10001, v72
	s_waitcnt lgkmcnt(0)
	v_pk_fma_f16 v0, v0, v67, v60
	ds_read2_b64 v[60:63], v107 offset0:128 offset1:160
	v_pk_fma_f16 v64, v1, v67, v64
	v_pk_fma_f16 v65, v2, v67, v65
	v_pk_fma_f16 v66, v3, v67, v66
	v_mul_u32_u24_e32 v67, 0x10001, v73
	s_waitcnt lgkmcnt(0)
	v_pk_fma_f16 v60, v60, v67, v0
	ds_read2_b64 v[0:3], v108 offset1:32
	v_pk_fma_f16 v64, v61, v67, v64
	v_pk_fma_f16 v65, v62, v67, v65
	v_pk_fma_f16 v66, v63, v67, v66
	v_mul_u32_u24_e32 v67, 0x10001, v74
	s_waitcnt lgkmcnt(0)
	v_pk_fma_f16 v0, v0, v67, v60
	ds_read2_b64 v[60:63], v108 offset0:128 offset1:160
	v_pk_fma_f16 v64, v1, v67, v64
	v_pk_fma_f16 v65, v2, v67, v65
	v_pk_fma_f16 v66, v3, v67, v66
	;; [unrolled: 14-line block ×3, first 2 shown]
	v_mul_u32_u24_e32 v67, 0x10001, v78
	s_waitcnt lgkmcnt(0)
	v_pk_fma_f16 v110, v60, v67, v0
	ds_read2_b64 v[0:3], v111 offset1:32
	v_pk_fma_f16 v112, v61, v67, v64
	v_pk_fma_f16 v113, v62, v67, v65
	;; [unrolled: 1-line block ×3, first 2 shown]
	ds_read2_b64 v[60:63], v111 offset0:128 offset1:160
	ds_read2_b64 v[64:67], v115 offset1:32
	ds_read2_b64 v[68:71], v115 offset0:128 offset1:160
	ds_read2_b64 v[72:75], v116 offset1:32
	ds_read2_b64 v[76:79], v116 offset0:128 offset1:160
	s_waitcnt lgkmcnt(0)
	s_barrier
	global_load_dwordx4 v[80:83], v[88:89], off
	global_load_dwordx4 v[84:87], v[90:91], off
	v_lshl_add_u64 v[88:89], s[6:7], 0, v[24:25]
	v_lshl_add_u64 v[96:97], v[88:89], 0, v[6:7]
	;; [unrolled: 1-line block ×4, first 2 shown]
	global_load_dwordx4 v[88:91], v[96:97], off
	global_load_dwordx4 v[92:95], v[98:99], off
	v_mul_u32_u24_e32 v35, 0x10001, v100
	v_pk_fma_f16 v0, v0, v35, v110
	v_pk_fma_f16 v1, v1, v35, v112
	v_pk_fma_f16 v2, v2, v35, v113
	v_pk_fma_f16 v3, v3, v35, v114
	v_mul_u32_u24_e32 v35, 0x10001, v101
	v_pk_fma_f16 v0, v60, v35, v0
	v_pk_fma_f16 v1, v61, v35, v1
	v_pk_fma_f16 v2, v62, v35, v2
	v_pk_fma_f16 v3, v63, v35, v3
	;; [unrolled: 5-line block ×6, first 2 shown]
	s_waitcnt vmcnt(3)
	ds_write_b128 v51, v[80:83]
	s_waitcnt vmcnt(2)
	ds_write_b128 v52, v[84:87]
	;; [unrolled: 2-line block ×4, first 2 shown]
	s_waitcnt lgkmcnt(0)
	s_barrier
	ds_read2_b64 v[0:3], v56 offset1:32
	ds_read_u16 v60, v55 offset:64
	ds_read_u16 v66, v55 offset:68
	;; [unrolled: 1-line block ×16, first 2 shown]
	s_waitcnt lgkmcnt(14)
	v_mul_u32_u24_e32 v81, 0x10001, v60
	ds_read2_b64 v[60:63], v56 offset0:128 offset1:160
	v_pk_fma_f16 v0, v0, v81, v59
	v_pk_fma_f16 v59, v1, v81, v64
	;; [unrolled: 1-line block ×3, first 2 shown]
	v_mul_u32_u24_e32 v65, 0x10001, v66
	v_pk_fma_f16 v35, v3, v81, v35
	s_waitcnt lgkmcnt(0)
	v_pk_fma_f16 v60, v60, v65, v0
	ds_read2_b64 v[0:3], v106 offset1:32
	v_pk_fma_f16 v59, v61, v65, v59
	v_pk_fma_f16 v64, v62, v65, v64
	v_pk_fma_f16 v35, v63, v65, v35
	v_mul_u32_u24_e32 v65, 0x10001, v67
	s_waitcnt lgkmcnt(0)
	v_pk_fma_f16 v0, v0, v65, v60
	ds_read2_b64 v[60:63], v106 offset0:128 offset1:160
	v_pk_fma_f16 v59, v1, v65, v59
	v_pk_fma_f16 v64, v2, v65, v64
	v_pk_fma_f16 v35, v3, v65, v35
	v_mul_u32_u24_e32 v65, 0x10001, v68
	s_waitcnt lgkmcnt(0)
	v_pk_fma_f16 v60, v60, v65, v0
	ds_read2_b64 v[0:3], v107 offset1:32
	v_pk_fma_f16 v59, v61, v65, v59
	v_pk_fma_f16 v64, v62, v65, v64
	v_pk_fma_f16 v35, v63, v65, v35
	v_mul_u32_u24_e32 v65, 0x10001, v69
	s_waitcnt lgkmcnt(0)
	v_pk_fma_f16 v0, v0, v65, v60
	ds_read2_b64 v[60:63], v107 offset0:128 offset1:160
	v_pk_fma_f16 v59, v1, v65, v59
	v_pk_fma_f16 v64, v2, v65, v64
	v_pk_fma_f16 v35, v3, v65, v35
	v_mul_u32_u24_e32 v65, 0x10001, v70
	;; [unrolled: 14-line block ×6, first 2 shown]
	s_waitcnt lgkmcnt(0)
	v_pk_fma_f16 v60, v60, v65, v0
	ds_read2_b64 v[0:3], v116 offset1:32
	v_pk_fma_f16 v59, v61, v65, v59
	v_pk_fma_f16 v61, v62, v65, v64
	;; [unrolled: 1-line block ×3, first 2 shown]
	v_mul_u32_u24_e32 v62, 0x10001, v79
	s_waitcnt lgkmcnt(0)
	v_pk_fma_f16 v60, v0, v62, v60
	v_pk_fma_f16 v59, v1, v62, v59
	;; [unrolled: 1-line block ×4, first 2 shown]
	ds_read2_b64 v[0:3], v116 offset0:128 offset1:160
	s_waitcnt lgkmcnt(0)
	s_barrier
	s_load_dword s6, s[14:15], 0x4
	v_mul_u32_u24_e32 v62, 0x10001, v80
	v_pk_fma_f16 v0, v0, v62, v60
	v_pk_fma_f16 v1, v1, v62, v59
	;; [unrolled: 1-line block ×3, first 2 shown]
	s_waitcnt lgkmcnt(0)
	s_lshl_b32 s6, s6, 6
	s_add_i32 s2, s6, s2
	s_cmp_ge_i32 s2, s28
	v_pk_fma_f16 v3, v3, v62, v35
	s_cbranch_scc1 .LBB64_17
; %bb.16:                               ;   in Loop: Header=BB64_9 Depth=1
	v_mov_b32_e32 v59, v28
	s_branch .LBB64_9
.LBB64_17:
	v_mov_b32_e32 v6, v5
.LBB64_18:
	v_cmp_lt_i32_e32 vcc, v30, v29
	v_cmp_ne_u32_e64 s[4:5], 0, v6
	s_nop 0
	v_cndmask_b32_e32 v5, v17, v30, vcc
	v_lshlrev_b32_e32 v5, 2, v5
	ds_bpermute_b32 v5, v5, v46
	v_cmp_lt_i32_e32 vcc, v31, v29
	s_waitcnt lgkmcnt(0)
	v_add_f32_e32 v5, v46, v5
	v_cndmask_b32_e32 v7, v17, v31, vcc
	v_lshlrev_b32_e32 v7, 2, v7
	ds_bpermute_b32 v7, v7, v5
	v_cmp_lt_i32_e32 vcc, v32, v29
	s_waitcnt lgkmcnt(0)
	v_add_f32_e32 v5, v5, v7
	;; [unrolled: 6-line block ×4, first 2 shown]
	v_cndmask_b32_e32 v8, v17, v34, vcc
	v_lshlrev_b32_e32 v8, 2, v8
	ds_bpermute_b32 v7, v8, v5
	v_cmp_eq_u32_e32 vcc, 0, v6
	s_waitcnt lgkmcnt(0)
	v_add_f32_e32 v29, v5, v7
	s_and_saveexec_b64 s[6:7], s[4:5]
	s_xor_b64 s[6:7], exec, s[6:7]
	s_cbranch_execnz .LBB64_22
; %bb.19:
	s_andn2_saveexec_b64 s[4:5], s[6:7]
	s_cbranch_execnz .LBB64_25
.LBB64_20:
	s_or_b64 exec, exec, s[4:5]
	s_and_saveexec_b64 s[4:5], vcc
	s_cbranch_execnz .LBB64_26
.LBB64_21:
	s_endpgm
.LBB64_22:
	v_lshl_add_u32 v4, v40, 9, v4
	v_cmp_eq_u32_e64 s[4:5], 0, v37
	ds_write_b128 v4, v[0:3]
	s_and_saveexec_b64 s[8:9], s[4:5]
; %bb.23:
	v_lshlrev_b32_e32 v4, 2, v40
	ds_write_b32 v4, v29 offset:17408
; %bb.24:
	s_or_b64 exec, exec, s[8:9]
                                        ; implicit-def: $vgpr40
                                        ; implicit-def: $vgpr4
	s_andn2_saveexec_b64 s[4:5], s[6:7]
	s_cbranch_execz .LBB64_20
.LBB64_25:
	v_lshl_add_u32 v4, v40, 9, v4
	v_lshlrev_b32_e32 v8, 2, v40
	s_waitcnt lgkmcnt(0)
	s_barrier
	ds_read_b128 v[4:7], v4 offset:512
	ds_read_b32 v8, v8 offset:17412
	s_waitcnt lgkmcnt(1)
	v_pk_add_f16 v0, v4, v0
	v_pk_add_f16 v1, v5, v1
	;; [unrolled: 1-line block ×4, first 2 shown]
	s_waitcnt lgkmcnt(0)
	v_add_f32_e32 v29, v29, v8
	s_or_b64 exec, exec, s[4:5]
	s_and_saveexec_b64 s[4:5], vcc
	s_cbranch_execz .LBB64_21
.LBB64_26:
	s_cmp_eq_u64 s[12:13], 0
	s_cselect_b64 s[4:5], -1, 0
	s_cmp_lg_u32 s3, 0
	s_cselect_b64 s[6:7], -1, 0
	s_or_b64 s[4:5], s[6:7], s[4:5]
	v_add_u32_e32 v4, s29, v39
	s_and_b64 vcc, exec, s[4:5]
	s_cbranch_vccnz .LBB64_28
; %bb.27:
	v_ashrrev_i32_e32 v5, 31, v4
	v_lshl_add_u64 v[6:7], v[4:5], 2, s[12:13]
	global_load_dword v5, v[6:7], off
	v_max_f32_e32 v6, v28, v28
	s_mov_b32 s2, 0x3fb8aa3b
	s_mov_b32 s4, 0xc2ce8ed0
	s_waitcnt vmcnt(0)
	v_max_f32_e32 v7, v5, v5
	v_max_f32_e32 v6, v6, v7
	v_sub_f32_e32 v7, v28, v6
	v_sub_f32_e32 v5, v5, v6
	v_mul_f32_e32 v8, 0x3fb8aa3b, v7
	v_mul_f32_e32 v9, 0x3fb8aa3b, v5
	v_fma_f32 v10, v7, s2, -v8
	v_rndne_f32_e32 v11, v8
	v_fma_f32 v12, v5, s2, -v9
	v_rndne_f32_e32 v13, v9
	v_fmac_f32_e32 v10, 0x32a5705f, v7
	v_sub_f32_e32 v8, v8, v11
	v_fmac_f32_e32 v12, 0x32a5705f, v5
	v_sub_f32_e32 v9, v9, v13
	v_add_f32_e32 v8, v8, v10
	v_cvt_i32_f32_e32 v11, v11
	v_add_f32_e32 v9, v9, v12
	v_exp_f32_e32 v8, v8
	v_cvt_i32_f32_e32 v13, v13
	v_exp_f32_e32 v9, v9
	v_cmp_ngt_f32_e32 vcc, s4, v7
	v_ldexp_f32 v8, v8, v11
	s_mov_b32 s2, 0x42b17218
	v_ldexp_f32 v9, v9, v13
	v_cndmask_b32_e32 v8, 0, v8, vcc
	v_cmp_ngt_f32_e32 vcc, s4, v5
	v_mov_b32_e32 v10, 0x7f800000
	s_nop 0
	v_cndmask_b32_e32 v9, 0, v9, vcc
	v_cmp_nlt_f32_e32 vcc, s2, v7
	s_nop 1
	v_cndmask_b32_e32 v8, v10, v8, vcc
	v_cvt_f16_f32_e32 v11, v8
	v_cmp_nlt_f32_e32 vcc, s2, v5
	v_mul_u32_u24_e32 v5, 0x10001, v11
	s_nop 0
	v_cndmask_b32_e32 v7, v10, v9, vcc
	v_fmac_f32_e32 v7, v29, v8
	v_pk_mul_f16 v0, v0, v5
	v_pk_mul_f16 v1, v1, v5
	;; [unrolled: 1-line block ×4, first 2 shown]
	v_mov_b64_e32 v[28:29], v[6:7]
	s_branch .LBB64_29
.LBB64_28:
	v_mov_b32_e32 v7, v29
.LBB64_29:
	s_load_dword s2, s[0:1], 0xd4
	v_div_scale_f32 v5, s[0:1], v7, v7, 1.0
	v_rcp_f32_e32 v6, v5
	s_mul_i32 s33, s33, s22
	s_waitcnt lgkmcnt(0)
	s_cmp_lg_u32 s2, 1
	s_cselect_b64 s[0:1], -1, 0
	v_fma_f32 v8, -v5, v6, 1.0
	v_fmac_f32_e32 v6, v8, v6
	v_div_scale_f32 v8, vcc, 1.0, v7, 1.0
	v_mul_f32_e32 v9, v8, v6
	v_fma_f32 v10, -v5, v9, v8
	v_fmac_f32_e32 v9, v10, v6
	v_fma_f32 v5, -v5, v9, v8
	v_div_fmas_f32 v5, v5, v6, v9
	v_div_fixup_f32 v5, v5, v7, 1.0
	v_cndmask_b32_e64 v10, v5, 1.0, s[0:1]
	v_add_u32_e32 v5, s33, v36
	v_mad_u64_u32 v[4:5], s[4:5], v5, s23, v[4:5]
	v_cvt_f32_f16_sdwa v7, v0 dst_sel:DWORD dst_unused:UNUSED_PAD src0_sel:WORD_1
	v_cvt_f32_f16_e32 v6, v0
	v_cvt_f32_f16_sdwa v9, v1 dst_sel:DWORD dst_unused:UNUSED_PAD src0_sel:WORD_1
	v_cvt_f32_f16_e32 v8, v1
	v_mul_lo_u32 v4, s2, v4
	v_add_u32_e32 v4, s3, v4
	v_lshl_add_u32 v12, v4, 8, v38
	v_mov_b32_e32 v13, 0
	v_lshl_add_u64 v[0:1], v[12:13], 2, s[16:17]
	v_pk_mul_f32 v[6:7], v[10:11], v[6:7] op_sel_hi:[0,1]
	v_pk_mul_f32 v[8:9], v[10:11], v[8:9] op_sel_hi:[0,1]
	global_store_dwordx4 v[0:1], v[6:9], off
	v_cvt_f32_f16_sdwa v1, v2 dst_sel:DWORD dst_unused:UNUSED_PAD src0_sel:WORD_1
	v_cvt_f32_f16_e32 v0, v2
	v_cvt_f32_f16_sdwa v7, v3 dst_sel:DWORD dst_unused:UNUSED_PAD src0_sel:WORD_1
	v_cvt_f32_f16_e32 v6, v3
	v_cmp_eq_u32_e32 vcc, 0, v37
	v_add_u32_e32 v12, 0x80, v12
	v_lshl_add_u64 v[8:9], v[12:13], 2, s[16:17]
	v_pk_mul_f32 v[0:1], v[10:11], v[0:1] op_sel_hi:[0,1]
	v_pk_mul_f32 v[2:3], v[10:11], v[6:7] op_sel_hi:[0,1]
	s_and_b64 s[0:1], vcc, s[0:1]
	global_store_dwordx4 v[8:9], v[0:3], off
	s_and_b64 exec, exec, s[0:1]
	s_cbranch_execz .LBB64_21
; %bb.30:
	v_mov_b32_e32 v0, s18
	v_mov_b32_e32 v1, s19
	v_ashrrev_i32_e32 v5, 31, v4
	v_lshl_add_u64 v[0:1], v[4:5], 3, v[0:1]
	global_store_dwordx2 v[0:1], v[28:29], off
	s_endpgm
	.section	.rodata,"a",@progbits
	.p2align	6, 0x0
	.amdhsa_kernel _ZL15flash_attn_tileILi256ELi256ELi1ELi4ELb1EEvPKcS1_S1_S1_S1_PKiPfP15HIP_vector_typeIfLj2EEffffjfiS5_IjLj3EEiiiiiiiiiiiliiliiiiil
		.amdhsa_group_segment_fixed_size 20000
		.amdhsa_private_segment_fixed_size 0
		.amdhsa_kernarg_size 464
		.amdhsa_user_sgpr_count 2
		.amdhsa_user_sgpr_dispatch_ptr 0
		.amdhsa_user_sgpr_queue_ptr 0
		.amdhsa_user_sgpr_kernarg_segment_ptr 1
		.amdhsa_user_sgpr_dispatch_id 0
		.amdhsa_user_sgpr_kernarg_preload_length 0
		.amdhsa_user_sgpr_kernarg_preload_offset 0
		.amdhsa_user_sgpr_private_segment_size 0
		.amdhsa_uses_dynamic_stack 0
		.amdhsa_enable_private_segment 0
		.amdhsa_system_sgpr_workgroup_id_x 1
		.amdhsa_system_sgpr_workgroup_id_y 1
		.amdhsa_system_sgpr_workgroup_id_z 1
		.amdhsa_system_sgpr_workgroup_info 0
		.amdhsa_system_vgpr_workitem_id 1
		.amdhsa_next_free_vgpr 117
		.amdhsa_next_free_sgpr 44
		.amdhsa_accum_offset 120
		.amdhsa_reserve_vcc 1
		.amdhsa_float_round_mode_32 0
		.amdhsa_float_round_mode_16_64 0
		.amdhsa_float_denorm_mode_32 3
		.amdhsa_float_denorm_mode_16_64 3
		.amdhsa_dx10_clamp 1
		.amdhsa_ieee_mode 1
		.amdhsa_fp16_overflow 0
		.amdhsa_tg_split 0
		.amdhsa_exception_fp_ieee_invalid_op 0
		.amdhsa_exception_fp_denorm_src 0
		.amdhsa_exception_fp_ieee_div_zero 0
		.amdhsa_exception_fp_ieee_overflow 0
		.amdhsa_exception_fp_ieee_underflow 0
		.amdhsa_exception_fp_ieee_inexact 0
		.amdhsa_exception_int_div_zero 0
	.end_amdhsa_kernel
	.section	.text._ZL15flash_attn_tileILi256ELi256ELi1ELi4ELb1EEvPKcS1_S1_S1_S1_PKiPfP15HIP_vector_typeIfLj2EEffffjfiS5_IjLj3EEiiiiiiiiiiiliiliiiiil,"axG",@progbits,_ZL15flash_attn_tileILi256ELi256ELi1ELi4ELb1EEvPKcS1_S1_S1_S1_PKiPfP15HIP_vector_typeIfLj2EEffffjfiS5_IjLj3EEiiiiiiiiiiiliiliiiiil,comdat
.Lfunc_end64:
	.size	_ZL15flash_attn_tileILi256ELi256ELi1ELi4ELb1EEvPKcS1_S1_S1_S1_PKiPfP15HIP_vector_typeIfLj2EEffffjfiS5_IjLj3EEiiiiiiiiiiiliiliiiiil, .Lfunc_end64-_ZL15flash_attn_tileILi256ELi256ELi1ELi4ELb1EEvPKcS1_S1_S1_S1_PKiPfP15HIP_vector_typeIfLj2EEffffjfiS5_IjLj3EEiiiiiiiiiiiliiliiiiil
                                        ; -- End function
	.set _ZL15flash_attn_tileILi256ELi256ELi1ELi4ELb1EEvPKcS1_S1_S1_S1_PKiPfP15HIP_vector_typeIfLj2EEffffjfiS5_IjLj3EEiiiiiiiiiiiliiliiiiil.num_vgpr, 117
	.set _ZL15flash_attn_tileILi256ELi256ELi1ELi4ELb1EEvPKcS1_S1_S1_S1_PKiPfP15HIP_vector_typeIfLj2EEffffjfiS5_IjLj3EEiiiiiiiiiiiliiliiiiil.num_agpr, 0
	.set _ZL15flash_attn_tileILi256ELi256ELi1ELi4ELb1EEvPKcS1_S1_S1_S1_PKiPfP15HIP_vector_typeIfLj2EEffffjfiS5_IjLj3EEiiiiiiiiiiiliiliiiiil.numbered_sgpr, 44
	.set _ZL15flash_attn_tileILi256ELi256ELi1ELi4ELb1EEvPKcS1_S1_S1_S1_PKiPfP15HIP_vector_typeIfLj2EEffffjfiS5_IjLj3EEiiiiiiiiiiiliiliiiiil.num_named_barrier, 0
	.set _ZL15flash_attn_tileILi256ELi256ELi1ELi4ELb1EEvPKcS1_S1_S1_S1_PKiPfP15HIP_vector_typeIfLj2EEffffjfiS5_IjLj3EEiiiiiiiiiiiliiliiiiil.private_seg_size, 0
	.set _ZL15flash_attn_tileILi256ELi256ELi1ELi4ELb1EEvPKcS1_S1_S1_S1_PKiPfP15HIP_vector_typeIfLj2EEffffjfiS5_IjLj3EEiiiiiiiiiiiliiliiiiil.uses_vcc, 1
	.set _ZL15flash_attn_tileILi256ELi256ELi1ELi4ELb1EEvPKcS1_S1_S1_S1_PKiPfP15HIP_vector_typeIfLj2EEffffjfiS5_IjLj3EEiiiiiiiiiiiliiliiiiil.uses_flat_scratch, 0
	.set _ZL15flash_attn_tileILi256ELi256ELi1ELi4ELb1EEvPKcS1_S1_S1_S1_PKiPfP15HIP_vector_typeIfLj2EEffffjfiS5_IjLj3EEiiiiiiiiiiiliiliiiiil.has_dyn_sized_stack, 0
	.set _ZL15flash_attn_tileILi256ELi256ELi1ELi4ELb1EEvPKcS1_S1_S1_S1_PKiPfP15HIP_vector_typeIfLj2EEffffjfiS5_IjLj3EEiiiiiiiiiiiliiliiiiil.has_recursion, 0
	.set _ZL15flash_attn_tileILi256ELi256ELi1ELi4ELb1EEvPKcS1_S1_S1_S1_PKiPfP15HIP_vector_typeIfLj2EEffffjfiS5_IjLj3EEiiiiiiiiiiiliiliiiiil.has_indirect_call, 0
	.section	.AMDGPU.csdata,"",@progbits
; Kernel info:
; codeLenInByte = 9124
; TotalNumSgprs: 50
; NumVgprs: 117
; NumAgprs: 0
; TotalNumVgprs: 117
; ScratchSize: 0
; MemoryBound: 0
; FloatMode: 240
; IeeeMode: 1
; LDSByteSize: 20000 bytes/workgroup (compile time only)
; SGPRBlocks: 6
; VGPRBlocks: 14
; NumSGPRsForWavesPerEU: 50
; NumVGPRsForWavesPerEU: 117
; AccumOffset: 120
; Occupancy: 4
; WaveLimiterHint : 1
; COMPUTE_PGM_RSRC2:SCRATCH_EN: 0
; COMPUTE_PGM_RSRC2:USER_SGPR: 2
; COMPUTE_PGM_RSRC2:TRAP_HANDLER: 0
; COMPUTE_PGM_RSRC2:TGID_X_EN: 1
; COMPUTE_PGM_RSRC2:TGID_Y_EN: 1
; COMPUTE_PGM_RSRC2:TGID_Z_EN: 1
; COMPUTE_PGM_RSRC2:TIDIG_COMP_CNT: 1
; COMPUTE_PGM_RSRC3_GFX90A:ACCUM_OFFSET: 29
; COMPUTE_PGM_RSRC3_GFX90A:TG_SPLIT: 0
	.section	.text._ZL15flash_attn_tileILi256ELi256ELi16ELi2ELb1EEvPKcS1_S1_S1_S1_PKiPfP15HIP_vector_typeIfLj2EEffffjfiS5_IjLj3EEiiiiiiiiiiiliiliiiiil,"axG",@progbits,_ZL15flash_attn_tileILi256ELi256ELi16ELi2ELb1EEvPKcS1_S1_S1_S1_PKiPfP15HIP_vector_typeIfLj2EEffffjfiS5_IjLj3EEiiiiiiiiiiiliiliiiiil,comdat
	.globl	_ZL15flash_attn_tileILi256ELi256ELi16ELi2ELb1EEvPKcS1_S1_S1_S1_PKiPfP15HIP_vector_typeIfLj2EEffffjfiS5_IjLj3EEiiiiiiiiiiiliiliiiiil ; -- Begin function _ZL15flash_attn_tileILi256ELi256ELi16ELi2ELb1EEvPKcS1_S1_S1_S1_PKiPfP15HIP_vector_typeIfLj2EEffffjfiS5_IjLj3EEiiiiiiiiiiiliiliiiiil
	.p2align	8
	.type	_ZL15flash_attn_tileILi256ELi256ELi16ELi2ELb1EEvPKcS1_S1_S1_S1_PKiPfP15HIP_vector_typeIfLj2EEffffjfiS5_IjLj3EEiiiiiiiiiiiliiliiiiil,@function
_ZL15flash_attn_tileILi256ELi256ELi16ELi2ELb1EEvPKcS1_S1_S1_S1_PKiPfP15HIP_vector_typeIfLj2EEffffjfiS5_IjLj3EEiiiiiiiiiiiliiliiiiil: ; @_ZL15flash_attn_tileILi256ELi256ELi16ELi2ELb1EEvPKcS1_S1_S1_S1_PKiPfP15HIP_vector_typeIfLj2EEffffjfiS5_IjLj3EEiiiiiiiiiiiliiliiiiil
; %bb.0:
	s_load_dwordx4 s[20:23], s[0:1], 0x5c
	s_load_dwordx2 s[30:31], s[0:1], 0x80
	s_load_dwordx2 s[36:37], s[0:1], 0xb8
	s_mov_b64 s[34:35], 0
	s_waitcnt lgkmcnt(0)
	s_lshr_b32 s5, s23, 31
	s_add_i32 s5, s23, s5
	s_ashr_i32 s5, s5, 1
	v_cvt_f32_u32_e32 v1, s5
	s_sub_i32 s6, 0, s5
	v_rcp_iflag_f32_e32 v1, v1
	s_nop 0
	v_mul_f32_e32 v1, 0x4f7ffffe, v1
	v_cvt_u32_f32_e32 v1, v1
	s_nop 0
	v_readfirstlane_b32 s7, v1
	s_mul_i32 s6, s6, s7
	s_mul_hi_u32 s6, s7, s6
	s_add_i32 s7, s7, s6
	s_mul_hi_u32 s6, s4, s7
	s_mul_i32 s7, s6, s5
	s_sub_i32 s7, s4, s7
	s_add_i32 s8, s6, 1
	s_sub_i32 s9, s7, s5
	s_cmp_ge_u32 s7, s5
	s_cselect_b32 s6, s8, s6
	s_cselect_b32 s7, s9, s7
	s_add_i32 s8, s6, 1
	s_cmp_ge_u32 s7, s5
	s_cselect_b32 s33, s8, s6
	s_abs_i32 s5, s31
	v_cvt_f32_u32_e32 v1, s5
	s_lshl_b32 s4, s4, 1
	s_mul_i32 s8, s33, s23
	s_sub_i32 s9, 0, s5
	v_rcp_iflag_f32_e32 v1, v1
	s_sub_i32 s28, s4, s8
	s_abs_i32 s7, s23
	s_xor_b32 s6, s23, s31
	v_mul_f32_e32 v1, 0x4f7ffffe, v1
	v_cvt_u32_f32_e32 v1, v1
	s_ashr_i32 s6, s6, 31
	v_readfirstlane_b32 s4, v1
	s_mul_i32 s9, s9, s4
	s_mul_hi_u32 s8, s4, s9
	s_add_i32 s4, s4, s8
	s_mul_hi_u32 s4, s7, s4
	s_mul_i32 s8, s4, s5
	s_sub_i32 s7, s7, s8
	s_add_i32 s9, s4, 1
	s_sub_i32 s8, s7, s5
	s_cmp_ge_u32 s7, s5
	s_cselect_b32 s4, s9, s4
	s_cselect_b32 s7, s8, s7
	s_add_i32 s8, s4, 1
	s_cmp_ge_u32 s7, s5
	s_cselect_b32 s4, s8, s4
	s_xor_b32 s4, s4, s6
	s_sub_i32 s31, s4, s6
	s_abs_i32 s29, s31
	v_cvt_f32_u32_e32 v1, s29
	s_load_dwordx16 s[4:19], s[0:1], 0x0
	v_rcp_iflag_f32_e32 v1, v1
	s_waitcnt lgkmcnt(0)
	s_cmp_eq_u64 s[10:11], 0
	v_mul_f32_e32 v1, 0x4f7ffffe, v1
	v_cvt_u32_f32_e32 v1, v1
	s_nop 0
	v_readfirstlane_b32 s38, v1
	s_cbranch_scc1 .LBB65_2
; %bb.1:
	s_abs_i32 s26, s36
	v_cvt_f32_u32_e32 v1, s26
	s_sub_i32 s35, 0, s26
	s_abs_i32 s34, s33
	s_ashr_i32 s27, s33, 31
	v_rcp_iflag_f32_e32 v1, v1
	s_load_dwordx2 s[24:25], s[0:1], 0xc8
	v_mul_f32_e32 v1, 0x4f7ffffe, v1
	v_cvt_u32_f32_e32 v1, v1
	s_nop 0
	v_readfirstlane_b32 s36, v1
	s_mul_i32 s35, s35, s36
	s_mul_hi_u32 s35, s36, s35
	s_add_i32 s36, s36, s35
	s_mul_hi_u32 s35, s34, s36
	s_mul_i32 s35, s35, s26
	s_sub_i32 s34, s34, s35
	s_sub_i32 s35, s34, s26
	s_cmp_ge_u32 s34, s26
	s_cselect_b32 s34, s35, s34
	s_sub_i32 s35, s34, s26
	s_cmp_ge_u32 s34, s26
	s_cselect_b32 s26, s35, s34
	s_xor_b32 s26, s26, s27
	s_sub_i32 s26, s26, s27
	s_ashr_i32 s27, s26, 31
	s_waitcnt lgkmcnt(0)
	s_mul_hi_u32 s34, s24, s26
	s_mul_i32 s27, s24, s27
	s_mul_i32 s25, s25, s26
	s_add_i32 s27, s34, s27
	s_add_i32 s27, s27, s25
	s_mul_i32 s24, s24, s26
	s_add_u32 s34, s10, s24
	s_addc_u32 s35, s11, s27
.LBB65_2:
	s_load_dwordx4 s[24:27], s[0:1], 0x70
	v_bfe_u32 v1, v0, 10, 10
	s_waitcnt lgkmcnt(0)
	s_lshl_b32 s27, s2, 4
	v_lshlrev_b32_e32 v29, 1, v1
	v_add_u32_e32 v31, s27, v29
	s_mul_i32 s10, s33, s26
	s_ashr_i32 s26, s10, 31
	v_lshlrev_b32_e32 v24, 2, v1
	s_mul_i32 s11, s28, s25
	s_add_u32 s4, s4, s10
	v_and_b32_e32 v30, 0x3ff, v0
	v_mul_hi_u32 v0, v31, s20
	v_or_b32_e32 v46, 2, v24
	s_addc_u32 s5, s5, s26
	s_ashr_i32 s26, s11, 31
	v_add_u32_e32 v0, v31, v0
	v_lshrrev_b32_e32 v26, 1, v46
	s_add_u32 s10, s4, s11
	v_lshrrev_b32_e32 v0, s21, v0
	v_add_u32_e32 v27, s27, v26
	s_addc_u32 s11, s5, s26
	s_ashr_i32 s41, s24, 31
	s_mov_b32 s40, s24
	v_mul_lo_u32 v0, v0, s22
	v_mul_hi_u32 v18, v27, s20
	s_lshr_b64 s[4:5], s[40:41], 2
	v_sub_u32_e32 v0, v31, v0
	v_add_u32_e32 v18, v27, v18
	v_mad_u64_u32 v[2:3], s[42:43], s4, v0, 0
	v_lshrrev_b32_e32 v18, s21, v18
	v_mov_b32_e32 v4, v3
	s_lshr_b32 s26, s41, 2
	v_mul_lo_u32 v18, v18, s22
	v_or_b32_e32 v47, 3, v24
	v_mad_u64_u32 v[4:5], s[40:41], s26, v0, v[4:5]
	v_sub_u32_e32 v21, v27, v18
	v_lshrrev_b32_e32 v24, 1, v47
	v_mov_b32_e32 v3, v4
	v_mad_u64_u32 v[18:19], s[40:41], s4, v21, 0
	v_add_u32_e32 v25, s27, v24
	v_lshlrev_b64 v[10:11], 2, v[2:3]
	v_mov_b32_e32 v20, v19
	v_mul_hi_u32 v28, v25, s20
	v_mov_b32_e32 v23, 0
	v_lshl_add_u64 v[2:3], s[10:11], 0, v[10:11]
	v_lshlrev_b32_e32 v22, 4, v30
	v_mad_u64_u32 v[20:21], s[40:41], s26, v21, v[20:21]
	v_add_u32_e32 v28, v25, v28
	v_lshl_add_u64 v[12:13], v[2:3], 0, v[22:23]
	s_ashr_i32 s5, s25, 31
	s_and_b32 s24, s25, -4
	v_mov_b32_e32 v19, v20
	v_lshrrev_b32_e32 v28, s21, v28
	global_load_dwordx4 v[2:5], v[12:13], off
	global_load_dwordx4 v[6:9], v[12:13], off offset:512
	s_add_u32 s24, s10, s24
	v_lshl_add_u64 v[18:19], v[18:19], 2, s[10:11]
	v_mul_lo_u32 v28, v28, s22
	s_addc_u32 s25, s11, s5
	v_lshl_add_u64 v[32:33], v[18:19], 0, v[22:23]
	v_sub_u32_e32 v38, v25, v28
	v_lshl_add_u64 v[10:11], s[24:25], 0, v[10:11]
	global_load_dwordx4 v[18:21], v[32:33], off
	global_load_dwordx4 v[34:37], v[32:33], off offset:512
	v_mad_u64_u32 v[32:33], s[4:5], s4, v38, 0
	v_lshl_add_u64 v[14:15], v[10:11], 0, v[22:23]
	v_mov_b32_e32 v28, v33
	global_load_dwordx4 v[10:13], v[14:15], off
	v_mad_u64_u32 v[38:39], s[4:5], s26, v38, v[28:29]
	v_mov_b32_e32 v33, v38
	v_lshl_add_u64 v[32:33], v[32:33], 2, s[24:25]
	v_lshl_add_u64 v[22:23], v[32:33], 0, v[22:23]
	global_load_dwordx4 v[38:41], v[22:23], off
	global_load_dwordx4 v[42:45], v[22:23], off offset:512
	s_load_dword s4, s[0:1], 0x40
	global_load_dwordx4 v[14:17], v[14:15], off offset:512
	v_lshlrev_b32_e32 v32, 3, v30
	v_lshlrev_b32_e32 v33, 11, v1
	v_add_u32_e32 v28, v32, v33
	s_cmp_eq_u64 s[14:15], 0
	s_waitcnt vmcnt(7) lgkmcnt(0)
	v_fma_mixlo_f16 v2, s4, v2, 0
	v_fma_mixlo_f16 v3, s4, v3, 0
	;; [unrolled: 1-line block ×4, first 2 shown]
	s_waitcnt vmcnt(6)
	v_fma_mixlo_f16 v6, s4, v6, 0
	v_fma_mixlo_f16 v7, s4, v7, 0
	v_fma_mixlo_f16 v8, s4, v8, 0
	v_fma_mixlo_f16 v9, s4, v9, 0
	v_lshlrev_b32_e32 v3, 16, v3
	v_and_b32_e32 v2, 0xffff, v2
	v_lshlrev_b32_e32 v5, 16, v5
	v_and_b32_e32 v4, 0xffff, v4
	;; [unrolled: 2-line block ×3, first 2 shown]
	v_or_b32_e32 v2, v3, v2
	v_or3_b32 v3, v5, v4, 0
	v_or_b32_e32 v4, v7, v6
	v_lshlrev_b32_e32 v5, 16, v9
	v_and_b32_e32 v6, 0xffff, v8
	v_or3_b32 v2, 0, 0, v2
	v_or3_b32 v5, v5, v6, 0
	;; [unrolled: 1-line block ×3, first 2 shown]
	ds_write2_b64 v28, v[2:3], v[4:5] offset1:32
	s_waitcnt vmcnt(3)
	v_fma_mixlo_f16 v2, s4, v10, 0
	v_fma_mixlo_f16 v3, s4, v11, 0
	v_lshlrev_b32_e32 v3, 16, v3
	v_and_b32_e32 v2, 0xffff, v2
	v_or_b32_e32 v2, v3, v2
	v_fma_mixlo_f16 v3, s4, v12, 0
	v_fma_mixlo_f16 v4, s4, v13, 0
	v_lshlrev_b32_e32 v4, 16, v4
	v_and_b32_e32 v3, 0xffff, v3
	v_or3_b32 v3, v4, v3, 0
	s_waitcnt vmcnt(0)
	v_fma_mixlo_f16 v4, s4, v14, 0
	v_fma_mixlo_f16 v5, s4, v15, 0
	v_lshlrev_b32_e32 v5, 16, v5
	v_and_b32_e32 v4, 0xffff, v4
	v_or_b32_e32 v4, v5, v4
	v_fma_mixlo_f16 v5, s4, v16, 0
	v_fma_mixlo_f16 v6, s4, v17, 0
	v_lshlrev_b32_e32 v6, 16, v6
	v_and_b32_e32 v5, 0xffff, v5
	v_or3_b32 v2, 0, 0, v2
	v_or3_b32 v5, v6, v5, 0
	;; [unrolled: 1-line block ×3, first 2 shown]
	ds_write2_b64 v28, v[2:3], v[4:5] offset0:64 offset1:96
	v_fma_mixlo_f16 v2, s4, v18, 0
	v_fma_mixlo_f16 v3, s4, v19, 0
	v_lshlrev_b32_e32 v3, 16, v3
	v_and_b32_e32 v2, 0xffff, v2
	v_or_b32_e32 v2, v3, v2
	v_fma_mixlo_f16 v3, s4, v20, 0
	v_fma_mixlo_f16 v4, s4, v21, 0
	v_lshlrev_b32_e32 v4, 16, v4
	v_and_b32_e32 v3, 0xffff, v3
	v_or3_b32 v3, v4, v3, 0
	v_fma_mixlo_f16 v4, s4, v34, 0
	v_fma_mixlo_f16 v5, s4, v35, 0
	v_lshlrev_b32_e32 v5, 16, v5
	v_and_b32_e32 v4, 0xffff, v4
	v_or_b32_e32 v4, v5, v4
	v_fma_mixlo_f16 v5, s4, v36, 0
	v_fma_mixlo_f16 v7, s4, v37, 0
	v_lshlrev_b32_e32 v7, 16, v7
	v_and_b32_e32 v5, 0xffff, v5
	v_lshl_add_u32 v6, v46, 9, v32
	v_or3_b32 v2, 0, 0, v2
	v_or3_b32 v5, v7, v5, 0
	;; [unrolled: 1-line block ×3, first 2 shown]
	ds_write2_b64 v6, v[2:3], v[4:5] offset1:32
	v_fma_mixlo_f16 v2, s4, v38, 0
	v_fma_mixlo_f16 v3, s4, v39, 0
	v_lshlrev_b32_e32 v3, 16, v3
	v_and_b32_e32 v2, 0xffff, v2
	v_or_b32_e32 v2, v3, v2
	v_fma_mixlo_f16 v3, s4, v40, 0
	v_fma_mixlo_f16 v4, s4, v41, 0
	v_lshlrev_b32_e32 v4, 16, v4
	v_and_b32_e32 v3, 0xffff, v3
	v_or3_b32 v3, v4, v3, 0
	v_fma_mixlo_f16 v4, s4, v42, 0
	v_fma_mixlo_f16 v5, s4, v43, 0
	v_lshlrev_b32_e32 v5, 16, v5
	v_and_b32_e32 v4, 0xffff, v4
	v_or_b32_e32 v4, v5, v4
	v_fma_mixlo_f16 v5, s4, v44, 0
	v_fma_mixlo_f16 v7, s4, v45, 0
	v_lshlrev_b32_e32 v7, 16, v7
	v_and_b32_e32 v5, 0xffff, v5
	v_lshl_add_u32 v6, v47, 9, v32
	v_or3_b32 v2, 0, 0, v2
	v_or3_b32 v5, v7, v5, 0
	;; [unrolled: 1-line block ×3, first 2 shown]
	ds_write2_b64 v6, v[2:3], v[4:5] offset1:32
	s_waitcnt lgkmcnt(0)
	s_barrier
	s_cbranch_scc1 .LBB65_4
; %bb.3:
	s_load_dword s4, s[0:1], 0xd0
	s_mov_b32 s5, 0
	s_waitcnt lgkmcnt(0)
	s_mul_i32 s4, s4, s33
	s_add_i32 s4, s4, s2
	s_lshl_b64 s[4:5], s[4:5], 2
	s_add_u32 s4, s14, s4
	s_addc_u32 s5, s15, s5
	s_load_dword s30, s[4:5], 0x0
.LBB65_4:
	s_lshl_b32 s2, s3, 5
	v_lshlrev_b32_e32 v28, 2, v30
	s_waitcnt lgkmcnt(0)
	s_cmp_lt_i32 s2, s30
	v_mbcnt_lo_u32_b32 v2, -1, 0
	s_cbranch_scc1 .LBB65_29
; %bb.5:
	v_mbcnt_hi_u32_b32 v34, -1, v2
	v_and_b32_e32 v3, 0x60, v34
	v_add_u32_e32 v4, 32, v3
	v_xor_b32_e32 v6, 16, v34
	v_xor_b32_e32 v68, 8, v34
	;; [unrolled: 1-line block ×5, first 2 shown]
	s_cbranch_execz .LBB65_30
; %bb.6:
	v_mov_b32_e32 v9, 0
	v_mov_b32_e32 v56, 0
	;; [unrolled: 1-line block ×24, first 2 shown]
.LBB65_7:
	v_cmp_lt_i32_e32 vcc, v6, v4
	s_cmp_lg_u64 s[12:13], 0
	s_cselect_b64 s[4:5], -1, 0
	v_cndmask_b32_e32 v6, v34, v6, vcc
	v_cmp_lt_i32_e32 vcc, v68, v4
	v_lshlrev_b32_e32 v6, 2, v6
	ds_bpermute_b32 v13, v6, v11
	v_cndmask_b32_e32 v12, v34, v68, vcc
	v_cmp_lt_i32_e32 vcc, v69, v4
	v_lshlrev_b32_e32 v16, 2, v12
	ds_bpermute_b32 v14, v6, v8
	v_cndmask_b32_e32 v12, v34, v69, vcc
	v_lshlrev_b32_e32 v17, 2, v12
	ds_bpermute_b32 v12, v6, v10
	ds_bpermute_b32 v15, v6, v9
	v_cmp_lt_i32_e32 vcc, v7, v4
	s_cmp_eq_u32 s3, 0
	s_cselect_b64 s[6:7], -1, 0
	v_cndmask_b32_e32 v18, v34, v7, vcc
	s_waitcnt lgkmcnt(1)
	v_pk_add_f32 v[6:7], v[10:11], v[12:13]
	s_waitcnt lgkmcnt(0)
	v_pk_add_f32 v[8:9], v[8:9], v[14:15]
	ds_bpermute_b32 v10, v16, v6
	ds_bpermute_b32 v11, v16, v7
	;; [unrolled: 1-line block ×4, first 2 shown]
	v_cmp_lt_i32_e32 vcc, v5, v4
	v_lshlrev_b32_e32 v14, 2, v18
	s_waitcnt lgkmcnt(2)
	v_pk_add_f32 v[6:7], v[6:7], v[10:11]
	ds_bpermute_b32 v10, v17, v6
	s_waitcnt lgkmcnt(1)
	v_pk_add_f32 v[8:9], v[8:9], v[12:13]
	ds_bpermute_b32 v11, v17, v7
	ds_bpermute_b32 v12, v17, v8
	;; [unrolled: 1-line block ×3, first 2 shown]
	v_cndmask_b32_e32 v15, v34, v5, vcc
	s_and_b64 s[4:5], s[6:7], s[4:5]
	s_waitcnt lgkmcnt(2)
	v_pk_add_f32 v[4:5], v[6:7], v[10:11]
	ds_bpermute_b32 v6, v14, v4
	s_waitcnt lgkmcnt(1)
	v_pk_add_f32 v[8:9], v[8:9], v[12:13]
	ds_bpermute_b32 v7, v14, v5
	ds_bpermute_b32 v10, v14, v8
	;; [unrolled: 1-line block ×3, first 2 shown]
	v_lshlrev_b32_e32 v12, 2, v15
	s_and_b64 vcc, exec, s[4:5]
	s_waitcnt lgkmcnt(2)
	v_pk_add_f32 v[4:5], v[4:5], v[6:7]
	ds_bpermute_b32 v6, v12, v4
	s_waitcnt lgkmcnt(1)
	v_pk_add_f32 v[8:9], v[8:9], v[10:11]
	ds_bpermute_b32 v7, v12, v5
	ds_bpermute_b32 v10, v12, v8
	;; [unrolled: 1-line block ×3, first 2 shown]
	s_waitcnt lgkmcnt(2)
	v_pk_add_f32 v[6:7], v[4:5], v[6:7]
	s_waitcnt lgkmcnt(0)
	v_pk_add_f32 v[4:5], v[8:9], v[10:11]
	s_cbranch_vccz .LBB65_9
; %bb.8:
	s_ashr_i32 s29, s28, 31
	s_lshl_b64 s[4:5], s[28:29], 2
	s_add_u32 s4, s12, s4
	s_addc_u32 s5, s13, s5
	v_mov_b32_e32 v8, 0
	global_load_dwordx2 v[12:13], v8, s[4:5]
	v_max_f32_e32 v8, v0, v0
	v_max_f32_e32 v9, v1, v1
	;; [unrolled: 1-line block ×3, first 2 shown]
	s_mov_b32 s5, 0x3fb8aa3b
	s_mov_b32 s2, 0xc2ce8ed0
	;; [unrolled: 1-line block ×3, first 2 shown]
	v_mov_b32_e32 v16, 0x7f800000
	s_waitcnt vmcnt(0)
	v_max_f32_e32 v11, v12, v12
	v_max_f32_e32 v8, v8, v11
	;; [unrolled: 1-line block ×3, first 2 shown]
	v_sub_f32_e32 v0, v0, v8
	v_max_f32_e32 v9, v9, v17
	v_max_f32_e32 v10, v10, v11
	v_sub_f32_e32 v11, v12, v8
	v_mul_f32_e32 v14, 0x3fb8aa3b, v0
	v_sub_f32_e32 v1, v1, v9
	v_mul_f32_e32 v18, 0x3fb8aa3b, v11
	v_fma_f32 v23, v0, s5, -v14
	v_rndne_f32_e32 v32, v14
	v_sub_f32_e32 v15, v13, v9
	v_mul_f32_e32 v19, 0x3fb8aa3b, v1
	v_fma_f32 v33, v11, s5, -v18
	v_rndne_f32_e32 v34, v18
	v_fmac_f32_e32 v23, 0x32a5705f, v0
	v_sub_f32_e32 v14, v14, v32
	v_mul_f32_e32 v20, 0x3fb8aa3b, v15
	v_fma_f32 v35, v1, s5, -v19
	v_rndne_f32_e32 v36, v19
	v_fmac_f32_e32 v33, 0x32a5705f, v11
	v_sub_f32_e32 v18, v18, v34
	v_add_f32_e32 v14, v14, v23
	v_fma_f32 v37, v15, s5, -v20
	v_rndne_f32_e32 v38, v20
	v_cvt_i32_f32_e32 v32, v32
	v_fmac_f32_e32 v35, 0x32a5705f, v1
	v_sub_f32_e32 v19, v19, v36
	v_add_f32_e32 v18, v18, v33
	v_exp_f32_e32 v14, v14
	v_cvt_i32_f32_e32 v34, v34
	v_fmac_f32_e32 v37, 0x32a5705f, v15
	v_sub_f32_e32 v20, v20, v38
	v_add_f32_e32 v19, v19, v35
	v_exp_f32_e32 v18, v18
	v_cvt_i32_f32_e32 v36, v36
	v_add_f32_e32 v20, v20, v37
	v_exp_f32_e32 v19, v19
	v_cvt_i32_f32_e32 v38, v38
	v_exp_f32_e32 v20, v20
	v_ldexp_f32 v14, v14, v32
	v_cmp_ngt_f32_e32 vcc, s2, v0
	v_ldexp_f32 v18, v18, v34
	v_ldexp_f32 v19, v19, v36
	v_cndmask_b32_e32 v14, 0, v14, vcc
	v_cmp_ngt_f32_e32 vcc, s2, v11
	v_ldexp_f32 v20, v20, v38
	v_sub_f32_e32 v2, v2, v10
	v_cndmask_b32_e32 v18, 0, v18, vcc
	v_cmp_ngt_f32_e32 vcc, s2, v1
	v_mul_f32_e32 v21, 0x3fb8aa3b, v2
	v_sub_f32_e32 v12, v12, v10
	v_cndmask_b32_e32 v19, 0, v19, vcc
	v_cmp_ngt_f32_e32 vcc, s2, v15
	v_fma_f32 v39, v2, s5, -v21
	v_rndne_f32_e32 v40, v21
	v_cndmask_b32_e32 v20, 0, v20, vcc
	v_cmp_nlt_f32_e32 vcc, s4, v0
	v_mul_f32_e32 v22, 0x3fb8aa3b, v12
	v_fmac_f32_e32 v39, 0x32a5705f, v2
	v_cndmask_b32_e32 v0, v16, v14, vcc
	v_cmp_nlt_f32_e32 vcc, s4, v11
	v_cvt_f16_f32_e32 v11, v0
	v_sub_f32_e32 v21, v21, v40
	v_cndmask_b32_e32 v14, v16, v18, vcc
	v_cmp_nlt_f32_e32 vcc, s4, v1
	v_fma_f32 v41, v12, s5, -v22
	v_rndne_f32_e32 v42, v22
	v_add_f32_e32 v21, v21, v39
	v_cndmask_b32_e32 v1, v16, v19, vcc
	v_cvt_i32_f32_e32 v40, v40
	v_fmac_f32_e32 v41, 0x32a5705f, v12
	v_sub_f32_e32 v22, v22, v42
	v_exp_f32_e32 v21, v21
	v_cvt_f16_f32_e32 v18, v1
	v_add_f32_e32 v22, v22, v41
	v_mul_u32_u24_e32 v11, 0x10001, v11
	v_exp_f32_e32 v22, v22
	v_pk_mul_f16 v56, v56, v11
	v_pk_mul_f16 v60, v60, v11
	;; [unrolled: 1-line block ×4, first 2 shown]
	v_cvt_i32_f32_e32 v11, v42
	v_cmp_nlt_f32_e32 vcc, s4, v15
	v_ldexp_f32 v21, v21, v40
	v_mul_u32_u24_e32 v18, 0x10001, v18
	v_cndmask_b32_e32 v15, v16, v20, vcc
	v_cmp_ngt_f32_e32 vcc, s2, v2
	v_pk_mul_f16 v53, v53, v18
	v_pk_mul_f16 v57, v57, v18
	;; [unrolled: 1-line block ×4, first 2 shown]
	v_cndmask_b32_e32 v18, 0, v21, vcc
	v_cmp_nlt_f32_e32 vcc, s4, v2
	v_ldexp_f32 v11, v22, v11
	v_pk_fma_f32 v[6:7], v[6:7], v[0:1], v[14:15]
	v_cndmask_b32_e32 v2, v16, v18, vcc
	v_cmp_ngt_f32_e32 vcc, s2, v12
	v_cvt_f16_f32_e32 v18, v2
	v_mul_u32_u24_e32 v18, 0x10001, v18
	v_cndmask_b32_e32 v11, 0, v11, vcc
	v_cmp_nlt_f32_e32 vcc, s4, v12
	v_pk_mul_f16 v49, v49, v18
	v_pk_mul_f16 v52, v52, v18
	v_cndmask_b32_e32 v12, v16, v11, vcc
	v_max_f32_e32 v11, v3, v3
	v_max_f32_e32 v11, v11, v17
	v_sub_f32_e32 v3, v3, v11
	v_mul_f32_e32 v17, 0x3fb8aa3b, v3
	v_fma_f32 v19, v3, s5, -v17
	v_rndne_f32_e32 v20, v17
	v_fmac_f32_e32 v19, 0x32a5705f, v3
	v_sub_f32_e32 v17, v17, v20
	v_add_f32_e32 v17, v17, v19
	v_exp_f32_e32 v17, v17
	v_cvt_i32_f32_e32 v19, v20
	v_sub_f32_e32 v13, v13, v11
	v_pk_mul_f16 v50, v50, v18
	v_pk_mul_f16 v51, v51, v18
	v_mul_f32_e32 v18, 0x3fb8aa3b, v13
	v_ldexp_f32 v17, v17, v19
	v_fma_f32 v19, v13, s5, -v18
	v_rndne_f32_e32 v20, v18
	v_fmac_f32_e32 v19, 0x32a5705f, v13
	v_sub_f32_e32 v18, v18, v20
	v_add_f32_e32 v18, v18, v19
	v_exp_f32_e32 v18, v18
	v_cvt_i32_f32_e32 v19, v20
	v_cmp_ngt_f32_e32 vcc, s2, v3
	s_nop 1
	v_cndmask_b32_e32 v17, 0, v17, vcc
	v_cmp_nlt_f32_e32 vcc, s4, v3
	s_nop 1
	v_cndmask_b32_e32 v3, v16, v17, vcc
	v_ldexp_f32 v17, v18, v19
	v_cvt_f16_f32_e32 v18, v3
	v_cmp_ngt_f32_e32 vcc, s2, v13
	s_nop 1
	v_cndmask_b32_e32 v17, 0, v17, vcc
	v_cmp_nlt_f32_e32 vcc, s4, v13
	s_nop 1
	v_cndmask_b32_e32 v13, v16, v17, vcc
	v_mul_u32_u24_e32 v16, 0x10001, v18
	v_pk_fma_f32 v[4:5], v[4:5], v[2:3], v[12:13]
	v_mov_b64_e32 v[0:1], v[8:9]
	v_pk_mul_f16 v48, v48, v16
	v_pk_mul_f16 v47, v47, v16
	;; [unrolled: 1-line block ×4, first 2 shown]
	v_mov_b64_e32 v[2:3], v[10:11]
.LBB65_9:
	v_cmp_gt_i32_e32 vcc, s22, v31
	s_and_saveexec_b64 s[4:5], vcc
	s_cbranch_execz .LBB65_28
; %bb.10:
	s_load_dword s2, s[0:1], 0xd4
	v_mov_b32_e32 v8, 1.0
	s_waitcnt lgkmcnt(0)
	s_cmp_lg_u32 s2, 1
	s_cselect_b64 s[0:1], -1, 0
	s_cmp_eq_u32 s2, 1
	s_cselect_b64 s[6:7], -1, 0
	s_and_b64 vcc, exec, s[0:1]
	s_cbranch_vccnz .LBB65_12
; %bb.11:
	v_div_scale_f32 v8, s[4:5], v6, v6, 1.0
	v_rcp_f32_e32 v9, v8
	v_div_scale_f32 v10, vcc, 1.0, v6, 1.0
	v_fma_f32 v11, -v8, v9, 1.0
	v_fmac_f32_e32 v9, v11, v9
	v_mul_f32_e32 v11, v10, v9
	v_fma_f32 v12, -v8, v11, v10
	v_fmac_f32_e32 v11, v12, v9
	v_fma_f32 v8, -v8, v11, v10
	v_div_fmas_f32 v8, v8, v9, v11
	v_div_fixup_f32 v8, v8, v6, 1.0
.LBB65_12:
	s_mul_i32 s8, s33, s22
	s_add_i32 s8, s8, s27
	v_add_u32_e32 v9, s8, v29
	v_mul_lo_u32 v9, v9, s23
	v_add_u32_e32 v10, s28, v9
	v_cvt_f32_f16_sdwa v13, v56 dst_sel:DWORD dst_unused:UNUSED_PAD src0_sel:WORD_1
	v_cvt_f32_f16_e32 v12, v56
	v_cvt_f32_f16_sdwa v15, v60 dst_sel:DWORD dst_unused:UNUSED_PAD src0_sel:WORD_1
	v_cvt_f32_f16_e32 v14, v60
	v_mul_lo_u32 v10, s2, v10
	v_add_u32_e32 v10, s3, v10
	v_lshl_add_u32 v16, v10, 8, v28
	v_mov_b32_e32 v17, 0
	v_lshl_add_u64 v[18:19], v[16:17], 2, s[16:17]
	v_pk_mul_f32 v[12:13], v[8:9], v[12:13] op_sel_hi:[0,1]
	v_pk_mul_f32 v[14:15], v[8:9], v[14:15] op_sel_hi:[0,1]
	global_store_dwordx4 v[18:19], v[12:15], off
	v_cmp_eq_u32_e32 vcc, 0, v30
	v_add_u32_e32 v16, 0x80, v16
	v_cvt_f32_f16_sdwa v13, v58 dst_sel:DWORD dst_unused:UNUSED_PAD src0_sel:WORD_1
	v_cvt_f32_f16_e32 v12, v58
	v_cvt_f32_f16_sdwa v15, v59 dst_sel:DWORD dst_unused:UNUSED_PAD src0_sel:WORD_1
	v_cvt_f32_f16_e32 v14, v59
	v_lshl_add_u64 v[16:17], v[16:17], 2, s[16:17]
	v_pk_mul_f32 v[12:13], v[8:9], v[12:13] op_sel_hi:[0,1]
	s_and_b64 s[4:5], vcc, s[0:1]
	v_pk_mul_f32 v[14:15], v[8:9], v[14:15] op_sel_hi:[0,1]
	global_store_dwordx4 v[16:17], v[12:15], off
	s_and_saveexec_b64 s[0:1], s[4:5]
	s_cbranch_execz .LBB65_14
; %bb.13:
	v_ashrrev_i32_e32 v11, 31, v10
	v_lshl_add_u64 v[10:11], v[10:11], 3, s[18:19]
	v_mov_b32_e32 v12, v0
	v_mov_b32_e32 v13, v6
	global_store_dwordx2 v[10:11], v[12:13], off
.LBB65_14:
	s_or_b64 exec, exec, s[0:1]
	v_cndmask_b32_e64 v0, 0, 1, s[6:7]
	v_cmp_ne_u32_e64 s[0:1], 1, v0
	s_andn2_b64 vcc, exec, s[6:7]
	v_mov_b32_e32 v0, 1.0
	s_cbranch_vccnz .LBB65_16
; %bb.15:
	v_div_scale_f32 v0, s[6:7], v7, v7, 1.0
	v_rcp_f32_e32 v6, v0
	v_div_scale_f32 v8, vcc, 1.0, v7, 1.0
	v_fma_f32 v10, -v0, v6, 1.0
	v_fmac_f32_e32 v6, v10, v6
	v_mul_f32_e32 v10, v8, v6
	v_fma_f32 v11, -v0, v10, v8
	v_fmac_f32_e32 v10, v11, v6
	v_fma_f32 v0, -v0, v10, v8
	v_div_fmas_f32 v0, v0, v6, v10
	v_div_fixup_f32 v0, v0, v7, 1.0
.LBB65_16:
	s_add_i32 s9, s28, 1
	v_add_u32_e32 v6, s9, v9
	v_cvt_f32_f16_sdwa v11, v53 dst_sel:DWORD dst_unused:UNUSED_PAD src0_sel:WORD_1
	v_cvt_f32_f16_e32 v10, v53
	v_cvt_f32_f16_sdwa v13, v57 dst_sel:DWORD dst_unused:UNUSED_PAD src0_sel:WORD_1
	v_cvt_f32_f16_e32 v12, v57
	v_mul_lo_u32 v6, s2, v6
	v_add_u32_e32 v8, s3, v6
	v_lshl_add_u32 v14, v8, 8, v28
	v_mov_b32_e32 v15, 0
	v_lshl_add_u64 v[16:17], v[14:15], 2, s[16:17]
	v_pk_mul_f32 v[10:11], v[0:1], v[10:11] op_sel_hi:[0,1]
	v_pk_mul_f32 v[12:13], v[0:1], v[12:13] op_sel_hi:[0,1]
	global_store_dwordx4 v[16:17], v[10:13], off
	v_add_u32_e32 v14, 0x80, v14
	v_lshl_add_u64 v[14:15], v[14:15], 2, s[16:17]
	v_cvt_f32_f16_sdwa v11, v54 dst_sel:DWORD dst_unused:UNUSED_PAD src0_sel:WORD_1
	v_cvt_f32_f16_e32 v10, v54
	v_cvt_f32_f16_sdwa v13, v55 dst_sel:DWORD dst_unused:UNUSED_PAD src0_sel:WORD_1
	v_cvt_f32_f16_e32 v12, v55
	v_pk_mul_f32 v[10:11], v[0:1], v[10:11] op_sel_hi:[0,1]
	v_pk_mul_f32 v[12:13], v[0:1], v[12:13] op_sel_hi:[0,1]
	global_store_dwordx4 v[14:15], v[10:13], off
	s_and_saveexec_b64 s[6:7], s[4:5]
	s_cbranch_execz .LBB65_18
; %bb.17:
	v_ashrrev_i32_e32 v9, 31, v8
	v_lshl_add_u64 v[8:9], v[8:9], 3, s[18:19]
	v_mov_b32_e32 v6, v1
	global_store_dwordx2 v[8:9], v[6:7], off
.LBB65_18:
	s_or_b64 exec, exec, s[6:7]
	v_cmp_gt_i32_e32 vcc, s22, v27
	s_and_b64 exec, exec, vcc
	s_cbranch_execz .LBB65_28
; %bb.19:
	s_and_b64 vcc, exec, s[0:1]
	v_mov_b32_e32 v6, 1.0
	s_cbranch_vccnz .LBB65_21
; %bb.20:
	v_div_scale_f32 v0, s[6:7], v4, v4, 1.0
	v_rcp_f32_e32 v1, v0
	v_div_scale_f32 v6, vcc, 1.0, v4, 1.0
	v_fma_f32 v7, -v0, v1, 1.0
	v_fmac_f32_e32 v1, v7, v1
	v_mul_f32_e32 v7, v6, v1
	v_fma_f32 v8, -v0, v7, v6
	v_fmac_f32_e32 v7, v8, v1
	v_fma_f32 v0, -v0, v7, v6
	v_div_fmas_f32 v0, v0, v1, v7
	v_div_fixup_f32 v6, v0, v4, 1.0
.LBB65_21:
	v_add_u32_e32 v0, s8, v26
	v_mul_lo_u32 v0, v0, s23
	v_add_u32_e32 v0, s28, v0
	v_cvt_f32_f16_sdwa v9, v49 dst_sel:DWORD dst_unused:UNUSED_PAD src0_sel:WORD_1
	v_cvt_f32_f16_e32 v8, v49
	v_cvt_f32_f16_sdwa v11, v52 dst_sel:DWORD dst_unused:UNUSED_PAD src0_sel:WORD_1
	v_cvt_f32_f16_e32 v10, v52
	v_mul_lo_u32 v0, s2, v0
	v_add_u32_e32 v0, s3, v0
	v_lshl_add_u32 v12, v0, 8, v28
	v_mov_b32_e32 v13, 0
	v_lshl_add_u64 v[14:15], v[12:13], 2, s[16:17]
	v_pk_mul_f32 v[8:9], v[6:7], v[8:9] op_sel_hi:[0,1]
	v_pk_mul_f32 v[10:11], v[6:7], v[10:11] op_sel_hi:[0,1]
	global_store_dwordx4 v[14:15], v[8:11], off
	v_add_u32_e32 v12, 0x80, v12
	v_lshl_add_u64 v[12:13], v[12:13], 2, s[16:17]
	v_cvt_f32_f16_sdwa v9, v50 dst_sel:DWORD dst_unused:UNUSED_PAD src0_sel:WORD_1
	v_cvt_f32_f16_e32 v8, v50
	v_cvt_f32_f16_sdwa v11, v51 dst_sel:DWORD dst_unused:UNUSED_PAD src0_sel:WORD_1
	v_cvt_f32_f16_e32 v10, v51
	v_pk_mul_f32 v[8:9], v[6:7], v[8:9] op_sel_hi:[0,1]
	v_pk_mul_f32 v[10:11], v[6:7], v[10:11] op_sel_hi:[0,1]
	global_store_dwordx4 v[12:13], v[8:11], off
	s_and_saveexec_b64 s[6:7], s[4:5]
	s_cbranch_execz .LBB65_23
; %bb.22:
	v_ashrrev_i32_e32 v1, 31, v0
	v_lshl_add_u64 v[0:1], v[0:1], 3, s[18:19]
	v_mov_b32_e32 v6, v2
	v_mov_b32_e32 v7, v4
	global_store_dwordx2 v[0:1], v[6:7], off
.LBB65_23:
	s_or_b64 exec, exec, s[6:7]
	v_cmp_gt_i32_e32 vcc, s22, v25
	s_and_b64 exec, exec, vcc
	s_cbranch_execz .LBB65_28
; %bb.24:
	s_and_b64 vcc, exec, s[0:1]
	v_mov_b32_e32 v2, 1.0
	s_cbranch_vccnz .LBB65_26
; %bb.25:
	v_div_scale_f32 v0, s[0:1], v5, v5, 1.0
	v_rcp_f32_e32 v1, v0
	v_div_scale_f32 v2, vcc, 1.0, v5, 1.0
	v_fma_f32 v4, -v0, v1, 1.0
	v_fmac_f32_e32 v1, v4, v1
	v_mul_f32_e32 v4, v2, v1
	v_fma_f32 v6, -v0, v4, v2
	v_fmac_f32_e32 v4, v6, v1
	v_fma_f32 v0, -v0, v4, v2
	v_div_fmas_f32 v0, v0, v1, v4
	v_div_fixup_f32 v2, v0, v5, 1.0
.LBB65_26:
	v_add_u32_e32 v0, s8, v24
	v_mul_lo_u32 v0, v0, s23
	v_add_u32_e32 v0, s9, v0
	v_cvt_f32_f16_sdwa v7, v48 dst_sel:DWORD dst_unused:UNUSED_PAD src0_sel:WORD_1
	v_cvt_f32_f16_e32 v6, v48
	v_cvt_f32_f16_sdwa v9, v47 dst_sel:DWORD dst_unused:UNUSED_PAD src0_sel:WORD_1
	v_cvt_f32_f16_e32 v8, v47
	v_mul_lo_u32 v0, s2, v0
	v_add_u32_e32 v0, s3, v0
	v_lshl_add_u32 v10, v0, 8, v28
	v_mov_b32_e32 v11, 0
	v_lshl_add_u64 v[12:13], v[10:11], 2, s[16:17]
	v_pk_mul_f32 v[6:7], v[2:3], v[6:7] op_sel_hi:[0,1]
	v_pk_mul_f32 v[8:9], v[2:3], v[8:9] op_sel_hi:[0,1]
	global_store_dwordx4 v[12:13], v[6:9], off
	v_add_u32_e32 v10, 0x80, v10
	v_lshl_add_u64 v[10:11], v[10:11], 2, s[16:17]
	v_cvt_f32_f16_sdwa v7, v45 dst_sel:DWORD dst_unused:UNUSED_PAD src0_sel:WORD_1
	v_cvt_f32_f16_e32 v6, v45
	v_cvt_f32_f16_sdwa v9, v46 dst_sel:DWORD dst_unused:UNUSED_PAD src0_sel:WORD_1
	v_cvt_f32_f16_e32 v8, v46
	v_pk_mul_f32 v[6:7], v[2:3], v[6:7] op_sel_hi:[0,1]
	v_pk_mul_f32 v[8:9], v[2:3], v[8:9] op_sel_hi:[0,1]
	global_store_dwordx4 v[10:11], v[6:9], off
	s_and_b64 exec, exec, s[4:5]
	s_cbranch_execz .LBB65_28
; %bb.27:
	v_ashrrev_i32_e32 v1, 31, v0
	v_lshl_add_u64 v[0:1], v[0:1], 3, s[18:19]
	v_mov_b32_e32 v4, v3
	global_store_dwordx2 v[0:1], v[4:5], off
.LBB65_28:
	s_endpgm
.LBB65_29:
                                        ; implicit-def: $vgpr34
                                        ; implicit-def: $vgpr4
                                        ; implicit-def: $vgpr6
                                        ; implicit-def: $vgpr68
                                        ; implicit-def: $vgpr69
                                        ; implicit-def: $vgpr7
                                        ; implicit-def: $vgpr5
.LBB65_30:
	s_sub_i32 s4, 0, s29
	s_mul_i32 s4, s4, s38
	s_mul_hi_u32 s4, s38, s4
	s_add_i32 s38, s38, s4
	s_load_dwordx4 s[40:43], s[0:1], 0x98
	s_load_dword s10, s[0:1], 0x54
	s_load_dwordx2 s[4:5], s[0:1], 0x8c
	s_ashr_i32 s26, s31, 31
	s_ashr_i32 s31, s37, 1
	s_waitcnt lgkmcnt(0)
	s_mul_hi_u32 s36, s40, s33
	s_abs_i32 s15, s28
	s_ashr_i32 s14, s4, 2
	s_ashr_i32 s4, s33, 31
	s_mul_i32 s37, s40, s4
	s_add_i32 s36, s36, s37
	s_mul_i32 s37, s41, s33
	s_ashr_i32 s25, s28, 31
	s_ashr_i32 s11, s42, 2
	s_add_i32 s36, s36, s37
	s_mul_i32 s37, s40, s33
	s_mul_hi_u32 s24, s15, s38
	s_add_u32 s6, s6, s37
	s_addc_u32 s7, s7, s36
	s_xor_b32 s25, s25, s26
	s_mul_i32 s26, s24, s29
	s_sub_i32 s15, s15, s26
	s_add_i32 s26, s24, 1
	s_sub_i32 s36, s15, s29
	s_cmp_ge_u32 s15, s29
	s_cselect_b32 s24, s26, s24
	s_cselect_b32 s15, s36, s15
	s_add_i32 s26, s24, 1
	s_cmp_ge_u32 s15, s29
	s_load_dwordx2 s[38:39], s[0:1], 0xa8
	s_cselect_b32 s15, s26, s24
	s_xor_b32 s15, s15, s25
	s_sub_i32 s25, s15, s25
	s_mul_i32 s5, s25, s5
	s_ashr_i32 s24, s5, 31
	s_add_u32 s15, s6, s5
	s_waitcnt lgkmcnt(0)
	s_mul_hi_u32 s5, s38, s33
	s_mul_i32 s4, s38, s4
	s_addc_u32 s24, s7, s24
	s_add_i32 s4, s5, s4
	s_mul_i32 s5, s39, s33
	s_add_i32 s4, s4, s5
	s_mul_i32 s5, s38, s33
	s_add_u32 s5, s8, s5
	s_mul_i32 s25, s25, s43
	s_addc_u32 s4, s9, s4
	s_ashr_i32 s6, s25, 31
	s_add_u32 s8, s5, s25
	v_lshrrev_b32_e32 v3, 4, v30
	v_and_b32_e32 v4, 60, v28
	s_addc_u32 s9, s4, s6
	v_add_u32_e32 v3, v3, v29
	v_lshlrev_b32_e32 v5, 2, v4
	s_movk_i32 s4, 0x110
	v_mad_u32_u24 v5, v3, s4, v5
	v_mul_lo_u32 v14, s14, v3
	v_mov_b32_e32 v3, 0x4000
	v_mul_lo_u32 v38, v0, s31
	v_add3_u32 v0, s27, v29, 1
	v_mad_u32_u24 v37, v30, s4, v3
	v_mul_hi_u32 v3, s20, v0
	v_add_u32_e32 v3, v0, v3
	v_lshrrev_b32_e32 v3, s21, v3
	v_mul_lo_u32 v3, v3, s22
	v_sub_u32_e32 v0, v0, v3
	v_mul_lo_u32 v39, v0, s31
	v_mov_b32_e32 v0, 0x6200
	v_lshl_add_u32 v40, v1, 8, v0
	v_mul_lo_u32 v0, s11, v1
	v_lshlrev_b32_e32 v12, 2, v28
	v_lshl_add_u32 v6, s11, 3, v0
	v_mov_b32_e32 v13, 0
	v_lshl_add_u32 v16, s14, 4, v14
	v_lshl_add_u32 v3, v1, 9, v12
	v_ashrrev_i32_e32 v1, 31, v0
	v_ashrrev_i32_e32 v7, 31, v6
	s_add_u32 s4, s0, 0xd0
	v_add_u32_e32 v35, 0x4000, v5
	v_ashrrev_i32_e32 v15, 31, v14
	v_add_u32_e32 v36, 0x5100, v5
	v_ashrrev_i32_e32 v17, 31, v16
	v_add_u32_e32 v41, 0x4000, v3
	v_add_u32_e32 v42, 0x5000, v3
	s_addc_u32 s5, s1, 0
	v_mov_b32_e32 v64, 0xfeffffff
	v_lshlrev_b32_e32 v18, 2, v4
	v_mov_b32_e32 v19, v13
	s_mov_b32 s20, 0x3f200000
	s_mov_b32 s21, 0x3fb8aa3b
	;; [unrolled: 1-line block ×4, first 2 shown]
	v_mov_b32_e32 v43, 0x3ca908c9
	s_brev_b32 s29, -2
	s_mov_b32 s31, 0x10001
	v_lshlrev_b64 v[20:21], 2, v[0:1]
	v_lshlrev_b64 v[22:23], 2, v[6:7]
	v_mov_b32_e32 v44, 0x7f800000
	v_mbcnt_hi_u32_b32 v34, -1, v2
	v_mov_b32_e32 v46, v13
	v_mov_b32_e32 v45, v13
	;; [unrolled: 1-line block ×23, first 2 shown]
                                        ; implicit-def: $vgpr3
                                        ; implicit-def: $vgpr3
	;; [unrolled: 1-line block ×3, first 2 shown]
.LBB65_31:                              ; =>This Inner Loop Header: Depth=1
	s_mul_hi_i32 s7, s2, s14
	s_mul_i32 s6, s2, s14
	s_lshl_b64 s[6:7], s[6:7], 2
	s_add_u32 s6, s15, s6
	s_addc_u32 s7, s24, s7
	v_lshl_add_u64 v[0:1], v[14:15], 2, s[6:7]
	v_lshl_add_u64 v[0:1], v[0:1], 0, v[18:19]
	v_lshl_add_u64 v[2:3], v[16:17], 2, s[6:7]
	v_lshl_add_u64 v[2:3], v[2:3], 0, v[18:19]
	global_load_dwordx4 v[4:7], v[0:1], off
	global_load_dwordx4 v[70:73], v[2:3], off
	v_mov_b32_e32 v68, 0
	v_mov_b32_e32 v67, 0
	;; [unrolled: 1-line block ×4, first 2 shown]
	s_waitcnt vmcnt(1)
	ds_write_b128 v35, v[4:7]
	s_waitcnt vmcnt(0)
	ds_write_b128 v36, v[70:73]
	s_waitcnt lgkmcnt(0)
	s_barrier
	ds_read_b128 v[4:7], v37
	ds_read_b128 v[70:73], v33
	ds_read_b128 v[74:77], v33 offset:512
	ds_read_b128 v[78:81], v33 offset:1024
	ds_read_b128 v[82:85], v33 offset:1536
	s_waitcnt lgkmcnt(3)
	;;#ASMSTART
	v_dot2_f32_f16 v68, v4, v70, v68
	;;#ASMEND
	s_nop 0
	;;#ASMSTART
	v_dot2_f32_f16 v68, v5, v71, v68
	;;#ASMEND
	s_nop 0
	;;#ASMSTART
	v_dot2_f32_f16 v68, v6, v72, v68
	;;#ASMEND
	s_nop 0
	;;#ASMSTART
	v_dot2_f32_f16 v68, v7, v73, v68
	;;#ASMEND
	s_waitcnt lgkmcnt(2)
	;;#ASMSTART
	v_dot2_f32_f16 v67, v4, v74, v67
	;;#ASMEND
	s_nop 0
	;;#ASMSTART
	v_dot2_f32_f16 v67, v5, v75, v67
	;;#ASMEND
	s_nop 0
	;;#ASMSTART
	v_dot2_f32_f16 v67, v6, v76, v67
	;;#ASMEND
	s_nop 0
	;;#ASMSTART
	v_dot2_f32_f16 v67, v7, v77, v67
	;;#ASMEND
	;; [unrolled: 16-line block ×4, first 2 shown]
	ds_read_b128 v[4:7], v37 offset:16
	ds_read_b128 v[70:73], v33 offset:16
	;; [unrolled: 1-line block ×5, first 2 shown]
	s_waitcnt lgkmcnt(3)
	;;#ASMSTART
	v_dot2_f32_f16 v68, v4, v70, v68
	;;#ASMEND
	s_nop 0
	;;#ASMSTART
	v_dot2_f32_f16 v68, v5, v71, v68
	;;#ASMEND
	s_nop 0
	;;#ASMSTART
	v_dot2_f32_f16 v68, v6, v72, v68
	;;#ASMEND
	s_nop 0
	;;#ASMSTART
	v_dot2_f32_f16 v68, v7, v73, v68
	;;#ASMEND
	s_waitcnt lgkmcnt(2)
	;;#ASMSTART
	v_dot2_f32_f16 v67, v4, v74, v67
	;;#ASMEND
	s_nop 0
	;;#ASMSTART
	v_dot2_f32_f16 v67, v5, v75, v67
	;;#ASMEND
	s_nop 0
	;;#ASMSTART
	v_dot2_f32_f16 v67, v6, v76, v67
	;;#ASMEND
	s_nop 0
	;;#ASMSTART
	v_dot2_f32_f16 v67, v7, v77, v67
	;;#ASMEND
	;; [unrolled: 16-line block ×4, first 2 shown]
	ds_read_b128 v[4:7], v37 offset:32
	ds_read_b128 v[70:73], v33 offset:32
	;; [unrolled: 1-line block ×5, first 2 shown]
	s_waitcnt lgkmcnt(3)
	;;#ASMSTART
	v_dot2_f32_f16 v68, v4, v70, v68
	;;#ASMEND
	s_nop 0
	;;#ASMSTART
	v_dot2_f32_f16 v68, v5, v71, v68
	;;#ASMEND
	s_nop 0
	;;#ASMSTART
	v_dot2_f32_f16 v68, v6, v72, v68
	;;#ASMEND
	s_nop 0
	;;#ASMSTART
	v_dot2_f32_f16 v68, v7, v73, v68
	;;#ASMEND
	s_waitcnt lgkmcnt(2)
	;;#ASMSTART
	v_dot2_f32_f16 v67, v4, v74, v67
	;;#ASMEND
	s_nop 0
	;;#ASMSTART
	v_dot2_f32_f16 v67, v5, v75, v67
	;;#ASMEND
	s_nop 0
	;;#ASMSTART
	v_dot2_f32_f16 v67, v6, v76, v67
	;;#ASMEND
	s_nop 0
	;;#ASMSTART
	v_dot2_f32_f16 v67, v7, v77, v67
	;;#ASMEND
	;; [unrolled: 16-line block ×4, first 2 shown]
	ds_read_b128 v[4:7], v37 offset:48
	ds_read_b128 v[70:73], v33 offset:48
	;; [unrolled: 1-line block ×5, first 2 shown]
	s_waitcnt lgkmcnt(3)
	;;#ASMSTART
	v_dot2_f32_f16 v68, v4, v70, v68
	;;#ASMEND
	s_nop 0
	;;#ASMSTART
	v_dot2_f32_f16 v68, v5, v71, v68
	;;#ASMEND
	s_nop 0
	;;#ASMSTART
	v_dot2_f32_f16 v68, v6, v72, v68
	;;#ASMEND
	s_nop 0
	;;#ASMSTART
	v_dot2_f32_f16 v68, v7, v73, v68
	;;#ASMEND
	s_waitcnt lgkmcnt(2)
	;;#ASMSTART
	v_dot2_f32_f16 v67, v4, v74, v67
	;;#ASMEND
	s_nop 0
	;;#ASMSTART
	v_dot2_f32_f16 v67, v5, v75, v67
	;;#ASMEND
	s_nop 0
	;;#ASMSTART
	v_dot2_f32_f16 v67, v6, v76, v67
	;;#ASMEND
	s_nop 0
	;;#ASMSTART
	v_dot2_f32_f16 v67, v7, v77, v67
	;;#ASMEND
	;; [unrolled: 16-line block ×4, first 2 shown]
	ds_read_b128 v[4:7], v37 offset:64
	ds_read_b128 v[70:73], v33 offset:64
	;; [unrolled: 1-line block ×5, first 2 shown]
	s_waitcnt lgkmcnt(3)
	;;#ASMSTART
	v_dot2_f32_f16 v68, v4, v70, v68
	;;#ASMEND
	s_nop 0
	;;#ASMSTART
	v_dot2_f32_f16 v68, v5, v71, v68
	;;#ASMEND
	s_nop 0
	;;#ASMSTART
	v_dot2_f32_f16 v68, v6, v72, v68
	;;#ASMEND
	s_nop 0
	;;#ASMSTART
	v_dot2_f32_f16 v68, v7, v73, v68
	;;#ASMEND
	s_waitcnt lgkmcnt(2)
	;;#ASMSTART
	v_dot2_f32_f16 v67, v4, v74, v67
	;;#ASMEND
	s_nop 0
	;;#ASMSTART
	v_dot2_f32_f16 v67, v5, v75, v67
	;;#ASMEND
	s_nop 0
	;;#ASMSTART
	v_dot2_f32_f16 v67, v6, v76, v67
	;;#ASMEND
	s_nop 0
	;;#ASMSTART
	v_dot2_f32_f16 v67, v7, v77, v67
	;;#ASMEND
	s_waitcnt lgkmcnt(1)
	;;#ASMSTART
	v_dot2_f32_f16 v66, v4, v78, v66
	;;#ASMEND
	s_nop 0
	;;#ASMSTART
	v_dot2_f32_f16 v66, v5, v79, v66
	;;#ASMEND
	s_nop 0
	;;#ASMSTART
	v_dot2_f32_f16 v66, v6, v80, v66
	;;#ASMEND
	s_nop 0
	;;#ASMSTART
	v_dot2_f32_f16 v66, v7, v81, v66
	;;#ASMEND
	s_waitcnt lgkmcnt(0)
	;;#ASMSTART
	v_dot2_f32_f16 v65, v4, v82, v65
	;;#ASMEND
	s_nop 0
	;;#ASMSTART
	v_dot2_f32_f16 v65, v5, v83, v65
	;;#ASMEND
	s_nop 0
	;;#ASMSTART
	v_dot2_f32_f16 v65, v6, v84, v65
	;;#ASMEND
	s_nop 0
	;;#ASMSTART
	v_dot2_f32_f16 v65, v7, v85, v65
	;;#ASMEND
	ds_read_b128 v[4:7], v37 offset:80
	ds_read_b128 v[70:73], v33 offset:80
	;; [unrolled: 1-line block ×5, first 2 shown]
	s_waitcnt lgkmcnt(3)
	;;#ASMSTART
	v_dot2_f32_f16 v68, v4, v70, v68
	;;#ASMEND
	s_nop 0
	;;#ASMSTART
	v_dot2_f32_f16 v68, v5, v71, v68
	;;#ASMEND
	s_nop 0
	;;#ASMSTART
	v_dot2_f32_f16 v68, v6, v72, v68
	;;#ASMEND
	s_nop 0
	;;#ASMSTART
	v_dot2_f32_f16 v68, v7, v73, v68
	;;#ASMEND
	s_waitcnt lgkmcnt(2)
	;;#ASMSTART
	v_dot2_f32_f16 v67, v4, v74, v67
	;;#ASMEND
	s_nop 0
	;;#ASMSTART
	v_dot2_f32_f16 v67, v5, v75, v67
	;;#ASMEND
	s_nop 0
	;;#ASMSTART
	v_dot2_f32_f16 v67, v6, v76, v67
	;;#ASMEND
	s_nop 0
	;;#ASMSTART
	v_dot2_f32_f16 v67, v7, v77, v67
	;;#ASMEND
	;; [unrolled: 16-line block ×4, first 2 shown]
	ds_read_b128 v[4:7], v37 offset:96
	ds_read_b128 v[70:73], v33 offset:96
	;; [unrolled: 1-line block ×5, first 2 shown]
	s_waitcnt lgkmcnt(3)
	;;#ASMSTART
	v_dot2_f32_f16 v68, v4, v70, v68
	;;#ASMEND
	s_nop 0
	;;#ASMSTART
	v_dot2_f32_f16 v68, v5, v71, v68
	;;#ASMEND
	s_nop 0
	;;#ASMSTART
	v_dot2_f32_f16 v68, v6, v72, v68
	;;#ASMEND
	s_nop 0
	;;#ASMSTART
	v_dot2_f32_f16 v68, v7, v73, v68
	;;#ASMEND
	s_waitcnt lgkmcnt(2)
	;;#ASMSTART
	v_dot2_f32_f16 v67, v4, v74, v67
	;;#ASMEND
	s_nop 0
	;;#ASMSTART
	v_dot2_f32_f16 v67, v5, v75, v67
	;;#ASMEND
	s_nop 0
	;;#ASMSTART
	v_dot2_f32_f16 v67, v6, v76, v67
	;;#ASMEND
	s_nop 0
	;;#ASMSTART
	v_dot2_f32_f16 v67, v7, v77, v67
	;;#ASMEND
	;; [unrolled: 16-line block ×4, first 2 shown]
	ds_read_b128 v[4:7], v37 offset:112
	ds_read_b128 v[70:73], v33 offset:112
	ds_read_b128 v[74:77], v33 offset:624
	ds_read_b128 v[78:81], v33 offset:1136
	ds_read_b128 v[82:85], v33 offset:1648
	s_waitcnt lgkmcnt(3)
	;;#ASMSTART
	v_dot2_f32_f16 v68, v4, v70, v68
	;;#ASMEND
	s_nop 0
	;;#ASMSTART
	v_dot2_f32_f16 v68, v5, v71, v68
	;;#ASMEND
	s_nop 0
	;;#ASMSTART
	v_dot2_f32_f16 v68, v6, v72, v68
	;;#ASMEND
	s_nop 0
	;;#ASMSTART
	v_dot2_f32_f16 v68, v7, v73, v68
	;;#ASMEND
	s_waitcnt lgkmcnt(2)
	;;#ASMSTART
	v_dot2_f32_f16 v67, v4, v74, v67
	;;#ASMEND
	s_nop 0
	;;#ASMSTART
	v_dot2_f32_f16 v67, v5, v75, v67
	;;#ASMEND
	s_nop 0
	;;#ASMSTART
	v_dot2_f32_f16 v67, v6, v76, v67
	;;#ASMEND
	s_nop 0
	;;#ASMSTART
	v_dot2_f32_f16 v67, v7, v77, v67
	;;#ASMEND
	;; [unrolled: 16-line block ×4, first 2 shown]
	ds_read_b128 v[4:7], v37 offset:128
	ds_read_b128 v[70:73], v33 offset:128
	;; [unrolled: 1-line block ×5, first 2 shown]
	s_waitcnt lgkmcnt(3)
	;;#ASMSTART
	v_dot2_f32_f16 v68, v4, v70, v68
	;;#ASMEND
	s_nop 0
	;;#ASMSTART
	v_dot2_f32_f16 v68, v5, v71, v68
	;;#ASMEND
	s_nop 0
	;;#ASMSTART
	v_dot2_f32_f16 v68, v6, v72, v68
	;;#ASMEND
	s_nop 0
	;;#ASMSTART
	v_dot2_f32_f16 v68, v7, v73, v68
	;;#ASMEND
	s_waitcnt lgkmcnt(2)
	;;#ASMSTART
	v_dot2_f32_f16 v67, v4, v74, v67
	;;#ASMEND
	s_nop 0
	;;#ASMSTART
	v_dot2_f32_f16 v67, v5, v75, v67
	;;#ASMEND
	s_nop 0
	;;#ASMSTART
	v_dot2_f32_f16 v67, v6, v76, v67
	;;#ASMEND
	s_nop 0
	;;#ASMSTART
	v_dot2_f32_f16 v67, v7, v77, v67
	;;#ASMEND
	;; [unrolled: 16-line block ×4, first 2 shown]
	ds_read_b128 v[4:7], v37 offset:144
	ds_read_b128 v[70:73], v33 offset:144
	;; [unrolled: 1-line block ×5, first 2 shown]
	s_waitcnt lgkmcnt(3)
	;;#ASMSTART
	v_dot2_f32_f16 v68, v4, v70, v68
	;;#ASMEND
	s_nop 0
	;;#ASMSTART
	v_dot2_f32_f16 v68, v5, v71, v68
	;;#ASMEND
	s_nop 0
	;;#ASMSTART
	v_dot2_f32_f16 v68, v6, v72, v68
	;;#ASMEND
	s_nop 0
	;;#ASMSTART
	v_dot2_f32_f16 v68, v7, v73, v68
	;;#ASMEND
	s_waitcnt lgkmcnt(2)
	;;#ASMSTART
	v_dot2_f32_f16 v67, v4, v74, v67
	;;#ASMEND
	s_nop 0
	;;#ASMSTART
	v_dot2_f32_f16 v67, v5, v75, v67
	;;#ASMEND
	s_nop 0
	;;#ASMSTART
	v_dot2_f32_f16 v67, v6, v76, v67
	;;#ASMEND
	s_nop 0
	;;#ASMSTART
	v_dot2_f32_f16 v67, v7, v77, v67
	;;#ASMEND
	;; [unrolled: 16-line block ×4, first 2 shown]
	ds_read_b128 v[4:7], v37 offset:160
	ds_read_b128 v[70:73], v33 offset:160
	;; [unrolled: 1-line block ×5, first 2 shown]
	s_waitcnt lgkmcnt(3)
	;;#ASMSTART
	v_dot2_f32_f16 v68, v4, v70, v68
	;;#ASMEND
	s_nop 0
	;;#ASMSTART
	v_dot2_f32_f16 v68, v5, v71, v68
	;;#ASMEND
	s_nop 0
	;;#ASMSTART
	v_dot2_f32_f16 v68, v6, v72, v68
	;;#ASMEND
	s_nop 0
	;;#ASMSTART
	v_dot2_f32_f16 v68, v7, v73, v68
	;;#ASMEND
	s_waitcnt lgkmcnt(2)
	;;#ASMSTART
	v_dot2_f32_f16 v67, v4, v74, v67
	;;#ASMEND
	s_nop 0
	;;#ASMSTART
	v_dot2_f32_f16 v67, v5, v75, v67
	;;#ASMEND
	s_nop 0
	;;#ASMSTART
	v_dot2_f32_f16 v67, v6, v76, v67
	;;#ASMEND
	s_nop 0
	;;#ASMSTART
	v_dot2_f32_f16 v67, v7, v77, v67
	;;#ASMEND
	;; [unrolled: 16-line block ×4, first 2 shown]
	ds_read_b128 v[4:7], v37 offset:176
	ds_read_b128 v[70:73], v33 offset:176
	;; [unrolled: 1-line block ×5, first 2 shown]
	s_waitcnt lgkmcnt(3)
	;;#ASMSTART
	v_dot2_f32_f16 v68, v4, v70, v68
	;;#ASMEND
	s_nop 0
	;;#ASMSTART
	v_dot2_f32_f16 v68, v5, v71, v68
	;;#ASMEND
	s_nop 0
	;;#ASMSTART
	v_dot2_f32_f16 v68, v6, v72, v68
	;;#ASMEND
	s_nop 0
	;;#ASMSTART
	v_dot2_f32_f16 v68, v7, v73, v68
	;;#ASMEND
	s_waitcnt lgkmcnt(2)
	;;#ASMSTART
	v_dot2_f32_f16 v67, v4, v74, v67
	;;#ASMEND
	s_nop 0
	;;#ASMSTART
	v_dot2_f32_f16 v67, v5, v75, v67
	;;#ASMEND
	s_nop 0
	;;#ASMSTART
	v_dot2_f32_f16 v67, v6, v76, v67
	;;#ASMEND
	s_nop 0
	;;#ASMSTART
	v_dot2_f32_f16 v67, v7, v77, v67
	;;#ASMEND
	;; [unrolled: 16-line block ×4, first 2 shown]
	ds_read_b128 v[4:7], v37 offset:192
	ds_read_b128 v[70:73], v33 offset:192
	;; [unrolled: 1-line block ×5, first 2 shown]
	s_waitcnt lgkmcnt(3)
	;;#ASMSTART
	v_dot2_f32_f16 v68, v4, v70, v68
	;;#ASMEND
	s_nop 0
	;;#ASMSTART
	v_dot2_f32_f16 v68, v5, v71, v68
	;;#ASMEND
	s_nop 0
	;;#ASMSTART
	v_dot2_f32_f16 v68, v6, v72, v68
	;;#ASMEND
	s_nop 0
	;;#ASMSTART
	v_dot2_f32_f16 v68, v7, v73, v68
	;;#ASMEND
	s_waitcnt lgkmcnt(2)
	;;#ASMSTART
	v_dot2_f32_f16 v67, v4, v74, v67
	;;#ASMEND
	s_nop 0
	;;#ASMSTART
	v_dot2_f32_f16 v67, v5, v75, v67
	;;#ASMEND
	s_nop 0
	;;#ASMSTART
	v_dot2_f32_f16 v67, v6, v76, v67
	;;#ASMEND
	s_nop 0
	;;#ASMSTART
	v_dot2_f32_f16 v67, v7, v77, v67
	;;#ASMEND
	;; [unrolled: 16-line block ×4, first 2 shown]
	ds_read_b128 v[4:7], v37 offset:208
	ds_read_b128 v[70:73], v33 offset:208
	;; [unrolled: 1-line block ×5, first 2 shown]
	s_waitcnt lgkmcnt(3)
	;;#ASMSTART
	v_dot2_f32_f16 v68, v4, v70, v68
	;;#ASMEND
	s_nop 0
	;;#ASMSTART
	v_dot2_f32_f16 v68, v5, v71, v68
	;;#ASMEND
	s_nop 0
	;;#ASMSTART
	v_dot2_f32_f16 v68, v6, v72, v68
	;;#ASMEND
	s_nop 0
	;;#ASMSTART
	v_dot2_f32_f16 v68, v7, v73, v68
	;;#ASMEND
	s_waitcnt lgkmcnt(2)
	;;#ASMSTART
	v_dot2_f32_f16 v67, v4, v74, v67
	;;#ASMEND
	s_nop 0
	;;#ASMSTART
	v_dot2_f32_f16 v67, v5, v75, v67
	;;#ASMEND
	s_nop 0
	;;#ASMSTART
	v_dot2_f32_f16 v67, v6, v76, v67
	;;#ASMEND
	s_nop 0
	;;#ASMSTART
	v_dot2_f32_f16 v67, v7, v77, v67
	;;#ASMEND
	;; [unrolled: 16-line block ×4, first 2 shown]
	ds_read_b128 v[4:7], v37 offset:224
	ds_read_b128 v[70:73], v33 offset:224
	;; [unrolled: 1-line block ×5, first 2 shown]
	s_waitcnt lgkmcnt(3)
	;;#ASMSTART
	v_dot2_f32_f16 v68, v4, v70, v68
	;;#ASMEND
	s_nop 0
	;;#ASMSTART
	v_dot2_f32_f16 v68, v5, v71, v68
	;;#ASMEND
	s_nop 0
	;;#ASMSTART
	v_dot2_f32_f16 v68, v6, v72, v68
	;;#ASMEND
	s_nop 0
	;;#ASMSTART
	v_dot2_f32_f16 v68, v7, v73, v68
	;;#ASMEND
	s_waitcnt lgkmcnt(2)
	;;#ASMSTART
	v_dot2_f32_f16 v67, v4, v74, v67
	;;#ASMEND
	s_nop 0
	;;#ASMSTART
	v_dot2_f32_f16 v67, v5, v75, v67
	;;#ASMEND
	s_nop 0
	;;#ASMSTART
	v_dot2_f32_f16 v67, v6, v76, v67
	;;#ASMEND
	s_nop 0
	;;#ASMSTART
	v_dot2_f32_f16 v67, v7, v77, v67
	;;#ASMEND
	;; [unrolled: 16-line block ×4, first 2 shown]
	ds_read_b128 v[4:7], v37 offset:240
	ds_read_b128 v[70:73], v33 offset:240
	;; [unrolled: 1-line block ×5, first 2 shown]
	s_waitcnt lgkmcnt(3)
	;;#ASMSTART
	v_dot2_f32_f16 v68, v4, v70, v68
	;;#ASMEND
	s_nop 0
	;;#ASMSTART
	v_dot2_f32_f16 v68, v5, v71, v68
	;;#ASMEND
	s_nop 0
	;;#ASMSTART
	v_dot2_f32_f16 v68, v6, v72, v68
	;;#ASMEND
	s_nop 0
	;;#ASMSTART
	v_dot2_f32_f16 v68, v7, v73, v68
	;;#ASMEND
	s_waitcnt lgkmcnt(2)
	;;#ASMSTART
	v_dot2_f32_f16 v67, v4, v74, v67
	;;#ASMEND
	s_nop 0
	;;#ASMSTART
	v_dot2_f32_f16 v67, v5, v75, v67
	;;#ASMEND
	s_nop 0
	;;#ASMSTART
	v_dot2_f32_f16 v67, v6, v76, v67
	;;#ASMEND
	s_nop 0
	;;#ASMSTART
	v_dot2_f32_f16 v67, v7, v77, v67
	;;#ASMEND
	;; [unrolled: 16-line block ×4, first 2 shown]
	s_barrier
	global_load_dwordx4 v[4:7], v[0:1], off offset:256
	global_load_dwordx4 v[70:73], v[2:3], off offset:256
	s_waitcnt vmcnt(1)
	ds_write_b128 v35, v[4:7]
	s_waitcnt vmcnt(0)
	ds_write_b128 v36, v[70:73]
	s_waitcnt lgkmcnt(0)
	s_barrier
	ds_read_b128 v[0:3], v37
	ds_read_b128 v[4:7], v33 offset:256
	ds_read_b128 v[70:73], v33 offset:768
	;; [unrolled: 1-line block ×4, first 2 shown]
	s_waitcnt lgkmcnt(3)
	;;#ASMSTART
	v_dot2_f32_f16 v68, v0, v4, v68
	;;#ASMEND
	s_nop 0
	;;#ASMSTART
	v_dot2_f32_f16 v68, v1, v5, v68
	;;#ASMEND
	s_nop 0
	;;#ASMSTART
	v_dot2_f32_f16 v68, v2, v6, v68
	;;#ASMEND
	s_nop 0
	;;#ASMSTART
	v_dot2_f32_f16 v68, v3, v7, v68
	;;#ASMEND
	s_waitcnt lgkmcnt(2)
	;;#ASMSTART
	v_dot2_f32_f16 v67, v0, v70, v67
	;;#ASMEND
	s_nop 0
	;;#ASMSTART
	v_dot2_f32_f16 v67, v1, v71, v67
	;;#ASMEND
	s_nop 0
	;;#ASMSTART
	v_dot2_f32_f16 v67, v2, v72, v67
	;;#ASMEND
	s_nop 0
	;;#ASMSTART
	v_dot2_f32_f16 v67, v3, v73, v67
	;;#ASMEND
	s_waitcnt lgkmcnt(1)
	;;#ASMSTART
	v_dot2_f32_f16 v66, v0, v74, v66
	;;#ASMEND
	s_nop 0
	;;#ASMSTART
	v_dot2_f32_f16 v66, v1, v75, v66
	;;#ASMEND
	s_nop 0
	;;#ASMSTART
	v_dot2_f32_f16 v66, v2, v76, v66
	;;#ASMEND
	s_nop 0
	;;#ASMSTART
	v_dot2_f32_f16 v66, v3, v77, v66
	;;#ASMEND
	s_waitcnt lgkmcnt(0)
	;;#ASMSTART
	v_dot2_f32_f16 v65, v0, v78, v65
	;;#ASMEND
	s_nop 0
	;;#ASMSTART
	v_dot2_f32_f16 v65, v1, v79, v65
	;;#ASMEND
	s_nop 0
	;;#ASMSTART
	v_dot2_f32_f16 v65, v2, v80, v65
	;;#ASMEND
	s_nop 0
	;;#ASMSTART
	v_dot2_f32_f16 v65, v3, v81, v65
	;;#ASMEND
	ds_read_b128 v[0:3], v37 offset:16
	ds_read_b128 v[4:7], v33 offset:272
	;; [unrolled: 1-line block ×5, first 2 shown]
	s_waitcnt lgkmcnt(3)
	;;#ASMSTART
	v_dot2_f32_f16 v68, v0, v4, v68
	;;#ASMEND
	s_nop 0
	;;#ASMSTART
	v_dot2_f32_f16 v68, v1, v5, v68
	;;#ASMEND
	s_nop 0
	;;#ASMSTART
	v_dot2_f32_f16 v68, v2, v6, v68
	;;#ASMEND
	s_nop 0
	;;#ASMSTART
	v_dot2_f32_f16 v68, v3, v7, v68
	;;#ASMEND
	s_waitcnt lgkmcnt(2)
	;;#ASMSTART
	v_dot2_f32_f16 v67, v0, v70, v67
	;;#ASMEND
	s_nop 0
	;;#ASMSTART
	v_dot2_f32_f16 v67, v1, v71, v67
	;;#ASMEND
	s_nop 0
	;;#ASMSTART
	v_dot2_f32_f16 v67, v2, v72, v67
	;;#ASMEND
	s_nop 0
	;;#ASMSTART
	v_dot2_f32_f16 v67, v3, v73, v67
	;;#ASMEND
	s_waitcnt lgkmcnt(1)
	;;#ASMSTART
	v_dot2_f32_f16 v66, v0, v74, v66
	;;#ASMEND
	s_nop 0
	;;#ASMSTART
	v_dot2_f32_f16 v66, v1, v75, v66
	;;#ASMEND
	s_nop 0
	;;#ASMSTART
	v_dot2_f32_f16 v66, v2, v76, v66
	;;#ASMEND
	s_nop 0
	;;#ASMSTART
	v_dot2_f32_f16 v66, v3, v77, v66
	;;#ASMEND
	s_waitcnt lgkmcnt(0)
	;;#ASMSTART
	v_dot2_f32_f16 v65, v0, v78, v65
	;;#ASMEND
	s_nop 0
	;;#ASMSTART
	v_dot2_f32_f16 v65, v1, v79, v65
	;;#ASMEND
	s_nop 0
	;;#ASMSTART
	v_dot2_f32_f16 v65, v2, v80, v65
	;;#ASMEND
	s_nop 0
	;;#ASMSTART
	v_dot2_f32_f16 v65, v3, v81, v65
	;;#ASMEND
	ds_read_b128 v[0:3], v37 offset:32
	ds_read_b128 v[4:7], v33 offset:288
	;; [unrolled: 1-line block ×5, first 2 shown]
	s_waitcnt lgkmcnt(3)
	;;#ASMSTART
	v_dot2_f32_f16 v68, v0, v4, v68
	;;#ASMEND
	s_nop 0
	;;#ASMSTART
	v_dot2_f32_f16 v68, v1, v5, v68
	;;#ASMEND
	s_nop 0
	;;#ASMSTART
	v_dot2_f32_f16 v68, v2, v6, v68
	;;#ASMEND
	s_nop 0
	;;#ASMSTART
	v_dot2_f32_f16 v68, v3, v7, v68
	;;#ASMEND
	s_waitcnt lgkmcnt(2)
	;;#ASMSTART
	v_dot2_f32_f16 v67, v0, v70, v67
	;;#ASMEND
	s_nop 0
	;;#ASMSTART
	v_dot2_f32_f16 v67, v1, v71, v67
	;;#ASMEND
	s_nop 0
	;;#ASMSTART
	v_dot2_f32_f16 v67, v2, v72, v67
	;;#ASMEND
	s_nop 0
	;;#ASMSTART
	v_dot2_f32_f16 v67, v3, v73, v67
	;;#ASMEND
	;; [unrolled: 16-line block ×4, first 2 shown]
	ds_read_b128 v[0:3], v37 offset:48
	ds_read_b128 v[4:7], v33 offset:304
	;; [unrolled: 1-line block ×5, first 2 shown]
	s_waitcnt lgkmcnt(3)
	;;#ASMSTART
	v_dot2_f32_f16 v68, v0, v4, v68
	;;#ASMEND
	s_nop 0
	;;#ASMSTART
	v_dot2_f32_f16 v68, v1, v5, v68
	;;#ASMEND
	s_nop 0
	;;#ASMSTART
	v_dot2_f32_f16 v68, v2, v6, v68
	;;#ASMEND
	s_nop 0
	;;#ASMSTART
	v_dot2_f32_f16 v68, v3, v7, v68
	;;#ASMEND
	s_waitcnt lgkmcnt(2)
	;;#ASMSTART
	v_dot2_f32_f16 v67, v0, v70, v67
	;;#ASMEND
	s_nop 0
	;;#ASMSTART
	v_dot2_f32_f16 v67, v1, v71, v67
	;;#ASMEND
	s_nop 0
	;;#ASMSTART
	v_dot2_f32_f16 v67, v2, v72, v67
	;;#ASMEND
	s_nop 0
	;;#ASMSTART
	v_dot2_f32_f16 v67, v3, v73, v67
	;;#ASMEND
	;; [unrolled: 16-line block ×4, first 2 shown]
	ds_read_b128 v[0:3], v37 offset:64
	ds_read_b128 v[4:7], v33 offset:320
	;; [unrolled: 1-line block ×5, first 2 shown]
	s_waitcnt lgkmcnt(3)
	;;#ASMSTART
	v_dot2_f32_f16 v68, v0, v4, v68
	;;#ASMEND
	s_nop 0
	;;#ASMSTART
	v_dot2_f32_f16 v68, v1, v5, v68
	;;#ASMEND
	s_nop 0
	;;#ASMSTART
	v_dot2_f32_f16 v68, v2, v6, v68
	;;#ASMEND
	s_nop 0
	;;#ASMSTART
	v_dot2_f32_f16 v68, v3, v7, v68
	;;#ASMEND
	s_waitcnt lgkmcnt(2)
	;;#ASMSTART
	v_dot2_f32_f16 v67, v0, v70, v67
	;;#ASMEND
	s_nop 0
	;;#ASMSTART
	v_dot2_f32_f16 v67, v1, v71, v67
	;;#ASMEND
	s_nop 0
	;;#ASMSTART
	v_dot2_f32_f16 v67, v2, v72, v67
	;;#ASMEND
	s_nop 0
	;;#ASMSTART
	v_dot2_f32_f16 v67, v3, v73, v67
	;;#ASMEND
	;; [unrolled: 16-line block ×4, first 2 shown]
	ds_read_b128 v[0:3], v37 offset:80
	ds_read_b128 v[4:7], v33 offset:336
	;; [unrolled: 1-line block ×5, first 2 shown]
	s_waitcnt lgkmcnt(3)
	;;#ASMSTART
	v_dot2_f32_f16 v68, v0, v4, v68
	;;#ASMEND
	s_nop 0
	;;#ASMSTART
	v_dot2_f32_f16 v68, v1, v5, v68
	;;#ASMEND
	s_nop 0
	;;#ASMSTART
	v_dot2_f32_f16 v68, v2, v6, v68
	;;#ASMEND
	s_nop 0
	;;#ASMSTART
	v_dot2_f32_f16 v68, v3, v7, v68
	;;#ASMEND
	s_waitcnt lgkmcnt(2)
	;;#ASMSTART
	v_dot2_f32_f16 v67, v0, v70, v67
	;;#ASMEND
	s_nop 0
	;;#ASMSTART
	v_dot2_f32_f16 v67, v1, v71, v67
	;;#ASMEND
	s_nop 0
	;;#ASMSTART
	v_dot2_f32_f16 v67, v2, v72, v67
	;;#ASMEND
	s_nop 0
	;;#ASMSTART
	v_dot2_f32_f16 v67, v3, v73, v67
	;;#ASMEND
	s_waitcnt lgkmcnt(1)
	;;#ASMSTART
	v_dot2_f32_f16 v66, v0, v74, v66
	;;#ASMEND
	s_nop 0
	;;#ASMSTART
	v_dot2_f32_f16 v66, v1, v75, v66
	;;#ASMEND
	s_nop 0
	;;#ASMSTART
	v_dot2_f32_f16 v66, v2, v76, v66
	;;#ASMEND
	s_nop 0
	;;#ASMSTART
	v_dot2_f32_f16 v66, v3, v77, v66
	;;#ASMEND
	s_waitcnt lgkmcnt(0)
	;;#ASMSTART
	v_dot2_f32_f16 v65, v0, v78, v65
	;;#ASMEND
	s_nop 0
	;;#ASMSTART
	v_dot2_f32_f16 v65, v1, v79, v65
	;;#ASMEND
	s_nop 0
	;;#ASMSTART
	v_dot2_f32_f16 v65, v2, v80, v65
	;;#ASMEND
	s_nop 0
	;;#ASMSTART
	v_dot2_f32_f16 v65, v3, v81, v65
	;;#ASMEND
	ds_read_b128 v[0:3], v37 offset:96
	ds_read_b128 v[4:7], v33 offset:352
	;; [unrolled: 1-line block ×5, first 2 shown]
	s_waitcnt lgkmcnt(3)
	;;#ASMSTART
	v_dot2_f32_f16 v68, v0, v4, v68
	;;#ASMEND
	s_nop 0
	;;#ASMSTART
	v_dot2_f32_f16 v68, v1, v5, v68
	;;#ASMEND
	s_nop 0
	;;#ASMSTART
	v_dot2_f32_f16 v68, v2, v6, v68
	;;#ASMEND
	s_nop 0
	;;#ASMSTART
	v_dot2_f32_f16 v68, v3, v7, v68
	;;#ASMEND
	s_waitcnt lgkmcnt(2)
	;;#ASMSTART
	v_dot2_f32_f16 v67, v0, v70, v67
	;;#ASMEND
	s_nop 0
	;;#ASMSTART
	v_dot2_f32_f16 v67, v1, v71, v67
	;;#ASMEND
	s_nop 0
	;;#ASMSTART
	v_dot2_f32_f16 v67, v2, v72, v67
	;;#ASMEND
	s_nop 0
	;;#ASMSTART
	v_dot2_f32_f16 v67, v3, v73, v67
	;;#ASMEND
	s_waitcnt lgkmcnt(1)
	;;#ASMSTART
	v_dot2_f32_f16 v66, v0, v74, v66
	;;#ASMEND
	s_nop 0
	;;#ASMSTART
	v_dot2_f32_f16 v66, v1, v75, v66
	;;#ASMEND
	s_nop 0
	;;#ASMSTART
	v_dot2_f32_f16 v66, v2, v76, v66
	;;#ASMEND
	s_nop 0
	;;#ASMSTART
	v_dot2_f32_f16 v66, v3, v77, v66
	;;#ASMEND
	s_waitcnt lgkmcnt(0)
	;;#ASMSTART
	v_dot2_f32_f16 v65, v0, v78, v65
	;;#ASMEND
	s_nop 0
	;;#ASMSTART
	v_dot2_f32_f16 v65, v1, v79, v65
	;;#ASMEND
	s_nop 0
	;;#ASMSTART
	v_dot2_f32_f16 v65, v2, v80, v65
	;;#ASMEND
	s_nop 0
	;;#ASMSTART
	v_dot2_f32_f16 v65, v3, v81, v65
	;;#ASMEND
	ds_read_b128 v[0:3], v37 offset:112
	ds_read_b128 v[4:7], v33 offset:368
	;; [unrolled: 1-line block ×5, first 2 shown]
	s_waitcnt lgkmcnt(3)
	;;#ASMSTART
	v_dot2_f32_f16 v68, v0, v4, v68
	;;#ASMEND
	s_nop 0
	;;#ASMSTART
	v_dot2_f32_f16 v68, v1, v5, v68
	;;#ASMEND
	s_nop 0
	;;#ASMSTART
	v_dot2_f32_f16 v68, v2, v6, v68
	;;#ASMEND
	s_nop 0
	;;#ASMSTART
	v_dot2_f32_f16 v68, v3, v7, v68
	;;#ASMEND
	s_waitcnt lgkmcnt(2)
	;;#ASMSTART
	v_dot2_f32_f16 v67, v0, v70, v67
	;;#ASMEND
	s_nop 0
	;;#ASMSTART
	v_dot2_f32_f16 v67, v1, v71, v67
	;;#ASMEND
	s_nop 0
	;;#ASMSTART
	v_dot2_f32_f16 v67, v2, v72, v67
	;;#ASMEND
	s_nop 0
	;;#ASMSTART
	v_dot2_f32_f16 v67, v3, v73, v67
	;;#ASMEND
	;; [unrolled: 16-line block ×4, first 2 shown]
	ds_read_b128 v[0:3], v37 offset:128
	ds_read_b128 v[4:7], v33 offset:384
	;; [unrolled: 1-line block ×5, first 2 shown]
	s_waitcnt lgkmcnt(3)
	;;#ASMSTART
	v_dot2_f32_f16 v68, v0, v4, v68
	;;#ASMEND
	s_nop 0
	;;#ASMSTART
	v_dot2_f32_f16 v68, v1, v5, v68
	;;#ASMEND
	s_nop 0
	;;#ASMSTART
	v_dot2_f32_f16 v68, v2, v6, v68
	;;#ASMEND
	s_nop 0
	;;#ASMSTART
	v_dot2_f32_f16 v68, v3, v7, v68
	;;#ASMEND
	s_waitcnt lgkmcnt(2)
	;;#ASMSTART
	v_dot2_f32_f16 v67, v0, v70, v67
	;;#ASMEND
	s_nop 0
	;;#ASMSTART
	v_dot2_f32_f16 v67, v1, v71, v67
	;;#ASMEND
	s_nop 0
	;;#ASMSTART
	v_dot2_f32_f16 v67, v2, v72, v67
	;;#ASMEND
	s_nop 0
	;;#ASMSTART
	v_dot2_f32_f16 v67, v3, v73, v67
	;;#ASMEND
	;; [unrolled: 16-line block ×4, first 2 shown]
	ds_read_b128 v[0:3], v37 offset:144
	ds_read_b128 v[4:7], v33 offset:400
	;; [unrolled: 1-line block ×5, first 2 shown]
	s_waitcnt lgkmcnt(3)
	;;#ASMSTART
	v_dot2_f32_f16 v68, v0, v4, v68
	;;#ASMEND
	s_nop 0
	;;#ASMSTART
	v_dot2_f32_f16 v68, v1, v5, v68
	;;#ASMEND
	s_nop 0
	;;#ASMSTART
	v_dot2_f32_f16 v68, v2, v6, v68
	;;#ASMEND
	s_nop 0
	;;#ASMSTART
	v_dot2_f32_f16 v68, v3, v7, v68
	;;#ASMEND
	s_waitcnt lgkmcnt(2)
	;;#ASMSTART
	v_dot2_f32_f16 v67, v0, v70, v67
	;;#ASMEND
	s_nop 0
	;;#ASMSTART
	v_dot2_f32_f16 v67, v1, v71, v67
	;;#ASMEND
	s_nop 0
	;;#ASMSTART
	v_dot2_f32_f16 v67, v2, v72, v67
	;;#ASMEND
	s_nop 0
	;;#ASMSTART
	v_dot2_f32_f16 v67, v3, v73, v67
	;;#ASMEND
	;; [unrolled: 16-line block ×4, first 2 shown]
	ds_read_b128 v[0:3], v37 offset:160
	ds_read_b128 v[4:7], v33 offset:416
	;; [unrolled: 1-line block ×5, first 2 shown]
	s_waitcnt lgkmcnt(3)
	;;#ASMSTART
	v_dot2_f32_f16 v68, v0, v4, v68
	;;#ASMEND
	s_nop 0
	;;#ASMSTART
	v_dot2_f32_f16 v68, v1, v5, v68
	;;#ASMEND
	s_nop 0
	;;#ASMSTART
	v_dot2_f32_f16 v68, v2, v6, v68
	;;#ASMEND
	s_nop 0
	;;#ASMSTART
	v_dot2_f32_f16 v68, v3, v7, v68
	;;#ASMEND
	s_waitcnt lgkmcnt(2)
	;;#ASMSTART
	v_dot2_f32_f16 v67, v0, v70, v67
	;;#ASMEND
	s_nop 0
	;;#ASMSTART
	v_dot2_f32_f16 v67, v1, v71, v67
	;;#ASMEND
	s_nop 0
	;;#ASMSTART
	v_dot2_f32_f16 v67, v2, v72, v67
	;;#ASMEND
	s_nop 0
	;;#ASMSTART
	v_dot2_f32_f16 v67, v3, v73, v67
	;;#ASMEND
	;; [unrolled: 16-line block ×4, first 2 shown]
	ds_read_b128 v[0:3], v37 offset:176
	ds_read_b128 v[4:7], v33 offset:432
	;; [unrolled: 1-line block ×5, first 2 shown]
	s_waitcnt lgkmcnt(3)
	;;#ASMSTART
	v_dot2_f32_f16 v68, v0, v4, v68
	;;#ASMEND
	s_nop 0
	;;#ASMSTART
	v_dot2_f32_f16 v68, v1, v5, v68
	;;#ASMEND
	s_nop 0
	;; [unrolled: 4-line block ×3, first 2 shown]
	;;#ASMSTART
	v_dot2_f32_f16 v68, v3, v7, v68
	;;#ASMEND
	s_waitcnt lgkmcnt(2)
	;;#ASMSTART
	v_dot2_f32_f16 v67, v0, v70, v67
	;;#ASMEND
	s_nop 0
	;;#ASMSTART
	v_dot2_f32_f16 v67, v1, v71, v67
	;;#ASMEND
	v_add_u32_e32 v71, s2, v30
	;;#ASMSTART
	v_dot2_f32_f16 v67, v2, v72, v67
	;;#ASMEND
	v_add_u32_e32 v84, v71, v38
	;;#ASMSTART
	v_dot2_f32_f16 v67, v3, v73, v67
	;;#ASMEND
	s_waitcnt lgkmcnt(1)
	;;#ASMSTART
	v_dot2_f32_f16 v66, v0, v74, v66
	;;#ASMEND
	v_ashrrev_i32_e32 v85, 31, v84
	;;#ASMSTART
	v_dot2_f32_f16 v66, v1, v75, v66
	;;#ASMEND
	v_lshl_add_u64 v[84:85], v[84:85], 1, s[34:35]
	;;#ASMSTART
	v_dot2_f32_f16 v66, v2, v76, v66
	;;#ASMEND
	s_nop 0
	;;#ASMSTART
	v_dot2_f32_f16 v66, v3, v77, v66
	;;#ASMEND
	s_waitcnt lgkmcnt(0)
	;;#ASMSTART
	v_dot2_f32_f16 v65, v0, v78, v65
	;;#ASMEND
	s_nop 0
	;;#ASMSTART
	v_dot2_f32_f16 v65, v1, v79, v65
	;;#ASMEND
	s_nop 0
	;; [unrolled: 4-line block ×3, first 2 shown]
	;;#ASMSTART
	v_dot2_f32_f16 v65, v3, v81, v65
	;;#ASMEND
	ds_read_b128 v[0:3], v37 offset:192
	ds_read_b128 v[4:7], v33 offset:448
	;; [unrolled: 1-line block ×5, first 2 shown]
	s_waitcnt lgkmcnt(3)
	;;#ASMSTART
	v_dot2_f32_f16 v68, v0, v4, v68
	;;#ASMEND
	s_nop 0
	;;#ASMSTART
	v_dot2_f32_f16 v68, v1, v5, v68
	;;#ASMEND
	s_nop 0
	;;#ASMSTART
	v_dot2_f32_f16 v68, v2, v6, v68
	;;#ASMEND
	s_nop 0
	;;#ASMSTART
	v_dot2_f32_f16 v68, v3, v7, v68
	;;#ASMEND
	s_waitcnt lgkmcnt(2)
	;;#ASMSTART
	v_dot2_f32_f16 v67, v0, v72, v67
	;;#ASMEND
	s_nop 0
	;;#ASMSTART
	v_dot2_f32_f16 v67, v1, v73, v67
	;;#ASMEND
	s_nop 0
	;;#ASMSTART
	v_dot2_f32_f16 v67, v2, v74, v67
	;;#ASMEND
	s_nop 0
	;;#ASMSTART
	v_dot2_f32_f16 v67, v3, v75, v67
	;;#ASMEND
	s_waitcnt lgkmcnt(1)
	;;#ASMSTART
	v_dot2_f32_f16 v66, v0, v76, v66
	;;#ASMEND
	s_nop 0
	;;#ASMSTART
	v_dot2_f32_f16 v66, v1, v77, v66
	;;#ASMEND
	s_nop 0
	;;#ASMSTART
	v_dot2_f32_f16 v66, v2, v78, v66
	;;#ASMEND
	s_nop 0
	;;#ASMSTART
	v_dot2_f32_f16 v66, v3, v79, v66
	;;#ASMEND
	s_waitcnt lgkmcnt(0)
	;;#ASMSTART
	v_dot2_f32_f16 v65, v0, v80, v65
	;;#ASMEND
	s_nop 0
	;;#ASMSTART
	v_dot2_f32_f16 v65, v1, v81, v65
	;;#ASMEND
	s_nop 0
	;;#ASMSTART
	v_dot2_f32_f16 v65, v2, v82, v65
	;;#ASMEND
	s_nop 0
	;;#ASMSTART
	v_dot2_f32_f16 v65, v3, v83, v65
	;;#ASMEND
	ds_read_b128 v[0:3], v37 offset:208
	ds_read_b128 v[4:7], v33 offset:464
	;; [unrolled: 1-line block ×5, first 2 shown]
	s_waitcnt lgkmcnt(3)
	;;#ASMSTART
	v_dot2_f32_f16 v68, v0, v4, v68
	;;#ASMEND
	s_nop 0
	;;#ASMSTART
	v_dot2_f32_f16 v68, v1, v5, v68
	;;#ASMEND
	s_nop 0
	;;#ASMSTART
	v_dot2_f32_f16 v68, v2, v6, v68
	;;#ASMEND
	s_nop 0
	;;#ASMSTART
	v_dot2_f32_f16 v68, v3, v7, v68
	;;#ASMEND
	s_waitcnt lgkmcnt(2)
	;;#ASMSTART
	v_dot2_f32_f16 v67, v0, v72, v67
	;;#ASMEND
	s_nop 0
	;;#ASMSTART
	v_dot2_f32_f16 v67, v1, v73, v67
	;;#ASMEND
	s_nop 0
	;;#ASMSTART
	v_dot2_f32_f16 v67, v2, v74, v67
	;;#ASMEND
	s_nop 0
	;;#ASMSTART
	v_dot2_f32_f16 v67, v3, v75, v67
	;;#ASMEND
	;; [unrolled: 16-line block ×4, first 2 shown]
	ds_read_b128 v[0:3], v37 offset:224
	ds_read_b128 v[4:7], v33 offset:480
	;; [unrolled: 1-line block ×5, first 2 shown]
	s_waitcnt lgkmcnt(3)
	;;#ASMSTART
	v_dot2_f32_f16 v68, v0, v4, v68
	;;#ASMEND
	s_nop 0
	;;#ASMSTART
	v_dot2_f32_f16 v68, v1, v5, v68
	;;#ASMEND
	s_nop 0
	;;#ASMSTART
	v_dot2_f32_f16 v68, v2, v6, v68
	;;#ASMEND
	s_nop 0
	;;#ASMSTART
	v_dot2_f32_f16 v68, v3, v7, v68
	;;#ASMEND
	s_waitcnt lgkmcnt(2)
	;;#ASMSTART
	v_dot2_f32_f16 v67, v0, v72, v67
	;;#ASMEND
	s_nop 0
	;;#ASMSTART
	v_dot2_f32_f16 v67, v1, v73, v67
	;;#ASMEND
	s_nop 0
	;;#ASMSTART
	v_dot2_f32_f16 v67, v2, v74, v67
	;;#ASMEND
	s_nop 0
	;;#ASMSTART
	v_dot2_f32_f16 v67, v3, v75, v67
	;;#ASMEND
	;; [unrolled: 16-line block ×4, first 2 shown]
	ds_read_b128 v[0:3], v37 offset:240
	ds_read_b128 v[4:7], v33 offset:496
	ds_read_b128 v[72:75], v33 offset:1008
	ds_read_b128 v[76:79], v33 offset:1520
	ds_read_b128 v[80:83], v33 offset:2032
	s_waitcnt lgkmcnt(3)
	;;#ASMSTART
	v_dot2_f32_f16 v68, v0, v4, v68
	;;#ASMEND
	s_nop 0
	;;#ASMSTART
	v_dot2_f32_f16 v68, v1, v5, v68
	;;#ASMEND
	s_nop 0
	;; [unrolled: 4-line block ×3, first 2 shown]
	;;#ASMSTART
	v_dot2_f32_f16 v68, v3, v7, v68
	;;#ASMEND
	s_waitcnt lgkmcnt(2)
	;;#ASMSTART
	v_dot2_f32_f16 v67, v0, v72, v67
	;;#ASMEND
	s_nop 0
	;;#ASMSTART
	v_dot2_f32_f16 v67, v1, v73, v67
	;;#ASMEND
	v_cmp_nlt_f32_e64 s[6:7], |v68|, s20
	;;#ASMSTART
	v_dot2_f32_f16 v67, v2, v74, v67
	;;#ASMEND
	s_nop 0
	;;#ASMSTART
	v_dot2_f32_f16 v67, v3, v75, v67
	;;#ASMEND
	s_waitcnt lgkmcnt(1)
	;;#ASMSTART
	v_dot2_f32_f16 v66, v0, v76, v66
	;;#ASMEND
	s_nop 0
	;;#ASMSTART
	v_dot2_f32_f16 v66, v1, v77, v66
	;;#ASMEND
	s_nop 0
	;; [unrolled: 4-line block ×3, first 2 shown]
	;;#ASMSTART
	v_dot2_f32_f16 v66, v3, v79, v66
	;;#ASMEND
	s_waitcnt lgkmcnt(0)
	;;#ASMSTART
	v_dot2_f32_f16 v65, v0, v80, v65
	;;#ASMEND
	s_nop 0
	;;#ASMSTART
	v_dot2_f32_f16 v65, v1, v81, v65
	;;#ASMEND
                                        ; implicit-def: $vgpr1
	s_nop 0
	;;#ASMSTART
	v_dot2_f32_f16 v65, v2, v82, v65
	;;#ASMEND
	s_nop 0
	;;#ASMSTART
	v_dot2_f32_f16 v65, v3, v83, v65
	;;#ASMEND
	global_load_ushort v75, v[84:85], off
	s_and_saveexec_b64 s[36:37], s[6:7]
	s_xor_b64 s[6:7], exec, s[36:37]
	s_cbranch_execz .LBB65_33
; %bb.32:                               ;   in Loop: Header=BB65_31 Depth=1
	v_add_f32_e64 v0, |v68|, |v68|
	v_mul_f32_e32 v1, 0x3fb8aa3b, v0
	v_rndne_f32_e32 v2, v1
	v_sub_f32_e32 v3, v1, v2
	v_fma_f32 v1, v0, s21, -v1
	v_fmac_f32_e32 v1, 0x32a5705f, v0
	v_add_f32_e32 v1, v3, v1
	v_cvt_i32_f32_e32 v2, v2
	v_exp_f32_e32 v1, v1
	v_cmp_ngt_f32_e32 vcc, s25, v0
	v_ldexp_f32 v1, v1, v2
	s_nop 0
	v_cndmask_b32_e32 v1, 0, v1, vcc
	v_cmp_nlt_f32_e32 vcc, s26, v0
	s_nop 1
	v_cndmask_b32_e32 v0, v44, v1, vcc
	v_add_f32_e32 v0, 1.0, v0
	v_rcp_f32_e32 v0, v0
	s_nop 0
	v_fma_f32 v1, v0, -2.0, 1.0
.LBB65_33:                              ;   in Loop: Header=BB65_31 Depth=1
	s_andn2_saveexec_b64 s[6:7], s[6:7]
; %bb.34:                               ;   in Loop: Header=BB65_31 Depth=1
	v_mul_f32_e32 v0, v68, v68
	v_fmamk_f32 v1, v0, 0xbbbac73d, v43
	v_fmaak_f32 v1, v0, v1, 0xbd5c1c4e
	v_fmaak_f32 v1, v0, v1, 0x3e088382
	;; [unrolled: 1-line block ×3, first 2 shown]
	v_mul_f32_e64 v1, |v68|, v1
	v_fma_f32 v1, v0, v1, |v68|
; %bb.35:                               ;   in Loop: Header=BB65_31 Depth=1
	s_or_b64 exec, exec, s[6:7]
	v_and_b32_e32 v0, 0x60, v34
	v_add_u32_e32 v4, 32, v0
	v_xor_b32_e32 v6, 16, v34
	v_bfi_b32 v1, s29, v1, v68
	v_cmp_lt_i32_e32 vcc, v6, v4
	s_waitcnt vmcnt(0)
	v_fma_mix_f32 v70, s10, v1, v75 op_sel_hi:[0,0,1]
	v_add_f32_e32 v1, 0x40051340, v70
	v_cndmask_b32_e32 v0, v34, v6, vcc
	v_max_f32_e32 v2, v64, v64
	v_lshlrev_b32_e32 v0, 2, v0
	v_max_f32_e32 v1, v2, v1
	ds_bpermute_b32 v2, v0, v1
	v_xor_b32_e32 v68, 8, v34
	v_cmp_lt_i32_e32 vcc, v68, v4
	v_xor_b32_e32 v69, 4, v34
	v_xor_b32_e32 v7, 2, v34
	v_cndmask_b32_e32 v3, v34, v68, vcc
	s_waitcnt lgkmcnt(0)
	v_max_f32_e32 v2, v2, v2
	v_lshlrev_b32_e32 v72, 2, v3
	v_max_f32_e32 v1, v1, v2
	ds_bpermute_b32 v3, v72, v1
	v_cmp_lt_i32_e32 vcc, v69, v4
	v_cmp_nlt_f32_e64 s[6:7], |v67|, s20
                                        ; implicit-def: $vgpr77
	s_waitcnt lgkmcnt(0)
	v_max_f32_e32 v3, v3, v3
	v_cndmask_b32_e32 v2, v34, v69, vcc
	v_lshlrev_b32_e32 v2, 2, v2
	v_max_f32_e32 v1, v1, v3
	ds_bpermute_b32 v5, v2, v1
	v_cmp_lt_i32_e32 vcc, v7, v4
	s_waitcnt lgkmcnt(0)
	v_max_f32_e32 v5, v5, v5
	v_cndmask_b32_e32 v3, v34, v7, vcc
	v_lshlrev_b32_e32 v3, 2, v3
	v_max_f32_e32 v73, v1, v5
	ds_bpermute_b32 v74, v3, v73
	v_xor_b32_e32 v5, 1, v34
	v_cmp_lt_i32_e32 vcc, v5, v4
	s_waitcnt lgkmcnt(0)
	v_max_f32_e32 v74, v74, v74
	v_cndmask_b32_e32 v1, v34, v5, vcc
	v_lshlrev_b32_e32 v1, 2, v1
	v_max_f32_e32 v73, v73, v74
	ds_bpermute_b32 v74, v1, v73
	s_and_saveexec_b64 s[36:37], s[6:7]
	s_xor_b64 s[6:7], exec, s[36:37]
	s_cbranch_execz .LBB65_37
; %bb.36:                               ;   in Loop: Header=BB65_31 Depth=1
	v_add_f32_e64 v76, |v67|, |v67|
	v_mul_f32_e32 v77, 0x3fb8aa3b, v76
	v_rndne_f32_e32 v78, v77
	v_sub_f32_e32 v79, v77, v78
	v_fma_f32 v77, v76, s21, -v77
	v_fmac_f32_e32 v77, 0x32a5705f, v76
	v_add_f32_e32 v77, v79, v77
	v_cvt_i32_f32_e32 v78, v78
	v_exp_f32_e32 v77, v77
	v_cmp_ngt_f32_e32 vcc, s25, v76
	v_ldexp_f32 v77, v77, v78
	s_nop 0
	v_cndmask_b32_e32 v77, 0, v77, vcc
	v_cmp_nlt_f32_e32 vcc, s26, v76
	s_nop 1
	v_cndmask_b32_e32 v76, v44, v77, vcc
	v_add_f32_e32 v76, 1.0, v76
	v_rcp_f32_e32 v76, v76
	s_nop 0
	v_fma_f32 v77, v76, -2.0, 1.0
.LBB65_37:                              ;   in Loop: Header=BB65_31 Depth=1
	s_andn2_saveexec_b64 s[6:7], s[6:7]
; %bb.38:                               ;   in Loop: Header=BB65_31 Depth=1
	v_mul_f32_e32 v76, v67, v67
	v_fmamk_f32 v77, v76, 0xbbbac73d, v43
	v_fmaak_f32 v77, v76, v77, 0xbd5c1c4e
	v_fmaak_f32 v77, v76, v77, 0x3e088382
	;; [unrolled: 1-line block ×3, first 2 shown]
	v_mul_f32_e64 v77, |v67|, v77
	v_fma_f32 v77, v76, v77, |v67|
; %bb.39:                               ;   in Loop: Header=BB65_31 Depth=1
	s_or_b64 exec, exec, s[6:7]
	v_add_u32_e32 v78, v71, v39
	v_ashrrev_i32_e32 v79, 31, v78
	v_lshl_add_u64 v[78:79], v[78:79], 1, s[34:35]
	global_load_ushort v76, v[78:79], off
	v_cvt_f32_f16_e32 v71, v75
	v_bfi_b32 v67, s29, v77, v67
	v_max_f32_e32 v75, v63, v63
	v_cmp_nlt_f32_e64 s[6:7], |v66|, s20
	v_fmac_f32_e32 v71, s10, v67
	v_add_f32_e32 v67, 0x40051340, v71
	v_max_f32_e32 v67, v75, v67
	ds_bpermute_b32 v75, v0, v67
                                        ; implicit-def: $vgpr77
	s_waitcnt lgkmcnt(0)
	v_max_f32_e32 v75, v75, v75
	v_max_f32_e32 v67, v67, v75
	ds_bpermute_b32 v75, v72, v67
	s_waitcnt lgkmcnt(0)
	v_max_f32_e32 v75, v75, v75
	v_max_f32_e32 v67, v67, v75
	ds_bpermute_b32 v75, v2, v67
	;; [unrolled: 4-line block ×4, first 2 shown]
	s_and_saveexec_b64 s[36:37], s[6:7]
	s_xor_b64 s[6:7], exec, s[36:37]
	s_cbranch_execz .LBB65_41
; %bb.40:                               ;   in Loop: Header=BB65_31 Depth=1
	v_add_f32_e64 v77, |v66|, |v66|
	v_mul_f32_e32 v78, 0x3fb8aa3b, v77
	v_rndne_f32_e32 v79, v78
	v_sub_f32_e32 v80, v78, v79
	v_fma_f32 v78, v77, s21, -v78
	v_fmac_f32_e32 v78, 0x32a5705f, v77
	v_add_f32_e32 v78, v80, v78
	v_cvt_i32_f32_e32 v79, v79
	v_exp_f32_e32 v78, v78
	v_cmp_ngt_f32_e32 vcc, s25, v77
	v_ldexp_f32 v78, v78, v79
	s_nop 0
	v_cndmask_b32_e32 v78, 0, v78, vcc
	v_cmp_nlt_f32_e32 vcc, s26, v77
	s_nop 1
	v_cndmask_b32_e32 v77, v44, v78, vcc
	v_add_f32_e32 v77, 1.0, v77
	v_rcp_f32_e32 v77, v77
	s_nop 0
	v_fma_f32 v77, v77, -2.0, 1.0
.LBB65_41:                              ;   in Loop: Header=BB65_31 Depth=1
	s_andn2_saveexec_b64 s[6:7], s[6:7]
; %bb.42:                               ;   in Loop: Header=BB65_31 Depth=1
	v_mul_f32_e32 v77, v66, v66
	v_fmamk_f32 v78, v77, 0xbbbac73d, v43
	v_fmaak_f32 v78, v77, v78, 0xbd5c1c4e
	v_fmaak_f32 v78, v77, v78, 0x3e088382
	v_fmaak_f32 v78, v77, v78, 0xbeaaaa99
	v_mul_f32_e64 v78, |v66|, v78
	v_fma_f32 v77, v77, v78, |v66|
; %bb.43:                               ;   in Loop: Header=BB65_31 Depth=1
	s_or_b64 exec, exec, s[6:7]
	v_bfi_b32 v66, s29, v77, v66
	s_waitcnt vmcnt(0)
	v_fma_mix_f32 v66, s10, v66, v76 op_sel_hi:[0,0,1]
	v_add_f32_e32 v77, 0x40051340, v66
	v_max_f32_e32 v78, v62, v62
	v_max_f32_e32 v77, v78, v77
	ds_bpermute_b32 v78, v0, v77
	v_cmp_nlt_f32_e64 s[6:7], |v65|, s20
                                        ; implicit-def: $vgpr79
	s_waitcnt lgkmcnt(0)
	v_max_f32_e32 v78, v78, v78
	v_max_f32_e32 v77, v77, v78
	ds_bpermute_b32 v78, v72, v77
	s_waitcnt lgkmcnt(0)
	v_max_f32_e32 v78, v78, v78
	v_max_f32_e32 v77, v77, v78
	ds_bpermute_b32 v78, v2, v77
	;; [unrolled: 4-line block ×4, first 2 shown]
	s_and_saveexec_b64 s[36:37], s[6:7]
	s_xor_b64 s[6:7], exec, s[36:37]
	s_cbranch_execz .LBB65_45
; %bb.44:                               ;   in Loop: Header=BB65_31 Depth=1
	v_add_f32_e64 v79, |v65|, |v65|
	v_mul_f32_e32 v80, 0x3fb8aa3b, v79
	v_rndne_f32_e32 v81, v80
	v_sub_f32_e32 v82, v80, v81
	v_fma_f32 v80, v79, s21, -v80
	v_fmac_f32_e32 v80, 0x32a5705f, v79
	v_add_f32_e32 v80, v82, v80
	v_cvt_i32_f32_e32 v81, v81
	v_exp_f32_e32 v80, v80
	v_cmp_ngt_f32_e32 vcc, s25, v79
	v_ldexp_f32 v80, v80, v81
	s_nop 0
	v_cndmask_b32_e32 v80, 0, v80, vcc
	v_cmp_nlt_f32_e32 vcc, s26, v79
	s_nop 1
	v_cndmask_b32_e32 v79, v44, v80, vcc
	v_add_f32_e32 v79, 1.0, v79
	v_rcp_f32_e32 v79, v79
	s_nop 0
	v_fma_f32 v79, v79, -2.0, 1.0
.LBB65_45:                              ;   in Loop: Header=BB65_31 Depth=1
	s_andn2_saveexec_b64 s[6:7], s[6:7]
; %bb.46:                               ;   in Loop: Header=BB65_31 Depth=1
	v_mul_f32_e32 v79, v65, v65
	v_fmamk_f32 v80, v79, 0xbbbac73d, v43
	v_fmaak_f32 v80, v79, v80, 0xbd5c1c4e
	v_fmaak_f32 v80, v79, v80, 0x3e088382
	;; [unrolled: 1-line block ×3, first 2 shown]
	v_mul_f32_e64 v80, |v65|, v80
	v_fma_f32 v79, v79, v80, |v65|
; %bb.47:                               ;   in Loop: Header=BB65_31 Depth=1
	s_or_b64 exec, exec, s[6:7]
	v_cvt_f32_f16_e32 v82, v76
	v_bfi_b32 v65, s29, v79, v65
	s_waitcnt lgkmcnt(0)
	v_max_f32_e32 v76, v78, v78
	v_max_f32_e32 v78, v61, v61
	v_fmac_f32_e32 v82, s10, v65
	v_add_f32_e32 v65, 0x40051340, v82
	v_max_f32_e32 v65, v78, v65
	ds_bpermute_b32 v0, v0, v65
	v_max_f32_e32 v74, v74, v74
	v_max_f32_e32 v75, v75, v75
	;; [unrolled: 1-line block ×3, first 2 shown]
	s_mul_hi_i32 s7, s2, s11
	s_waitcnt lgkmcnt(0)
	v_max_f32_e32 v0, v0, v0
	v_max_f32_e32 v0, v65, v0
	ds_bpermute_b32 v65, v72, v0
	v_max_f32_e32 v72, v73, v73
	s_mul_i32 s6, s2, s11
	s_lshl_b64 s[6:7], s[6:7], 2
	s_add_u32 s6, s8, s6
	s_waitcnt lgkmcnt(0)
	v_max_f32_e32 v65, v65, v65
	v_max_f32_e32 v65, v0, v65
	ds_bpermute_b32 v73, v2, v65
	v_max_f32_e32 v0, v72, v74
	v_sub_f32_e32 v64, v64, v0
	v_mul_f32_e32 v72, 0x3fb8aa3b, v64
	v_rndne_f32_e32 v74, v72
	s_waitcnt lgkmcnt(0)
	v_max_f32_e32 v73, v73, v73
	v_max_f32_e32 v65, v65, v73
	ds_bpermute_b32 v3, v3, v65
	v_fma_f32 v73, v64, s21, -v72
	v_fmac_f32_e32 v73, 0x32a5705f, v64
	v_sub_f32_e32 v72, v72, v74
	v_cvt_i32_f32_e32 v74, v74
	s_waitcnt lgkmcnt(0)
	v_max_f32_e32 v3, v3, v3
	v_max_f32_e32 v3, v65, v3
	ds_bpermute_b32 v65, v1, v3
	v_add_f32_e32 v1, v72, v73
	v_exp_f32_e32 v72, v1
	v_max_f32_e32 v1, v67, v75
	v_sub_f32_e32 v67, v70, v0
	s_waitcnt lgkmcnt(0)
	v_max_f32_e32 v65, v65, v65
	v_mul_f32_e32 v70, 0x3fb8aa3b, v67
	v_max_f32_e32 v3, v3, v65
	v_ldexp_f32 v65, v72, v74
	v_fma_f32 v72, v67, s21, -v70
	v_rndne_f32_e32 v73, v70
	v_fmac_f32_e32 v72, 0x32a5705f, v67
	v_sub_f32_e32 v70, v70, v73
	v_add_f32_e32 v70, v70, v72
	v_exp_f32_e32 v70, v70
	v_cvt_i32_f32_e32 v72, v73
	v_cmp_ngt_f32_e32 vcc, s25, v64
	v_sub_f32_e32 v63, v63, v1
	s_addc_u32 s7, s9, s7
	v_cndmask_b32_e32 v65, 0, v65, vcc
	v_cmp_nlt_f32_e32 vcc, s26, v64
	v_max_f32_e32 v77, v77, v77
	s_nop 0
	v_cndmask_b32_e32 v64, v44, v65, vcc
	v_ldexp_f32 v65, v70, v72
	v_cvt_f16_f32_e32 v70, v64
	v_cmp_ngt_f32_e32 vcc, s25, v67
	s_barrier
	s_nop 0
	v_cndmask_b32_e32 v65, 0, v65, vcc
	v_cmp_nlt_f32_e32 vcc, s26, v67
	v_mul_u32_u24_e32 v67, 0x10001, v70
	v_pk_mul_f16 v83, v60, v67
	v_cndmask_b32_e32 v78, v44, v65, vcc
	v_mul_f32_e32 v65, 0x3fb8aa3b, v63
	v_fma_f32 v70, v63, s21, -v65
	v_rndne_f32_e32 v72, v65
	v_fmac_f32_e32 v70, 0x32a5705f, v63
	v_sub_f32_e32 v65, v65, v72
	v_add_f32_e32 v65, v65, v70
	v_exp_f32_e32 v65, v65
	v_cvt_i32_f32_e32 v70, v72
	v_sub_f32_e32 v60, v71, v1
	v_pk_mul_f16 v85, v59, v67
	v_mul_f32_e32 v59, 0x3fb8aa3b, v60
	v_pk_mul_f16 v84, v58, v67
	v_ldexp_f32 v58, v65, v70
	v_fma_f32 v65, v60, s21, -v59
	v_rndne_f32_e32 v70, v59
	v_fmac_f32_e32 v65, 0x32a5705f, v60
	v_sub_f32_e32 v59, v59, v70
	v_add_f32_e32 v59, v59, v65
	v_exp_f32_e32 v59, v59
	v_cvt_i32_f32_e32 v70, v70
	v_cmp_ngt_f32_e32 vcc, s25, v63
	v_max_f32_e32 v2, v77, v76
	s_nop 0
	v_cndmask_b32_e32 v58, 0, v58, vcc
	v_cmp_nlt_f32_e32 vcc, s26, v63
	s_nop 1
	v_cndmask_b32_e32 v65, v44, v58, vcc
	v_ldexp_f32 v58, v59, v70
	v_cmp_ngt_f32_e32 vcc, s25, v60
	v_lshl_add_u64 v[70:71], s[6:7], 0, v[22:23]
	v_lshl_add_u64 v[80:81], v[70:71], 0, v[12:13]
	v_cndmask_b32_e32 v63, 0, v58, vcc
	v_lshl_add_u64 v[58:59], s[6:7], 0, v[20:21]
	v_lshl_add_u64 v[58:59], v[58:59], 0, v[12:13]
	global_load_dwordx4 v[70:73], v[58:59], off
	global_load_dwordx4 v[74:77], v[80:81], off
	v_sub_f32_e32 v58, v62, v2
	v_mul_f32_e32 v59, 0x3fb8aa3b, v58
	v_cmp_nlt_f32_e32 vcc, s26, v60
	v_fma_f32 v60, v58, s21, -v59
	v_rndne_f32_e32 v62, v59
	v_cvt_f16_f32_e32 v86, v65
	v_fmac_f32_e32 v60, 0x32a5705f, v58
	v_sub_f32_e32 v59, v59, v62
	v_add_f32_e32 v59, v59, v60
	v_exp_f32_e32 v59, v59
	v_cvt_i32_f32_e32 v60, v62
	v_mul_u32_u24_e32 v86, 0x10001, v86
	v_pk_mul_f16 v88, v55, v86
	v_sub_f32_e32 v55, v66, v2
	v_pk_mul_f16 v87, v54, v86
	v_ldexp_f32 v54, v59, v60
	v_mul_f32_e32 v59, 0x3fb8aa3b, v55
	v_fma_f32 v60, v55, s21, -v59
	v_rndne_f32_e32 v62, v59
	v_fmac_f32_e32 v60, 0x32a5705f, v55
	v_sub_f32_e32 v59, v59, v62
	v_add_f32_e32 v59, v59, v60
	v_exp_f32_e32 v59, v59
	v_cvt_i32_f32_e32 v60, v62
	v_cndmask_b32_e32 v79, v44, v63, vcc
	v_cmp_ngt_f32_e32 vcc, s25, v58
	v_pk_fma_f32 v[10:11], v[10:11], v[64:65], v[78:79]
	v_pk_mul_f16 v57, v57, v86
	v_cndmask_b32_e32 v54, 0, v54, vcc
	v_cmp_nlt_f32_e32 vcc, s26, v58
	v_ldexp_f32 v58, v59, v60
	s_or_b32 s6, s2, 16
	v_cndmask_b32_e32 v54, v44, v54, vcc
	v_cvt_f16_f32_e32 v59, v54
	v_cmp_ngt_f32_e32 vcc, s25, v55
	s_mul_hi_i32 s7, s6, s11
	s_mul_i32 s6, s6, s11
	v_cndmask_b32_e32 v58, 0, v58, vcc
	v_cmp_nlt_f32_e32 vcc, s26, v55
	v_sub_f32_e32 v55, v61, v3
	v_mul_u32_u24_e32 v66, 0x10001, v59
	v_mul_f32_e32 v59, 0x3fb8aa3b, v55
	v_fma_f32 v60, v55, s21, -v59
	v_rndne_f32_e32 v61, v59
	v_fmac_f32_e32 v60, 0x32a5705f, v55
	v_sub_f32_e32 v59, v59, v61
	v_add_f32_e32 v59, v59, v60
	v_exp_f32_e32 v59, v59
	v_cvt_i32_f32_e32 v60, v61
	v_cndmask_b32_e32 v58, v44, v58, vcc
	v_cmp_ngt_f32_e32 vcc, s25, v55
	v_pk_mul_f16 v52, v52, v66
	v_ldexp_f32 v59, v59, v60
	v_sub_f32_e32 v60, v82, v3
	v_mul_f32_e32 v61, 0x3fb8aa3b, v60
	v_fma_f32 v62, v60, s21, -v61
	v_rndne_f32_e32 v63, v61
	v_fmac_f32_e32 v62, 0x32a5705f, v60
	v_sub_f32_e32 v61, v61, v63
	v_add_f32_e32 v61, v61, v62
	v_exp_f32_e32 v61, v61
	v_cvt_i32_f32_e32 v62, v63
	v_cndmask_b32_e32 v59, 0, v59, vcc
	v_cmp_nlt_f32_e32 vcc, s26, v55
	v_pk_mul_f16 v50, v50, v66
	v_pk_mul_f16 v51, v51, v66
	v_cndmask_b32_e32 v55, v44, v59, vcc
	v_ldexp_f32 v59, v61, v62
	v_cvt_f16_f32_e32 v61, v55
	v_cmp_ngt_f32_e32 vcc, s25, v60
	s_lshl_b64 s[6:7], s[6:7], 2
	s_add_u32 s6, s8, s6
	v_cndmask_b32_e32 v59, 0, v59, vcc
	v_cmp_nlt_f32_e32 vcc, s26, v60
	v_add_u32_e32 v60, v40, v32
	s_addc_u32 s7, s9, s7
	v_cndmask_b32_e32 v59, v44, v59, vcc
	v_pk_fma_f32 v[8:9], v[8:9], v[54:55], v[58:59]
	v_mul_u32_u24_e32 v54, 0x10001, v61
	v_pk_mul_f16 v48, v48, v54
	v_pk_mul_f16 v55, v47, v54
	;; [unrolled: 1-line block ×4, first 2 shown]
	v_cvt_pk_f16_f32 v47, v58, v59
	v_cvt_pk_f16_f32 v46, v78, v79
	ds_write_b64 v60, v[46:47]
	s_waitcnt vmcnt(1)
	ds_write_b128 v41, v[70:73]
	s_waitcnt vmcnt(0)
	ds_write_b128 v42, v[74:77]
	s_waitcnt lgkmcnt(0)
	s_barrier
	v_add_u32_e32 v47, 0x4000, v32
	ds_read_b128 v[58:61], v40
	ds_read2_b64 v[62:65], v47 offset1:32
	ds_read_b128 v[70:73], v40 offset:16
	ds_read_b128 v[74:77], v40 offset:32
	;; [unrolled: 1-line block ×3, first 2 shown]
	s_waitcnt lgkmcnt(4)
	v_mul_u32_u24_sdwa v46, v58, s31 dst_sel:DWORD dst_unused:UNUSED_PAD src0_sel:WORD_0 src1_sel:DWORD
	v_mul_u32_u24_sdwa v58, v58, s31 dst_sel:DWORD dst_unused:UNUSED_PAD src0_sel:WORD_1 src1_sel:DWORD
	s_waitcnt lgkmcnt(3)
	v_pk_mul_f16 v89, v62, v46
	v_mul_u32_u24_sdwa v82, v59, s31 dst_sel:DWORD dst_unused:UNUSED_PAD src0_sel:WORD_0 src1_sel:DWORD
	v_pk_fma_f16 v56, v56, v67, v89
	v_pk_mul_f16 v67, v62, v58
	v_mul_u32_u24_sdwa v59, v59, s31 dst_sel:DWORD dst_unused:UNUSED_PAD src0_sel:WORD_1 src1_sel:DWORD
	v_pk_fma_f16 v53, v53, v86, v67
	v_pk_mul_f16 v67, v62, v82
	v_pk_fma_f16 v62, v62, v59, v48
	v_pk_fma_f16 v66, v49, v66, v67
	;; [unrolled: 1-line block ×11, first 2 shown]
	ds_read2_b64 v[48:51], v47 offset0:64 offset1:96
	v_pk_fma_f16 v46, v65, v46, v85
	v_pk_fma_f16 v58, v65, v58, v88
	;; [unrolled: 1-line block ×3, first 2 shown]
	v_mul_u32_u24_sdwa v59, v60, s31 dst_sel:DWORD dst_unused:UNUSED_PAD src0_sel:WORD_0 src1_sel:DWORD
	v_mul_u32_u24_sdwa v60, v60, s31 dst_sel:DWORD dst_unused:UNUSED_PAD src0_sel:WORD_1 src1_sel:DWORD
	v_mul_u32_u24_sdwa v65, v61, s31 dst_sel:DWORD dst_unused:UNUSED_PAD src0_sel:WORD_0 src1_sel:DWORD
	v_mul_u32_u24_sdwa v61, v61, s31 dst_sel:DWORD dst_unused:UNUSED_PAD src0_sel:WORD_1 src1_sel:DWORD
	s_waitcnt lgkmcnt(0)
	v_pk_fma_f16 v56, v48, v59, v56
	v_pk_fma_f16 v53, v48, v60, v53
	;; [unrolled: 1-line block ×16, first 2 shown]
	ds_read2_b64 v[48:51], v47 offset0:128 offset1:160
	v_mul_u32_u24_sdwa v60, v70, s31 dst_sel:DWORD dst_unused:UNUSED_PAD src0_sel:WORD_0 src1_sel:DWORD
	v_mul_u32_u24_sdwa v61, v70, s31 dst_sel:DWORD dst_unused:UNUSED_PAD src0_sel:WORD_1 src1_sel:DWORD
	v_mul_u32_u24_sdwa v64, v71, s31 dst_sel:DWORD dst_unused:UNUSED_PAD src0_sel:WORD_0 src1_sel:DWORD
	v_mul_u32_u24_sdwa v65, v71, s31 dst_sel:DWORD dst_unused:UNUSED_PAD src0_sel:WORD_1 src1_sel:DWORD
	s_waitcnt lgkmcnt(0)
	v_pk_fma_f16 v56, v48, v60, v56
	v_pk_fma_f16 v53, v48, v61, v53
	;; [unrolled: 1-line block ×16, first 2 shown]
	ds_read2_b64 v[48:51], v47 offset0:192 offset1:224
	v_mul_u32_u24_sdwa v60, v72, s31 dst_sel:DWORD dst_unused:UNUSED_PAD src0_sel:WORD_0 src1_sel:DWORD
	v_mul_u32_u24_sdwa v61, v72, s31 dst_sel:DWORD dst_unused:UNUSED_PAD src0_sel:WORD_1 src1_sel:DWORD
	v_mul_u32_u24_sdwa v64, v73, s31 dst_sel:DWORD dst_unused:UNUSED_PAD src0_sel:WORD_0 src1_sel:DWORD
	v_mul_u32_u24_sdwa v65, v73, s31 dst_sel:DWORD dst_unused:UNUSED_PAD src0_sel:WORD_1 src1_sel:DWORD
	s_waitcnt lgkmcnt(0)
	v_pk_fma_f16 v56, v48, v60, v56
	v_pk_fma_f16 v72, v48, v61, v53
	;; [unrolled: 1-line block ×4, first 2 shown]
	v_add_u32_e32 v48, 0x4800, v32
	v_pk_fma_f16 v67, v49, v60, v67
	v_pk_fma_f16 v57, v49, v61, v57
	;; [unrolled: 1-line block ×12, first 2 shown]
	ds_read2_b64 v[50:53], v48 offset1:32
	v_mul_u32_u24_sdwa v60, v74, s31 dst_sel:DWORD dst_unused:UNUSED_PAD src0_sel:WORD_0 src1_sel:DWORD
	v_mul_u32_u24_sdwa v61, v74, s31 dst_sel:DWORD dst_unused:UNUSED_PAD src0_sel:WORD_1 src1_sel:DWORD
	v_mul_u32_u24_sdwa v64, v75, s31 dst_sel:DWORD dst_unused:UNUSED_PAD src0_sel:WORD_0 src1_sel:DWORD
	v_mul_u32_u24_sdwa v65, v75, s31 dst_sel:DWORD dst_unused:UNUSED_PAD src0_sel:WORD_1 src1_sel:DWORD
	s_waitcnt lgkmcnt(0)
	v_pk_fma_f16 v56, v50, v60, v56
	v_pk_fma_f16 v71, v50, v61, v72
	v_pk_fma_f16 v66, v50, v64, v66
	v_pk_fma_f16 v62, v50, v65, v62
	v_pk_fma_f16 v67, v51, v60, v67
	v_pk_fma_f16 v57, v51, v61, v57
	v_pk_fma_f16 v72, v51, v64, v73
	v_pk_fma_f16 v49, v51, v65, v49
	v_pk_fma_f16 v55, v52, v60, v55
	v_pk_fma_f16 v63, v52, v61, v63
	v_pk_fma_f16 v70, v52, v64, v70
	v_pk_fma_f16 v45, v52, v65, v45
	v_pk_fma_f16 v46, v53, v60, v46
	v_pk_fma_f16 v58, v53, v61, v58
	v_pk_fma_f16 v59, v53, v64, v59
	v_pk_fma_f16 v54, v53, v65, v54
	ds_read2_b64 v[50:53], v48 offset0:64 offset1:96
	v_mul_u32_u24_sdwa v60, v76, s31 dst_sel:DWORD dst_unused:UNUSED_PAD src0_sel:WORD_0 src1_sel:DWORD
	v_mul_u32_u24_sdwa v61, v76, s31 dst_sel:DWORD dst_unused:UNUSED_PAD src0_sel:WORD_1 src1_sel:DWORD
	v_mul_u32_u24_sdwa v64, v77, s31 dst_sel:DWORD dst_unused:UNUSED_PAD src0_sel:WORD_0 src1_sel:DWORD
	v_mul_u32_u24_sdwa v65, v77, s31 dst_sel:DWORD dst_unused:UNUSED_PAD src0_sel:WORD_1 src1_sel:DWORD
	s_waitcnt lgkmcnt(0)
	v_pk_fma_f16 v56, v50, v60, v56
	v_pk_fma_f16 v71, v50, v61, v71
	v_pk_fma_f16 v66, v50, v64, v66
	v_pk_fma_f16 v62, v50, v65, v62
	v_pk_fma_f16 v67, v51, v60, v67
	v_pk_fma_f16 v57, v51, v61, v57
	v_pk_fma_f16 v72, v51, v64, v72
	v_pk_fma_f16 v49, v51, v65, v49
	v_pk_fma_f16 v55, v52, v60, v55
	v_pk_fma_f16 v63, v52, v61, v63
	v_pk_fma_f16 v70, v52, v64, v70
	v_pk_fma_f16 v45, v52, v65, v45
	v_pk_fma_f16 v46, v53, v60, v46
	v_pk_fma_f16 v58, v53, v61, v58
	v_pk_fma_f16 v59, v53, v64, v59
	v_pk_fma_f16 v54, v53, v65, v54
	ds_read2_b64 v[50:53], v48 offset0:128 offset1:160
	;; [unrolled: 22-line block ×3, first 2 shown]
	v_mul_u32_u24_sdwa v54, v80, s31 dst_sel:DWORD dst_unused:UNUSED_PAD src0_sel:WORD_0 src1_sel:DWORD
	v_mul_u32_u24_sdwa v61, v80, s31 dst_sel:DWORD dst_unused:UNUSED_PAD src0_sel:WORD_1 src1_sel:DWORD
	v_mul_u32_u24_sdwa v65, v81, s31 dst_sel:DWORD dst_unused:UNUSED_PAD src0_sel:WORD_1 src1_sel:DWORD
	v_mul_u32_u24_sdwa v64, v81, s31 dst_sel:DWORD dst_unused:UNUSED_PAD src0_sel:WORD_0 src1_sel:DWORD
	s_waitcnt lgkmcnt(0)
	v_pk_fma_f16 v73, v50, v54, v56
	v_pk_fma_f16 v67, v51, v54, v67
	;; [unrolled: 1-line block ×5, first 2 shown]
	ds_read_b128 v[54:57], v40 offset:64
	v_pk_fma_f16 v76, v52, v65, v45
	v_add_u32_e32 v45, 0x5000, v32
	v_pk_fma_f16 v71, v50, v61, v71
	v_pk_fma_f16 v66, v50, v64, v66
	;; [unrolled: 1-line block ×10, first 2 shown]
	ds_read2_b64 v[50:53], v45 offset1:32
	ds_read_b128 v[58:61], v40 offset:80
	s_waitcnt lgkmcnt(2)
	v_mul_u32_u24_sdwa v78, v54, s31 dst_sel:DWORD dst_unused:UNUSED_PAD src0_sel:WORD_0 src1_sel:DWORD
	v_mul_u32_u24_sdwa v54, v54, s31 dst_sel:DWORD dst_unused:UNUSED_PAD src0_sel:WORD_1 src1_sel:DWORD
	v_mul_u32_u24_sdwa v79, v55, s31 dst_sel:DWORD dst_unused:UNUSED_PAD src0_sel:WORD_0 src1_sel:DWORD
	v_mul_u32_u24_sdwa v55, v55, s31 dst_sel:DWORD dst_unused:UNUSED_PAD src0_sel:WORD_1 src1_sel:DWORD
	s_waitcnt lgkmcnt(1)
	v_pk_fma_f16 v73, v50, v78, v73
	v_pk_fma_f16 v71, v50, v54, v71
	v_pk_fma_f16 v66, v50, v79, v66
	v_pk_fma_f16 v62, v50, v55, v62
	v_pk_fma_f16 v67, v51, v78, v67
	v_pk_fma_f16 v74, v51, v54, v74
	v_pk_fma_f16 v72, v51, v79, v72
	v_pk_fma_f16 v49, v51, v55, v49
	v_pk_fma_f16 v75, v52, v78, v75
	v_pk_fma_f16 v63, v52, v54, v63
	v_pk_fma_f16 v70, v52, v79, v70
	v_pk_fma_f16 v76, v52, v55, v76
	v_pk_fma_f16 v46, v53, v78, v46
	v_pk_fma_f16 v54, v53, v54, v77
	v_pk_fma_f16 v64, v53, v79, v64
	v_pk_fma_f16 v55, v53, v55, v65
	ds_read2_b64 v[50:53], v45 offset0:64 offset1:96
	v_mul_u32_u24_sdwa v65, v56, s31 dst_sel:DWORD dst_unused:UNUSED_PAD src0_sel:WORD_0 src1_sel:DWORD
	v_mul_u32_u24_sdwa v56, v56, s31 dst_sel:DWORD dst_unused:UNUSED_PAD src0_sel:WORD_1 src1_sel:DWORD
	v_mul_u32_u24_sdwa v77, v57, s31 dst_sel:DWORD dst_unused:UNUSED_PAD src0_sel:WORD_0 src1_sel:DWORD
	v_mul_u32_u24_sdwa v57, v57, s31 dst_sel:DWORD dst_unused:UNUSED_PAD src0_sel:WORD_1 src1_sel:DWORD
	s_waitcnt lgkmcnt(0)
	v_pk_fma_f16 v73, v50, v65, v73
	v_pk_fma_f16 v71, v50, v56, v71
	v_pk_fma_f16 v66, v50, v77, v66
	v_pk_fma_f16 v62, v50, v57, v62
	v_pk_fma_f16 v67, v51, v65, v67
	v_pk_fma_f16 v74, v51, v56, v74
	v_pk_fma_f16 v72, v51, v77, v72
	v_pk_fma_f16 v49, v51, v57, v49
	v_pk_fma_f16 v75, v52, v65, v75
	v_pk_fma_f16 v63, v52, v56, v63
	v_pk_fma_f16 v70, v52, v77, v70
	v_pk_fma_f16 v76, v52, v57, v76
	v_pk_fma_f16 v46, v53, v65, v46
	v_pk_fma_f16 v54, v53, v56, v54
	v_pk_fma_f16 v56, v53, v77, v64
	v_pk_fma_f16 v55, v53, v57, v55
	ds_read2_b64 v[50:53], v45 offset0:128 offset1:160
	;; [unrolled: 22-line block ×3, first 2 shown]
	v_mul_u32_u24_sdwa v55, v60, s31 dst_sel:DWORD dst_unused:UNUSED_PAD src0_sel:WORD_0 src1_sel:DWORD
	v_mul_u32_u24_sdwa v59, v61, s31 dst_sel:DWORD dst_unused:UNUSED_PAD src0_sel:WORD_0 src1_sel:DWORD
	v_mul_u32_u24_sdwa v57, v60, s31 dst_sel:DWORD dst_unused:UNUSED_PAD src0_sel:WORD_1 src1_sel:DWORD
	v_mul_u32_u24_sdwa v60, v61, s31 dst_sel:DWORD dst_unused:UNUSED_PAD src0_sel:WORD_1 src1_sel:DWORD
	s_waitcnt lgkmcnt(0)
	v_pk_fma_f16 v90, v50, v59, v66
	v_pk_fma_f16 v92, v51, v55, v67
	v_lshl_add_u64 v[66:67], s[6:7], 0, v[20:21]
	v_pk_fma_f16 v99, v53, v55, v46
	v_add_u32_e32 v46, 0x5800, v32
	v_lshl_add_u64 v[66:67], v[66:67], 0, v[12:13]
	v_lshl_add_u64 v[78:79], s[6:7], 0, v[22:23]
	v_pk_fma_f16 v88, v50, v55, v65
	v_pk_fma_f16 v89, v50, v57, v71
	;; [unrolled: 1-line block ×12, first 2 shown]
	ds_read_b128 v[54:57], v40 offset:96
	v_pk_fma_f16 v102, v53, v60, v58
	ds_read2_b64 v[50:53], v46 offset1:32
	ds_read_b128 v[58:61], v40 offset:112
	ds_read2_b64 v[62:65], v46 offset0:64 offset1:96
	ds_read2_b64 v[70:73], v46 offset0:128 offset1:160
	;; [unrolled: 1-line block ×3, first 2 shown]
	s_waitcnt lgkmcnt(0)
	s_barrier
	v_lshl_add_u64 v[86:87], v[78:79], 0, v[12:13]
	global_load_dwordx4 v[78:81], v[66:67], off
	global_load_dwordx4 v[82:85], v[86:87], off
	v_mul_u32_u24_sdwa v103, v54, s31 dst_sel:DWORD dst_unused:UNUSED_PAD src0_sel:WORD_0 src1_sel:DWORD
	v_mul_u32_u24_sdwa v54, v54, s31 dst_sel:DWORD dst_unused:UNUSED_PAD src0_sel:WORD_1 src1_sel:DWORD
	v_mul_u32_u24_sdwa v66, v55, s31 dst_sel:DWORD dst_unused:UNUSED_PAD src0_sel:WORD_0 src1_sel:DWORD
	v_mul_u32_u24_sdwa v55, v55, s31 dst_sel:DWORD dst_unused:UNUSED_PAD src0_sel:WORD_1 src1_sel:DWORD
	v_pk_fma_f16 v67, v50, v103, v88
	v_pk_fma_f16 v86, v50, v54, v89
	v_pk_fma_f16 v87, v50, v66, v90
	v_pk_fma_f16 v50, v50, v55, v91
	v_pk_fma_f16 v88, v51, v103, v92
	v_pk_fma_f16 v89, v51, v54, v93
	v_pk_fma_f16 v90, v51, v66, v94
	v_pk_fma_f16 v49, v51, v55, v49
	v_pk_fma_f16 v51, v52, v103, v95
	v_pk_fma_f16 v91, v52, v54, v96
	v_pk_fma_f16 v92, v52, v66, v97
	v_pk_fma_f16 v52, v52, v55, v98
	v_pk_fma_f16 v93, v53, v103, v99
	v_pk_fma_f16 v54, v53, v54, v100
	v_pk_fma_f16 v66, v53, v66, v101
	v_pk_fma_f16 v53, v53, v55, v102
	v_mul_u32_u24_sdwa v55, v56, s31 dst_sel:DWORD dst_unused:UNUSED_PAD src0_sel:WORD_0 src1_sel:DWORD
	v_mul_u32_u24_sdwa v56, v56, s31 dst_sel:DWORD dst_unused:UNUSED_PAD src0_sel:WORD_1 src1_sel:DWORD
	v_mul_u32_u24_sdwa v94, v57, s31 dst_sel:DWORD dst_unused:UNUSED_PAD src0_sel:WORD_0 src1_sel:DWORD
	v_mul_u32_u24_sdwa v57, v57, s31 dst_sel:DWORD dst_unused:UNUSED_PAD src0_sel:WORD_1 src1_sel:DWORD
	v_pk_fma_f16 v67, v62, v55, v67
	v_pk_fma_f16 v86, v62, v56, v86
	v_pk_fma_f16 v87, v62, v94, v87
	v_pk_fma_f16 v50, v62, v57, v50
	v_pk_fma_f16 v62, v63, v55, v88
	v_pk_fma_f16 v88, v63, v56, v89
	v_pk_fma_f16 v89, v63, v94, v90
	v_pk_fma_f16 v49, v63, v57, v49
	v_pk_fma_f16 v51, v64, v55, v51
	v_pk_fma_f16 v63, v64, v56, v91
	v_pk_fma_f16 v90, v64, v94, v92
	v_pk_fma_f16 v52, v64, v57, v52
	v_pk_fma_f16 v55, v65, v55, v93
	v_pk_fma_f16 v54, v65, v56, v54
	v_pk_fma_f16 v56, v65, v94, v66
	v_pk_fma_f16 v53, v65, v57, v53
	v_mul_u32_u24_sdwa v57, v58, s31 dst_sel:DWORD dst_unused:UNUSED_PAD src0_sel:WORD_0 src1_sel:DWORD
	v_mul_u32_u24_sdwa v58, v58, s31 dst_sel:DWORD dst_unused:UNUSED_PAD src0_sel:WORD_1 src1_sel:DWORD
	v_mul_u32_u24_sdwa v64, v59, s31 dst_sel:DWORD dst_unused:UNUSED_PAD src0_sel:WORD_0 src1_sel:DWORD
	v_mul_u32_u24_sdwa v59, v59, s31 dst_sel:DWORD dst_unused:UNUSED_PAD src0_sel:WORD_1 src1_sel:DWORD
	v_pk_fma_f16 v65, v70, v57, v67
	v_pk_fma_f16 v66, v70, v58, v86
	v_pk_fma_f16 v67, v70, v64, v87
	v_pk_fma_f16 v50, v70, v59, v50
	v_pk_fma_f16 v62, v71, v57, v62
	v_pk_fma_f16 v70, v71, v58, v88
	v_pk_fma_f16 v86, v71, v64, v89
	v_pk_fma_f16 v49, v71, v59, v49
	v_pk_fma_f16 v51, v72, v57, v51
	v_pk_fma_f16 v63, v72, v58, v63
	v_pk_fma_f16 v71, v72, v64, v90
	v_pk_fma_f16 v52, v72, v59, v52
	v_pk_fma_f16 v55, v73, v57, v55
	v_pk_fma_f16 v54, v73, v58, v54
	v_pk_fma_f16 v56, v73, v64, v56
	v_pk_fma_f16 v53, v73, v59, v53
	v_mul_u32_u24_sdwa v57, v60, s31 dst_sel:DWORD dst_unused:UNUSED_PAD src0_sel:WORD_0 src1_sel:DWORD
	v_mul_u32_u24_sdwa v58, v60, s31 dst_sel:DWORD dst_unused:UNUSED_PAD src0_sel:WORD_1 src1_sel:DWORD
	v_mul_u32_u24_sdwa v59, v61, s31 dst_sel:DWORD dst_unused:UNUSED_PAD src0_sel:WORD_0 src1_sel:DWORD
	v_mul_u32_u24_sdwa v60, v61, s31 dst_sel:DWORD dst_unused:UNUSED_PAD src0_sel:WORD_1 src1_sel:DWORD
	v_pk_fma_f16 v87, v74, v57, v65
	v_pk_fma_f16 v66, v74, v58, v66
	v_pk_fma_f16 v67, v74, v59, v67
	v_pk_fma_f16 v74, v74, v60, v50
	v_pk_fma_f16 v88, v75, v57, v62
	v_pk_fma_f16 v89, v75, v58, v70
	v_pk_fma_f16 v86, v75, v59, v86
	v_pk_fma_f16 v49, v75, v60, v49
	v_pk_fma_f16 v75, v76, v57, v51
	v_pk_fma_f16 v90, v76, v58, v63
	v_pk_fma_f16 v91, v76, v59, v71
	v_pk_fma_f16 v76, v76, v60, v52
	v_pk_fma_f16 v92, v77, v57, v55
	v_pk_fma_f16 v93, v77, v58, v54
	v_pk_fma_f16 v94, v77, v59, v56
	v_pk_fma_f16 v77, v77, v60, v53
	s_waitcnt vmcnt(1)
	ds_write_b128 v41, v[78:81]
	s_waitcnt vmcnt(0)
	ds_write_b128 v42, v[82:85]
	s_waitcnt lgkmcnt(0)
	s_barrier
	ds_read_b128 v[50:53], v40 offset:128
	ds_read2_b64 v[54:57], v47 offset1:32
	ds_read_b128 v[58:61], v40 offset:144
	ds_read_b128 v[62:65], v40 offset:160
	;; [unrolled: 1-line block ×3, first 2 shown]
	s_waitcnt lgkmcnt(4)
	v_mul_u32_u24_sdwa v78, v50, s31 dst_sel:DWORD dst_unused:UNUSED_PAD src0_sel:WORD_0 src1_sel:DWORD
	v_mul_u32_u24_sdwa v50, v50, s31 dst_sel:DWORD dst_unused:UNUSED_PAD src0_sel:WORD_1 src1_sel:DWORD
	v_mul_u32_u24_sdwa v79, v51, s31 dst_sel:DWORD dst_unused:UNUSED_PAD src0_sel:WORD_0 src1_sel:DWORD
	v_mul_u32_u24_sdwa v51, v51, s31 dst_sel:DWORD dst_unused:UNUSED_PAD src0_sel:WORD_1 src1_sel:DWORD
	s_waitcnt lgkmcnt(3)
	v_pk_fma_f16 v80, v54, v78, v87
	v_pk_fma_f16 v66, v54, v50, v66
	v_pk_fma_f16 v67, v54, v79, v67
	v_pk_fma_f16 v74, v54, v51, v74
	v_pk_fma_f16 v81, v55, v78, v88
	v_pk_fma_f16 v82, v55, v50, v89
	v_pk_fma_f16 v83, v55, v79, v86
	v_pk_fma_f16 v49, v55, v51, v49
	v_pk_fma_f16 v75, v56, v78, v75
	v_pk_fma_f16 v84, v56, v50, v90
	v_pk_fma_f16 v85, v56, v79, v91
	v_pk_fma_f16 v76, v56, v51, v76
	v_pk_fma_f16 v78, v57, v78, v92
	v_pk_fma_f16 v50, v57, v50, v93
	v_pk_fma_f16 v79, v57, v79, v94
	v_pk_fma_f16 v51, v57, v51, v77
	ds_read2_b64 v[54:57], v47 offset0:64 offset1:96
	v_mul_u32_u24_sdwa v77, v52, s31 dst_sel:DWORD dst_unused:UNUSED_PAD src0_sel:WORD_0 src1_sel:DWORD
	v_mul_u32_u24_sdwa v52, v52, s31 dst_sel:DWORD dst_unused:UNUSED_PAD src0_sel:WORD_1 src1_sel:DWORD
	v_mul_u32_u24_sdwa v86, v53, s31 dst_sel:DWORD dst_unused:UNUSED_PAD src0_sel:WORD_0 src1_sel:DWORD
	v_mul_u32_u24_sdwa v53, v53, s31 dst_sel:DWORD dst_unused:UNUSED_PAD src0_sel:WORD_1 src1_sel:DWORD
	s_waitcnt lgkmcnt(0)
	v_pk_fma_f16 v80, v54, v77, v80
	v_pk_fma_f16 v66, v54, v52, v66
	v_pk_fma_f16 v67, v54, v86, v67
	v_pk_fma_f16 v54, v54, v53, v74
	v_pk_fma_f16 v74, v55, v77, v81
	v_pk_fma_f16 v81, v55, v52, v82
	v_pk_fma_f16 v82, v55, v86, v83
	v_pk_fma_f16 v49, v55, v53, v49
	v_pk_fma_f16 v55, v56, v77, v75
	v_pk_fma_f16 v75, v56, v52, v84
	v_pk_fma_f16 v83, v56, v86, v85
	v_pk_fma_f16 v56, v56, v53, v76
	v_pk_fma_f16 v76, v57, v77, v78
	v_pk_fma_f16 v77, v57, v52, v50
	v_pk_fma_f16 v78, v57, v86, v79
	v_pk_fma_f16 v57, v57, v53, v51
	ds_read2_b64 v[50:53], v47 offset0:128 offset1:160
	;; [unrolled: 22-line block ×3, first 2 shown]
	v_mul_u32_u24_sdwa v47, v60, s31 dst_sel:DWORD dst_unused:UNUSED_PAD src0_sel:WORD_0 src1_sel:DWORD
	v_mul_u32_u24_sdwa v59, v60, s31 dst_sel:DWORD dst_unused:UNUSED_PAD src0_sel:WORD_1 src1_sel:DWORD
	v_mul_u32_u24_sdwa v60, v61, s31 dst_sel:DWORD dst_unused:UNUSED_PAD src0_sel:WORD_0 src1_sel:DWORD
	v_mul_u32_u24_sdwa v61, v61, s31 dst_sel:DWORD dst_unused:UNUSED_PAD src0_sel:WORD_1 src1_sel:DWORD
	s_waitcnt lgkmcnt(0)
	v_pk_fma_f16 v78, v50, v47, v80
	v_pk_fma_f16 v66, v50, v59, v66
	;; [unrolled: 1-line block ×16, first 2 shown]
	ds_read2_b64 v[50:53], v48 offset1:32
	v_mul_u32_u24_sdwa v60, v62, s31 dst_sel:DWORD dst_unused:UNUSED_PAD src0_sel:WORD_0 src1_sel:DWORD
	v_mul_u32_u24_sdwa v61, v62, s31 dst_sel:DWORD dst_unused:UNUSED_PAD src0_sel:WORD_1 src1_sel:DWORD
	v_mul_u32_u24_sdwa v62, v63, s31 dst_sel:DWORD dst_unused:UNUSED_PAD src0_sel:WORD_0 src1_sel:DWORD
	v_mul_u32_u24_sdwa v63, v63, s31 dst_sel:DWORD dst_unused:UNUSED_PAD src0_sel:WORD_1 src1_sel:DWORD
	s_waitcnt lgkmcnt(0)
	v_pk_fma_f16 v76, v50, v60, v78
	v_pk_fma_f16 v66, v50, v61, v66
	;; [unrolled: 1-line block ×16, first 2 shown]
	ds_read2_b64 v[50:53], v48 offset0:64 offset1:96
	v_mul_u32_u24_sdwa v60, v64, s31 dst_sel:DWORD dst_unused:UNUSED_PAD src0_sel:WORD_0 src1_sel:DWORD
	v_mul_u32_u24_sdwa v61, v64, s31 dst_sel:DWORD dst_unused:UNUSED_PAD src0_sel:WORD_1 src1_sel:DWORD
	v_mul_u32_u24_sdwa v62, v65, s31 dst_sel:DWORD dst_unused:UNUSED_PAD src0_sel:WORD_0 src1_sel:DWORD
	v_mul_u32_u24_sdwa v63, v65, s31 dst_sel:DWORD dst_unused:UNUSED_PAD src0_sel:WORD_1 src1_sel:DWORD
	s_waitcnt lgkmcnt(0)
	v_pk_fma_f16 v64, v50, v60, v76
	v_pk_fma_f16 v65, v50, v61, v66
	;; [unrolled: 1-line block ×16, first 2 shown]
	ds_read2_b64 v[50:53], v48 offset0:128 offset1:160
	v_mul_u32_u24_sdwa v60, v70, s31 dst_sel:DWORD dst_unused:UNUSED_PAD src0_sel:WORD_0 src1_sel:DWORD
	v_mul_u32_u24_sdwa v61, v70, s31 dst_sel:DWORD dst_unused:UNUSED_PAD src0_sel:WORD_1 src1_sel:DWORD
	v_mul_u32_u24_sdwa v62, v71, s31 dst_sel:DWORD dst_unused:UNUSED_PAD src0_sel:WORD_0 src1_sel:DWORD
	v_mul_u32_u24_sdwa v63, v71, s31 dst_sel:DWORD dst_unused:UNUSED_PAD src0_sel:WORD_1 src1_sel:DWORD
	s_waitcnt lgkmcnt(0)
	v_pk_fma_f16 v64, v50, v60, v64
	v_pk_fma_f16 v65, v50, v61, v65
	v_pk_fma_f16 v66, v50, v62, v66
	v_pk_fma_f16 v54, v50, v63, v54
	v_pk_fma_f16 v67, v51, v60, v67
	v_pk_fma_f16 v70, v51, v61, v74
	v_pk_fma_f16 v71, v51, v62, v76
	v_pk_fma_f16 v74, v51, v63, v49
	ds_read2_b64 v[48:51], v48 offset0:192 offset1:224
	v_pk_fma_f16 v55, v52, v60, v55
	v_pk_fma_f16 v75, v52, v61, v75
	;; [unrolled: 1-line block ×8, first 2 shown]
	v_mul_u32_u24_sdwa v53, v72, s31 dst_sel:DWORD dst_unused:UNUSED_PAD src0_sel:WORD_0 src1_sel:DWORD
	v_mul_u32_u24_sdwa v59, v72, s31 dst_sel:DWORD dst_unused:UNUSED_PAD src0_sel:WORD_1 src1_sel:DWORD
	v_mul_u32_u24_sdwa v60, v73, s31 dst_sel:DWORD dst_unused:UNUSED_PAD src0_sel:WORD_0 src1_sel:DWORD
	v_mul_u32_u24_sdwa v61, v73, s31 dst_sel:DWORD dst_unused:UNUSED_PAD src0_sel:WORD_1 src1_sel:DWORD
	s_waitcnt lgkmcnt(0)
	v_pk_fma_f16 v62, v48, v53, v64
	v_pk_fma_f16 v63, v48, v59, v65
	;; [unrolled: 1-line block ×9, first 2 shown]
	ds_read_b128 v[52:55], v40 offset:192
	v_pk_fma_f16 v67, v49, v59, v70
	v_pk_fma_f16 v70, v49, v60, v71
	;; [unrolled: 1-line block ×7, first 2 shown]
	ds_read2_b64 v[48:51], v45 offset1:32
	ds_read_b128 v[56:59], v40 offset:208
	s_waitcnt lgkmcnt(2)
	v_mul_u32_u24_sdwa v77, v52, s31 dst_sel:DWORD dst_unused:UNUSED_PAD src0_sel:WORD_0 src1_sel:DWORD
	v_mul_u32_u24_sdwa v52, v52, s31 dst_sel:DWORD dst_unused:UNUSED_PAD src0_sel:WORD_1 src1_sel:DWORD
	v_mul_u32_u24_sdwa v78, v53, s31 dst_sel:DWORD dst_unused:UNUSED_PAD src0_sel:WORD_0 src1_sel:DWORD
	v_mul_u32_u24_sdwa v53, v53, s31 dst_sel:DWORD dst_unused:UNUSED_PAD src0_sel:WORD_1 src1_sel:DWORD
	s_waitcnt lgkmcnt(1)
	v_pk_fma_f16 v62, v48, v77, v62
	v_pk_fma_f16 v63, v48, v52, v63
	v_pk_fma_f16 v64, v48, v78, v64
	v_pk_fma_f16 v65, v48, v53, v65
	v_pk_fma_f16 v66, v49, v77, v66
	v_pk_fma_f16 v67, v49, v52, v67
	v_pk_fma_f16 v70, v49, v78, v70
	v_pk_fma_f16 v71, v49, v53, v71
	v_pk_fma_f16 v72, v50, v77, v72
	v_pk_fma_f16 v73, v50, v52, v73
	v_pk_fma_f16 v74, v50, v78, v74
	v_pk_fma_f16 v75, v50, v53, v75
	v_pk_fma_f16 v47, v51, v77, v47
	v_pk_fma_f16 v52, v51, v52, v76
	v_pk_fma_f16 v60, v51, v78, v60
	v_pk_fma_f16 v53, v51, v53, v61
	ds_read2_b64 v[48:51], v45 offset0:64 offset1:96
	v_mul_u32_u24_sdwa v61, v54, s31 dst_sel:DWORD dst_unused:UNUSED_PAD src0_sel:WORD_0 src1_sel:DWORD
	v_mul_u32_u24_sdwa v54, v54, s31 dst_sel:DWORD dst_unused:UNUSED_PAD src0_sel:WORD_1 src1_sel:DWORD
	v_mul_u32_u24_sdwa v76, v55, s31 dst_sel:DWORD dst_unused:UNUSED_PAD src0_sel:WORD_0 src1_sel:DWORD
	v_mul_u32_u24_sdwa v55, v55, s31 dst_sel:DWORD dst_unused:UNUSED_PAD src0_sel:WORD_1 src1_sel:DWORD
	s_waitcnt lgkmcnt(0)
	v_pk_fma_f16 v62, v48, v61, v62
	v_pk_fma_f16 v63, v48, v54, v63
	v_pk_fma_f16 v64, v48, v76, v64
	v_pk_fma_f16 v65, v48, v55, v65
	v_pk_fma_f16 v66, v49, v61, v66
	v_pk_fma_f16 v67, v49, v54, v67
	v_pk_fma_f16 v70, v49, v76, v70
	v_pk_fma_f16 v71, v49, v55, v71
	v_pk_fma_f16 v72, v50, v61, v72
	v_pk_fma_f16 v73, v50, v54, v73
	v_pk_fma_f16 v74, v50, v76, v74
	v_pk_fma_f16 v75, v50, v55, v75
	v_pk_fma_f16 v47, v51, v61, v47
	v_pk_fma_f16 v52, v51, v54, v52
	v_pk_fma_f16 v54, v51, v76, v60
	v_pk_fma_f16 v53, v51, v55, v53
	ds_read2_b64 v[48:51], v45 offset0:128 offset1:160
	;; [unrolled: 22-line block ×3, first 2 shown]
	v_mul_u32_u24_sdwa v45, v58, s31 dst_sel:DWORD dst_unused:UNUSED_PAD src0_sel:WORD_0 src1_sel:DWORD
	v_mul_u32_u24_sdwa v53, v58, s31 dst_sel:DWORD dst_unused:UNUSED_PAD src0_sel:WORD_1 src1_sel:DWORD
	v_mul_u32_u24_sdwa v58, v59, s31 dst_sel:DWORD dst_unused:UNUSED_PAD src0_sel:WORD_0 src1_sel:DWORD
	v_mul_u32_u24_sdwa v59, v59, s31 dst_sel:DWORD dst_unused:UNUSED_PAD src0_sel:WORD_1 src1_sel:DWORD
	s_waitcnt lgkmcnt(0)
	v_pk_fma_f16 v60, v48, v45, v61
	v_pk_fma_f16 v61, v48, v53, v62
	;; [unrolled: 1-line block ×12, first 2 shown]
	ds_read_b128 v[52:55], v40 offset:224
	v_pk_fma_f16 v72, v50, v58, v73
	v_pk_fma_f16 v73, v50, v59, v74
	;; [unrolled: 1-line block ×4, first 2 shown]
	ds_read2_b64 v[48:51], v46 offset1:32
	ds_read_b128 v[56:59], v40 offset:240
	s_waitcnt lgkmcnt(2)
	v_mul_u32_u24_sdwa v76, v52, s31 dst_sel:DWORD dst_unused:UNUSED_PAD src0_sel:WORD_0 src1_sel:DWORD
	v_mul_u32_u24_sdwa v52, v52, s31 dst_sel:DWORD dst_unused:UNUSED_PAD src0_sel:WORD_1 src1_sel:DWORD
	v_mul_u32_u24_sdwa v77, v53, s31 dst_sel:DWORD dst_unused:UNUSED_PAD src0_sel:WORD_0 src1_sel:DWORD
	v_mul_u32_u24_sdwa v53, v53, s31 dst_sel:DWORD dst_unused:UNUSED_PAD src0_sel:WORD_1 src1_sel:DWORD
	s_waitcnt lgkmcnt(1)
	v_pk_fma_f16 v60, v48, v76, v60
	v_pk_fma_f16 v61, v48, v52, v61
	;; [unrolled: 1-line block ×16, first 2 shown]
	ds_read2_b64 v[48:51], v46 offset0:64 offset1:96
	v_mul_u32_u24_sdwa v74, v54, s31 dst_sel:DWORD dst_unused:UNUSED_PAD src0_sel:WORD_0 src1_sel:DWORD
	v_mul_u32_u24_sdwa v54, v54, s31 dst_sel:DWORD dst_unused:UNUSED_PAD src0_sel:WORD_1 src1_sel:DWORD
	v_mul_u32_u24_sdwa v75, v55, s31 dst_sel:DWORD dst_unused:UNUSED_PAD src0_sel:WORD_0 src1_sel:DWORD
	v_mul_u32_u24_sdwa v55, v55, s31 dst_sel:DWORD dst_unused:UNUSED_PAD src0_sel:WORD_1 src1_sel:DWORD
	s_waitcnt lgkmcnt(0)
	v_pk_fma_f16 v60, v48, v74, v60
	v_pk_fma_f16 v61, v48, v54, v61
	;; [unrolled: 1-line block ×16, first 2 shown]
	ds_read2_b64 v[48:51], v46 offset0:128 offset1:160
	v_mul_u32_u24_sdwa v54, v56, s31 dst_sel:DWORD dst_unused:UNUSED_PAD src0_sel:WORD_0 src1_sel:DWORD
	v_mul_u32_u24_sdwa v55, v56, s31 dst_sel:DWORD dst_unused:UNUSED_PAD src0_sel:WORD_1 src1_sel:DWORD
	v_mul_u32_u24_sdwa v56, v57, s31 dst_sel:DWORD dst_unused:UNUSED_PAD src0_sel:WORD_0 src1_sel:DWORD
	v_mul_u32_u24_sdwa v57, v57, s31 dst_sel:DWORD dst_unused:UNUSED_PAD src0_sel:WORD_1 src1_sel:DWORD
	s_waitcnt lgkmcnt(0)
	v_pk_fma_f16 v74, v48, v54, v60
	v_pk_fma_f16 v75, v48, v55, v61
	;; [unrolled: 1-line block ×4, first 2 shown]
	ds_read2_b64 v[60:63], v46 offset0:192 offset1:224
	s_waitcnt lgkmcnt(0)
	s_barrier
	s_load_dword s6, s[4:5], 0x4
	v_pk_fma_f16 v64, v49, v54, v64
	v_pk_fma_f16 v65, v49, v55, v65
	;; [unrolled: 1-line block ×4, first 2 shown]
	s_waitcnt lgkmcnt(0)
	s_lshl_b32 s6, s6, 5
	v_pk_fma_f16 v70, v50, v54, v70
	v_pk_fma_f16 v71, v50, v55, v71
	;; [unrolled: 1-line block ×8, first 2 shown]
	v_mul_u32_u24_sdwa v46, v58, s31 dst_sel:DWORD dst_unused:UNUSED_PAD src0_sel:WORD_0 src1_sel:DWORD
	v_mul_u32_u24_sdwa v51, v58, s31 dst_sel:DWORD dst_unused:UNUSED_PAD src0_sel:WORD_1 src1_sel:DWORD
	v_mul_u32_u24_sdwa v80, v59, s31 dst_sel:DWORD dst_unused:UNUSED_PAD src0_sel:WORD_0 src1_sel:DWORD
	v_mul_u32_u24_sdwa v81, v59, s31 dst_sel:DWORD dst_unused:UNUSED_PAD src0_sel:WORD_1 src1_sel:DWORD
	s_add_i32 s2, s6, s2
	v_pk_fma_f16 v56, v60, v46, v74
	v_pk_fma_f16 v53, v60, v51, v75
	;; [unrolled: 1-line block ×15, first 2 shown]
	s_cmp_ge_i32 s2, s30
	v_pk_fma_f16 v46, v63, v81, v79
	s_cbranch_scc1 .LBB65_7
; %bb.48:                               ;   in Loop: Header=BB65_31 Depth=1
	v_mov_b32_e32 v64, v0
	v_mov_b32_e32 v63, v1
	;; [unrolled: 1-line block ×4, first 2 shown]
	s_branch .LBB65_31
	.section	.rodata,"a",@progbits
	.p2align	6, 0x0
	.amdhsa_kernel _ZL15flash_attn_tileILi256ELi256ELi16ELi2ELb1EEvPKcS1_S1_S1_S1_PKiPfP15HIP_vector_typeIfLj2EEffffjfiS5_IjLj3EEiiiiiiiiiiiliiliiiiil
		.amdhsa_group_segment_fixed_size 27136
		.amdhsa_private_segment_fixed_size 0
		.amdhsa_kernarg_size 464
		.amdhsa_user_sgpr_count 2
		.amdhsa_user_sgpr_dispatch_ptr 0
		.amdhsa_user_sgpr_queue_ptr 0
		.amdhsa_user_sgpr_kernarg_segment_ptr 1
		.amdhsa_user_sgpr_dispatch_id 0
		.amdhsa_user_sgpr_kernarg_preload_length 0
		.amdhsa_user_sgpr_kernarg_preload_offset 0
		.amdhsa_user_sgpr_private_segment_size 0
		.amdhsa_uses_dynamic_stack 0
		.amdhsa_enable_private_segment 0
		.amdhsa_system_sgpr_workgroup_id_x 1
		.amdhsa_system_sgpr_workgroup_id_y 1
		.amdhsa_system_sgpr_workgroup_id_z 1
		.amdhsa_system_sgpr_workgroup_info 0
		.amdhsa_system_vgpr_workitem_id 1
		.amdhsa_next_free_vgpr 104
		.amdhsa_next_free_sgpr 91
		.amdhsa_accum_offset 104
		.amdhsa_reserve_vcc 1
		.amdhsa_float_round_mode_32 0
		.amdhsa_float_round_mode_16_64 0
		.amdhsa_float_denorm_mode_32 3
		.amdhsa_float_denorm_mode_16_64 3
		.amdhsa_dx10_clamp 1
		.amdhsa_ieee_mode 1
		.amdhsa_fp16_overflow 0
		.amdhsa_tg_split 0
		.amdhsa_exception_fp_ieee_invalid_op 0
		.amdhsa_exception_fp_denorm_src 0
		.amdhsa_exception_fp_ieee_div_zero 0
		.amdhsa_exception_fp_ieee_overflow 0
		.amdhsa_exception_fp_ieee_underflow 0
		.amdhsa_exception_fp_ieee_inexact 0
		.amdhsa_exception_int_div_zero 0
	.end_amdhsa_kernel
	.section	.text._ZL15flash_attn_tileILi256ELi256ELi16ELi2ELb1EEvPKcS1_S1_S1_S1_PKiPfP15HIP_vector_typeIfLj2EEffffjfiS5_IjLj3EEiiiiiiiiiiiliiliiiiil,"axG",@progbits,_ZL15flash_attn_tileILi256ELi256ELi16ELi2ELb1EEvPKcS1_S1_S1_S1_PKiPfP15HIP_vector_typeIfLj2EEffffjfiS5_IjLj3EEiiiiiiiiiiiliiliiiiil,comdat
.Lfunc_end65:
	.size	_ZL15flash_attn_tileILi256ELi256ELi16ELi2ELb1EEvPKcS1_S1_S1_S1_PKiPfP15HIP_vector_typeIfLj2EEffffjfiS5_IjLj3EEiiiiiiiiiiiliiliiiiil, .Lfunc_end65-_ZL15flash_attn_tileILi256ELi256ELi16ELi2ELb1EEvPKcS1_S1_S1_S1_PKiPfP15HIP_vector_typeIfLj2EEffffjfiS5_IjLj3EEiiiiiiiiiiiliiliiiiil
                                        ; -- End function
	.set _ZL15flash_attn_tileILi256ELi256ELi16ELi2ELb1EEvPKcS1_S1_S1_S1_PKiPfP15HIP_vector_typeIfLj2EEffffjfiS5_IjLj3EEiiiiiiiiiiiliiliiiiil.num_vgpr, 104
	.set _ZL15flash_attn_tileILi256ELi256ELi16ELi2ELb1EEvPKcS1_S1_S1_S1_PKiPfP15HIP_vector_typeIfLj2EEffffjfiS5_IjLj3EEiiiiiiiiiiiliiliiiiil.num_agpr, 0
	.set _ZL15flash_attn_tileILi256ELi256ELi16ELi2ELb1EEvPKcS1_S1_S1_S1_PKiPfP15HIP_vector_typeIfLj2EEffffjfiS5_IjLj3EEiiiiiiiiiiiliiliiiiil.numbered_sgpr, 44
	.set _ZL15flash_attn_tileILi256ELi256ELi16ELi2ELb1EEvPKcS1_S1_S1_S1_PKiPfP15HIP_vector_typeIfLj2EEffffjfiS5_IjLj3EEiiiiiiiiiiiliiliiiiil.num_named_barrier, 0
	.set _ZL15flash_attn_tileILi256ELi256ELi16ELi2ELb1EEvPKcS1_S1_S1_S1_PKiPfP15HIP_vector_typeIfLj2EEffffjfiS5_IjLj3EEiiiiiiiiiiiliiliiiiil.private_seg_size, 0
	.set _ZL15flash_attn_tileILi256ELi256ELi16ELi2ELb1EEvPKcS1_S1_S1_S1_PKiPfP15HIP_vector_typeIfLj2EEffffjfiS5_IjLj3EEiiiiiiiiiiiliiliiiiil.uses_vcc, 1
	.set _ZL15flash_attn_tileILi256ELi256ELi16ELi2ELb1EEvPKcS1_S1_S1_S1_PKiPfP15HIP_vector_typeIfLj2EEffffjfiS5_IjLj3EEiiiiiiiiiiiliiliiiiil.uses_flat_scratch, 0
	.set _ZL15flash_attn_tileILi256ELi256ELi16ELi2ELb1EEvPKcS1_S1_S1_S1_PKiPfP15HIP_vector_typeIfLj2EEffffjfiS5_IjLj3EEiiiiiiiiiiiliiliiiiil.has_dyn_sized_stack, 0
	.set _ZL15flash_attn_tileILi256ELi256ELi16ELi2ELb1EEvPKcS1_S1_S1_S1_PKiPfP15HIP_vector_typeIfLj2EEffffjfiS5_IjLj3EEiiiiiiiiiiiliiliiiiil.has_recursion, 0
	.set _ZL15flash_attn_tileILi256ELi256ELi16ELi2ELb1EEvPKcS1_S1_S1_S1_PKiPfP15HIP_vector_typeIfLj2EEffffjfiS5_IjLj3EEiiiiiiiiiiiliiliiiiil.has_indirect_call, 0
	.section	.AMDGPU.csdata,"",@progbits
; Kernel info:
; codeLenInByte = 24800
; TotalNumSgprs: 50
; NumVgprs: 104
; NumAgprs: 0
; TotalNumVgprs: 104
; ScratchSize: 0
; MemoryBound: 0
; FloatMode: 240
; IeeeMode: 1
; LDSByteSize: 27136 bytes/workgroup (compile time only)
; SGPRBlocks: 12
; VGPRBlocks: 12
; NumSGPRsForWavesPerEU: 97
; NumVGPRsForWavesPerEU: 104
; AccumOffset: 104
; Occupancy: 4
; WaveLimiterHint : 1
; COMPUTE_PGM_RSRC2:SCRATCH_EN: 0
; COMPUTE_PGM_RSRC2:USER_SGPR: 2
; COMPUTE_PGM_RSRC2:TRAP_HANDLER: 0
; COMPUTE_PGM_RSRC2:TGID_X_EN: 1
; COMPUTE_PGM_RSRC2:TGID_Y_EN: 1
; COMPUTE_PGM_RSRC2:TGID_Z_EN: 1
; COMPUTE_PGM_RSRC2:TIDIG_COMP_CNT: 1
; COMPUTE_PGM_RSRC3_GFX90A:ACCUM_OFFSET: 25
; COMPUTE_PGM_RSRC3_GFX90A:TG_SPLIT: 0
	.section	.text._ZL15flash_attn_tileILi256ELi256ELi8ELi2ELb1EEvPKcS1_S1_S1_S1_PKiPfP15HIP_vector_typeIfLj2EEffffjfiS5_IjLj3EEiiiiiiiiiiiliiliiiiil,"axG",@progbits,_ZL15flash_attn_tileILi256ELi256ELi8ELi2ELb1EEvPKcS1_S1_S1_S1_PKiPfP15HIP_vector_typeIfLj2EEffffjfiS5_IjLj3EEiiiiiiiiiiiliiliiiiil,comdat
	.globl	_ZL15flash_attn_tileILi256ELi256ELi8ELi2ELb1EEvPKcS1_S1_S1_S1_PKiPfP15HIP_vector_typeIfLj2EEffffjfiS5_IjLj3EEiiiiiiiiiiiliiliiiiil ; -- Begin function _ZL15flash_attn_tileILi256ELi256ELi8ELi2ELb1EEvPKcS1_S1_S1_S1_PKiPfP15HIP_vector_typeIfLj2EEffffjfiS5_IjLj3EEiiiiiiiiiiiliiliiiiil
	.p2align	8
	.type	_ZL15flash_attn_tileILi256ELi256ELi8ELi2ELb1EEvPKcS1_S1_S1_S1_PKiPfP15HIP_vector_typeIfLj2EEffffjfiS5_IjLj3EEiiiiiiiiiiiliiliiiiil,@function
_ZL15flash_attn_tileILi256ELi256ELi8ELi2ELb1EEvPKcS1_S1_S1_S1_PKiPfP15HIP_vector_typeIfLj2EEffffjfiS5_IjLj3EEiiiiiiiiiiiliiliiiiil: ; @_ZL15flash_attn_tileILi256ELi256ELi8ELi2ELb1EEvPKcS1_S1_S1_S1_PKiPfP15HIP_vector_typeIfLj2EEffffjfiS5_IjLj3EEiiiiiiiiiiiliiliiiiil
; %bb.0:
	s_load_dwordx4 s[20:23], s[0:1], 0x5c
	s_load_dwordx2 s[30:31], s[0:1], 0x80
	s_load_dwordx2 s[36:37], s[0:1], 0xb8
	s_mov_b64 s[34:35], 0
	s_waitcnt lgkmcnt(0)
	s_lshr_b32 s5, s23, 31
	s_add_i32 s5, s23, s5
	s_ashr_i32 s5, s5, 1
	v_cvt_f32_u32_e32 v1, s5
	s_sub_i32 s6, 0, s5
	v_rcp_iflag_f32_e32 v1, v1
	s_nop 0
	v_mul_f32_e32 v1, 0x4f7ffffe, v1
	v_cvt_u32_f32_e32 v1, v1
	s_nop 0
	v_readfirstlane_b32 s7, v1
	s_mul_i32 s6, s6, s7
	s_mul_hi_u32 s6, s7, s6
	s_add_i32 s7, s7, s6
	s_mul_hi_u32 s6, s4, s7
	s_mul_i32 s7, s6, s5
	s_sub_i32 s7, s4, s7
	s_add_i32 s8, s6, 1
	s_sub_i32 s9, s7, s5
	s_cmp_ge_u32 s7, s5
	s_cselect_b32 s6, s8, s6
	s_cselect_b32 s7, s9, s7
	s_add_i32 s8, s6, 1
	s_cmp_ge_u32 s7, s5
	s_cselect_b32 s33, s8, s6
	s_abs_i32 s5, s31
	v_cvt_f32_u32_e32 v1, s5
	s_lshl_b32 s4, s4, 1
	s_mul_i32 s8, s33, s23
	s_sub_i32 s9, 0, s5
	v_rcp_iflag_f32_e32 v1, v1
	s_sub_i32 s28, s4, s8
	s_abs_i32 s7, s23
	s_xor_b32 s6, s23, s31
	v_mul_f32_e32 v1, 0x4f7ffffe, v1
	v_cvt_u32_f32_e32 v1, v1
	s_ashr_i32 s6, s6, 31
	v_readfirstlane_b32 s4, v1
	s_mul_i32 s9, s9, s4
	s_mul_hi_u32 s8, s4, s9
	s_add_i32 s4, s4, s8
	s_mul_hi_u32 s4, s7, s4
	s_mul_i32 s8, s4, s5
	s_sub_i32 s7, s7, s8
	s_add_i32 s9, s4, 1
	s_sub_i32 s8, s7, s5
	s_cmp_ge_u32 s7, s5
	s_cselect_b32 s4, s9, s4
	s_cselect_b32 s7, s8, s7
	s_add_i32 s8, s4, 1
	s_cmp_ge_u32 s7, s5
	s_cselect_b32 s4, s8, s4
	s_xor_b32 s4, s4, s6
	s_sub_i32 s31, s4, s6
	s_abs_i32 s29, s31
	v_cvt_f32_u32_e32 v1, s29
	s_load_dwordx16 s[4:19], s[0:1], 0x0
	v_rcp_iflag_f32_e32 v1, v1
	s_waitcnt lgkmcnt(0)
	s_cmp_eq_u64 s[10:11], 0
	v_mul_f32_e32 v1, 0x4f7ffffe, v1
	v_cvt_u32_f32_e32 v1, v1
	s_nop 0
	v_readfirstlane_b32 s38, v1
	s_cbranch_scc1 .LBB66_2
; %bb.1:
	s_abs_i32 s26, s36
	v_cvt_f32_u32_e32 v1, s26
	s_sub_i32 s35, 0, s26
	s_abs_i32 s34, s33
	s_ashr_i32 s27, s33, 31
	v_rcp_iflag_f32_e32 v1, v1
	s_load_dwordx2 s[24:25], s[0:1], 0xc8
	v_mul_f32_e32 v1, 0x4f7ffffe, v1
	v_cvt_u32_f32_e32 v1, v1
	s_nop 0
	v_readfirstlane_b32 s36, v1
	s_mul_i32 s35, s35, s36
	s_mul_hi_u32 s35, s36, s35
	s_add_i32 s36, s36, s35
	s_mul_hi_u32 s35, s34, s36
	s_mul_i32 s35, s35, s26
	s_sub_i32 s34, s34, s35
	s_sub_i32 s35, s34, s26
	s_cmp_ge_u32 s34, s26
	s_cselect_b32 s34, s35, s34
	s_sub_i32 s35, s34, s26
	s_cmp_ge_u32 s34, s26
	s_cselect_b32 s26, s35, s34
	s_xor_b32 s26, s26, s27
	s_sub_i32 s26, s26, s27
	s_ashr_i32 s27, s26, 31
	s_waitcnt lgkmcnt(0)
	s_mul_hi_u32 s34, s24, s26
	s_mul_i32 s27, s24, s27
	s_mul_i32 s25, s25, s26
	s_add_i32 s27, s34, s27
	s_add_i32 s27, s27, s25
	s_mul_i32 s24, s24, s26
	s_add_u32 s34, s10, s24
	s_addc_u32 s35, s11, s27
.LBB66_2:
	s_load_dwordx4 s[24:27], s[0:1], 0x70
	v_bfe_u32 v1, v0, 10, 10
	v_lshl_add_u32 v9, s2, 3, v1
	v_mul_hi_u32 v2, s20, v9
	v_add_u32_e32 v2, v9, v2
	s_waitcnt lgkmcnt(0)
	s_mul_i32 s10, s33, s26
	s_ashr_i32 s26, s10, 31
	s_mul_i32 s11, s28, s25
	s_add_u32 s4, s4, s10
	s_addc_u32 s5, s5, s26
	s_ashr_i32 s10, s11, 31
	s_add_u32 s4, s4, s11
	v_lshrrev_b32_e32 v2, s21, v2
	s_addc_u32 s5, s5, s10
	v_mul_lo_u32 v2, v2, s22
	s_ashr_i32 s11, s24, 31
	s_mov_b32 s10, s24
	v_sub_u32_e32 v2, v9, v2
	s_lshr_b64 s[20:21], s[10:11], 2
	v_mad_u64_u32 v[4:5], s[20:21], s20, v2, 0
	v_mov_b32_e32 v6, v5
	s_lshr_b32 s10, s11, 2
	v_mad_u64_u32 v[6:7], s[10:11], s10, v2, v[6:7]
	v_mov_b32_e32 v5, v6
	v_and_b32_e32 v8, 0x3ff, v0
	v_mov_b32_e32 v7, 0
	v_lshl_add_u64 v[4:5], v[4:5], 2, s[4:5]
	v_lshlrev_b32_e32 v6, 4, v8
	v_lshl_add_u64 v[14:15], v[4:5], 0, v[6:7]
	s_ashr_i32 s5, s25, 31
	s_and_b32 s4, s25, -4
	global_load_dwordx4 v[4:7], v[14:15], off
	global_load_dwordx4 v[10:13], v[14:15], off offset:512
	v_lshl_add_u64 v[22:23], v[14:15], 0, s[4:5]
	global_load_dwordx4 v[14:17], v[22:23], off
	global_load_dwordx4 v[18:21], v[22:23], off offset:512
	s_load_dword s4, s[0:1], 0x40
	v_mov_b32_e32 v0, 0x2200
	v_lshl_add_u32 v29, v1, 10, v0
	v_lshlrev_b32_e32 v30, 3, v8
	v_add_u32_e32 v0, v29, v30
	s_cmp_eq_u64 s[14:15], 0
	s_waitcnt vmcnt(3) lgkmcnt(0)
	v_fma_mixlo_f16 v3, s4, v4, 0
	v_fma_mixlo_f16 v4, s4, v5, 0
	v_fma_mixlo_f16 v5, s4, v6, 0
	v_fma_mixlo_f16 v6, s4, v7, 0
	s_waitcnt vmcnt(2)
	v_fma_mixlo_f16 v7, s4, v10, 0
	v_fma_mixlo_f16 v10, s4, v11, 0
	;; [unrolled: 1-line block ×4, first 2 shown]
	v_lshlrev_b32_e32 v4, 16, v4
	v_and_b32_e32 v3, 0xffff, v3
	v_lshlrev_b32_e32 v6, 16, v6
	v_and_b32_e32 v5, 0xffff, v5
	;; [unrolled: 2-line block ×4, first 2 shown]
	s_waitcnt vmcnt(1)
	v_fma_mixlo_f16 v13, s4, v14, 0
	v_fma_mixlo_f16 v14, s4, v15, 0
	;; [unrolled: 1-line block ×4, first 2 shown]
	s_waitcnt vmcnt(0)
	v_fma_mixlo_f16 v17, s4, v18, 0
	v_fma_mixlo_f16 v18, s4, v19, 0
	;; [unrolled: 1-line block ×4, first 2 shown]
	v_or_b32_e32 v3, v4, v3
	v_or3_b32 v5, v6, v5, 0
	v_or_b32_e32 v6, v10, v7
	v_or3_b32 v7, v12, v11, 0
	v_lshlrev_b32_e32 v10, 16, v14
	v_and_b32_e32 v11, 0xffff, v13
	v_lshlrev_b32_e32 v12, 16, v16
	v_and_b32_e32 v13, 0xffff, v15
	v_lshlrev_b32_e32 v14, 16, v18
	v_and_b32_e32 v15, 0xffff, v17
	v_lshlrev_b32_e32 v16, 16, v20
	v_and_b32_e32 v17, 0xffff, v19
	v_or3_b32 v4, 0, 0, v3
	v_or_b32_e32 v3, v10, v11
	v_or3_b32 v11, v12, v13, 0
	v_or_b32_e32 v12, v14, v15
	v_or3_b32 v6, 0, 0, v6
	v_or3_b32 v13, v16, v17, 0
	;; [unrolled: 1-line block ×4, first 2 shown]
	ds_write2_b64 v0, v[4:5], v[6:7] offset1:32
	ds_write2_b64 v0, v[10:11], v[12:13] offset0:64 offset1:96
	s_waitcnt lgkmcnt(0)
	s_barrier
	s_cbranch_scc1 .LBB66_4
; %bb.3:
	s_load_dword s4, s[0:1], 0xd0
	s_mov_b32 s5, 0
	s_waitcnt lgkmcnt(0)
	s_mul_i32 s4, s4, s33
	s_add_i32 s4, s4, s2
	s_lshl_b64 s[4:5], s[4:5], 2
	s_add_u32 s4, s14, s4
	s_addc_u32 s5, s15, s5
	s_load_dword s30, s[4:5], 0x0
.LBB66_4:
	s_lshl_b32 s2, s3, 5
	v_lshlrev_b32_e32 v28, 2, v8
	s_waitcnt lgkmcnt(0)
	s_cmp_lt_i32 s2, s30
	v_mbcnt_lo_u32_b32 v0, -1, 0
	s_cbranch_scc1 .LBB66_19
; %bb.5:
	v_mbcnt_hi_u32_b32 v19, -1, v0
	v_and_b32_e32 v3, 0x60, v19
	v_add_u32_e32 v45, 32, v3
	v_xor_b32_e32 v46, 16, v19
	v_xor_b32_e32 v47, 8, v19
	;; [unrolled: 1-line block ×5, first 2 shown]
	s_cbranch_execz .LBB66_20
; %bb.6:
	v_mov_b32_e32 v11, 0
	v_mov_b32_e32 v27, 0xfeffffff
	;; [unrolled: 1-line block ×12, first 2 shown]
.LBB66_7:
	v_cmp_lt_i32_e32 vcc, v46, v45
	s_cmp_lg_u64 s[12:13], 0
	s_cselect_b64 s[4:5], -1, 0
	v_cndmask_b32_e32 v0, v19, v46, vcc
	v_lshlrev_b32_e32 v1, 2, v0
	ds_bpermute_b32 v0, v1, v10
	ds_bpermute_b32 v1, v1, v11
	v_cmp_lt_i32_e32 vcc, v47, v45
	s_cmp_eq_u32 s3, 0
	s_cselect_b64 s[6:7], -1, 0
	v_cndmask_b32_e32 v2, v19, v47, vcc
	v_lshlrev_b32_e32 v3, 2, v2
	s_waitcnt lgkmcnt(0)
	v_pk_add_f32 v[0:1], v[10:11], v[0:1]
	ds_bpermute_b32 v2, v3, v0
	ds_bpermute_b32 v3, v3, v1
	v_cmp_lt_i32_e32 vcc, v48, v45
	s_and_b64 s[4:5], s[6:7], s[4:5]
	s_waitcnt lgkmcnt(0)
	v_pk_add_f32 v[0:1], v[0:1], v[2:3]
	v_cndmask_b32_e32 v4, v19, v48, vcc
	v_lshlrev_b32_e32 v4, 2, v4
	ds_bpermute_b32 v2, v4, v0
	ds_bpermute_b32 v3, v4, v1
	v_cmp_lt_i32_e32 vcc, v49, v45
	s_waitcnt lgkmcnt(0)
	v_pk_add_f32 v[0:1], v[0:1], v[2:3]
	v_cndmask_b32_e32 v4, v19, v49, vcc
	v_lshlrev_b32_e32 v4, 2, v4
	ds_bpermute_b32 v2, v4, v0
	ds_bpermute_b32 v3, v4, v1
	v_cmp_lt_i32_e32 vcc, v50, v45
	s_waitcnt lgkmcnt(0)
	v_pk_add_f32 v[0:1], v[0:1], v[2:3]
	v_cndmask_b32_e32 v4, v19, v50, vcc
	v_lshlrev_b32_e32 v4, 2, v4
	ds_bpermute_b32 v2, v4, v0
	ds_bpermute_b32 v3, v4, v1
	s_and_b64 vcc, exec, s[4:5]
	s_waitcnt lgkmcnt(0)
	v_pk_add_f32 v[0:1], v[0:1], v[2:3]
	s_cbranch_vccz .LBB66_9
; %bb.8:
	s_ashr_i32 s29, s28, 31
	s_lshl_b64 s[4:5], s[28:29], 2
	s_add_u32 s4, s12, s4
	s_addc_u32 s5, s13, s5
	v_mov_b32_e32 v2, 0
	global_load_dwordx2 v[2:3], v2, s[4:5]
	v_max_f32_e32 v4, v26, v26
	v_max_f32_e32 v11, v27, v27
	s_mov_b32 s2, 0x3fb8aa3b
	s_mov_b32 s4, 0xc2ce8ed0
	s_mov_b32 s5, 0x42b17218
	v_mov_b32_e32 v13, 0x7f800000
	s_waitcnt vmcnt(0)
	v_max_f32_e32 v10, v2, v2
	v_max_f32_e32 v10, v4, v10
	;; [unrolled: 1-line block ×3, first 2 shown]
	v_sub_f32_e32 v4, v26, v10
	v_max_f32_e32 v11, v11, v12
	v_sub_f32_e32 v12, v2, v10
	v_mul_f32_e32 v2, 0x3fb8aa3b, v4
	v_sub_f32_e32 v14, v27, v11
	v_sub_f32_e32 v15, v3, v11
	v_mul_f32_e32 v3, 0x3fb8aa3b, v12
	v_fma_f32 v18, v4, s2, -v2
	v_rndne_f32_e32 v19, v2
	v_mul_f32_e32 v16, 0x3fb8aa3b, v14
	v_fma_f32 v20, v12, s2, -v3
	v_rndne_f32_e32 v21, v3
	v_fmac_f32_e32 v18, 0x32a5705f, v4
	v_sub_f32_e32 v2, v2, v19
	v_mul_f32_e32 v17, 0x3fb8aa3b, v15
	v_fma_f32 v22, v14, s2, -v16
	v_rndne_f32_e32 v23, v16
	v_fmac_f32_e32 v20, 0x32a5705f, v12
	v_sub_f32_e32 v3, v3, v21
	v_add_f32_e32 v2, v2, v18
	v_fma_f32 v24, v15, s2, -v17
	v_rndne_f32_e32 v25, v17
	v_cvt_i32_f32_e32 v19, v19
	v_fmac_f32_e32 v22, 0x32a5705f, v14
	v_sub_f32_e32 v16, v16, v23
	v_add_f32_e32 v3, v3, v20
	v_exp_f32_e32 v2, v2
	v_cvt_i32_f32_e32 v21, v21
	v_fmac_f32_e32 v24, 0x32a5705f, v15
	v_sub_f32_e32 v17, v17, v25
	v_add_f32_e32 v16, v16, v22
	v_exp_f32_e32 v3, v3
	v_cvt_i32_f32_e32 v23, v23
	v_add_f32_e32 v17, v17, v24
	v_exp_f32_e32 v16, v16
	v_cvt_i32_f32_e32 v25, v25
	v_exp_f32_e32 v17, v17
	v_ldexp_f32 v2, v2, v19
	v_cmp_ngt_f32_e32 vcc, s4, v4
	v_ldexp_f32 v3, v3, v21
	v_ldexp_f32 v16, v16, v23
	v_cndmask_b32_e32 v2, 0, v2, vcc
	v_cmp_ngt_f32_e32 vcc, s4, v12
	v_ldexp_f32 v17, v17, v25
	v_mov_b64_e32 v[26:27], v[10:11]
	v_cndmask_b32_e32 v3, 0, v3, vcc
	v_cmp_ngt_f32_e32 vcc, s4, v14
	s_nop 1
	v_cndmask_b32_e32 v16, 0, v16, vcc
	v_cmp_ngt_f32_e32 vcc, s4, v15
	s_nop 1
	v_cndmask_b32_e32 v17, 0, v17, vcc
	v_cmp_nlt_f32_e32 vcc, s5, v4
	s_nop 1
	v_cndmask_b32_e32 v2, v13, v2, vcc
	v_cmp_nlt_f32_e32 vcc, s5, v12
	v_cvt_f16_f32_e32 v4, v2
	s_nop 0
	v_cndmask_b32_e32 v12, v13, v3, vcc
	v_cmp_nlt_f32_e32 vcc, s5, v14
	s_nop 1
	v_cndmask_b32_e32 v3, v13, v16, vcc
	v_cvt_f16_f32_e32 v14, v3
	v_cmp_nlt_f32_e32 vcc, s5, v15
	s_nop 1
	v_cndmask_b32_e32 v13, v13, v17, vcc
	v_pk_fma_f32 v[0:1], v[0:1], v[2:3], v[12:13]
	v_mul_u32_u24_e32 v2, 0x10001, v4
	v_mul_u32_u24_e32 v3, 0x10001, v14
	v_pk_mul_f16 v40, v40, v2
	v_pk_mul_f16 v43, v43, v2
	;; [unrolled: 1-line block ×8, first 2 shown]
.LBB66_9:
	v_cmp_gt_i32_e32 vcc, s22, v9
	s_and_saveexec_b64 s[4:5], vcc
	s_cbranch_execz .LBB66_18
; %bb.10:
	s_load_dword s6, s[0:1], 0xd4
	v_mov_b32_e32 v4, 1.0
	s_waitcnt lgkmcnt(0)
	s_cmp_lg_u32 s6, 1
	s_cselect_b64 s[0:1], -1, 0
	s_cmp_eq_u32 s6, 1
	s_cselect_b64 s[4:5], -1, 0
	s_and_b64 vcc, exec, s[0:1]
	s_cbranch_vccnz .LBB66_12
; %bb.11:
	v_div_scale_f32 v2, s[8:9], v0, v0, 1.0
	v_rcp_f32_e32 v3, v2
	v_div_scale_f32 v4, vcc, 1.0, v0, 1.0
	v_fma_f32 v10, -v2, v3, 1.0
	v_fmac_f32_e32 v3, v10, v3
	v_mul_f32_e32 v10, v4, v3
	v_fma_f32 v11, -v2, v10, v4
	v_fmac_f32_e32 v10, v11, v3
	v_fma_f32 v2, -v2, v10, v4
	v_div_fmas_f32 v2, v2, v3, v10
	v_div_fixup_f32 v4, v2, v0, 1.0
.LBB66_12:
	s_mul_i32 s33, s33, s22
	v_add_u32_e32 v2, s33, v9
	v_mul_lo_u32 v2, v2, s23
	v_add_u32_e32 v2, s28, v2
	v_cmp_eq_u32_e32 vcc, 0, v8
	v_cvt_f32_f16_sdwa v9, v40 dst_sel:DWORD dst_unused:UNUSED_PAD src0_sel:WORD_1
	v_cvt_f32_f16_e32 v8, v40
	v_cvt_f32_f16_sdwa v11, v43 dst_sel:DWORD dst_unused:UNUSED_PAD src0_sel:WORD_1
	v_cvt_f32_f16_e32 v10, v43
	v_mul_lo_u32 v2, s6, v2
	v_add_u32_e32 v2, s3, v2
	v_lshl_add_u32 v12, v2, 8, v28
	v_mov_b32_e32 v13, 0
	v_lshl_add_u64 v[14:15], v[12:13], 2, s[16:17]
	v_pk_mul_f32 v[8:9], v[4:5], v[8:9] op_sel_hi:[0,1]
	v_pk_mul_f32 v[10:11], v[4:5], v[10:11] op_sel_hi:[0,1]
	global_store_dwordx4 v[14:15], v[8:11], off
	v_add_u32_e32 v12, 0x80, v12
	s_and_b64 s[0:1], vcc, s[0:1]
	v_cvt_f32_f16_sdwa v9, v42 dst_sel:DWORD dst_unused:UNUSED_PAD src0_sel:WORD_1
	v_cvt_f32_f16_e32 v8, v42
	v_cvt_f32_f16_sdwa v11, v41 dst_sel:DWORD dst_unused:UNUSED_PAD src0_sel:WORD_1
	v_cvt_f32_f16_e32 v10, v41
	v_lshl_add_u64 v[12:13], v[12:13], 2, s[16:17]
	v_pk_mul_f32 v[8:9], v[4:5], v[8:9] op_sel_hi:[0,1]
	v_pk_mul_f32 v[10:11], v[4:5], v[10:11] op_sel_hi:[0,1]
	global_store_dwordx4 v[12:13], v[8:11], off
	s_and_saveexec_b64 s[2:3], s[0:1]
	s_cbranch_execz .LBB66_14
; %bb.13:
	v_ashrrev_i32_e32 v3, 31, v2
	v_lshl_add_u64 v[8:9], v[2:3], 3, s[18:19]
	v_mov_b32_e32 v10, v26
	v_mov_b32_e32 v11, v0
	global_store_dwordx2 v[8:9], v[10:11], off
.LBB66_14:
	s_or_b64 exec, exec, s[2:3]
	s_andn2_b64 vcc, exec, s[4:5]
	v_mov_b32_e32 v0, 1.0
	s_cbranch_vccnz .LBB66_16
; %bb.15:
	v_div_scale_f32 v0, s[2:3], v1, v1, 1.0
	v_rcp_f32_e32 v3, v0
	v_div_scale_f32 v4, vcc, 1.0, v1, 1.0
	v_fma_f32 v8, -v0, v3, 1.0
	v_fmac_f32_e32 v3, v8, v3
	v_mul_f32_e32 v8, v4, v3
	v_fma_f32 v9, -v0, v8, v4
	v_fmac_f32_e32 v8, v9, v3
	v_fma_f32 v0, -v0, v8, v4
	v_div_fmas_f32 v0, v0, v3, v8
	v_div_fixup_f32 v0, v0, v1, 1.0
.LBB66_16:
	v_cvt_f32_f16_sdwa v9, v39 dst_sel:DWORD dst_unused:UNUSED_PAD src0_sel:WORD_1
	v_cvt_f32_f16_e32 v8, v39
	v_cvt_f32_f16_sdwa v11, v7 dst_sel:DWORD dst_unused:UNUSED_PAD src0_sel:WORD_1
	v_cvt_f32_f16_e32 v10, v7
	v_add_u32_e32 v2, s6, v2
	v_lshl_add_u32 v12, v2, 8, v28
	v_mov_b32_e32 v13, 0
	v_lshl_add_u64 v[14:15], v[12:13], 2, s[16:17]
	v_pk_mul_f32 v[8:9], v[0:1], v[8:9] op_sel_hi:[0,1]
	v_pk_mul_f32 v[10:11], v[0:1], v[10:11] op_sel_hi:[0,1]
	global_store_dwordx4 v[14:15], v[8:11], off
	v_cvt_f32_f16_sdwa v7, v6 dst_sel:DWORD dst_unused:UNUSED_PAD src0_sel:WORD_1
	v_cvt_f32_f16_e32 v6, v6
	v_cvt_f32_f16_sdwa v9, v5 dst_sel:DWORD dst_unused:UNUSED_PAD src0_sel:WORD_1
	v_cvt_f32_f16_e32 v8, v5
	v_add_u32_e32 v12, 0x80, v12
	v_lshl_add_u64 v[10:11], v[12:13], 2, s[16:17]
	v_pk_mul_f32 v[4:5], v[0:1], v[6:7] op_sel_hi:[0,1]
	v_pk_mul_f32 v[6:7], v[0:1], v[8:9] op_sel_hi:[0,1]
	global_store_dwordx4 v[10:11], v[4:7], off
	s_and_b64 exec, exec, s[0:1]
	s_cbranch_execz .LBB66_18
; %bb.17:
	v_ashrrev_i32_e32 v3, 31, v2
	v_lshl_add_u64 v[2:3], v[2:3], 3, s[18:19]
	v_mov_b32_e32 v0, v27
	global_store_dwordx2 v[2:3], v[0:1], off
.LBB66_18:
	s_endpgm
.LBB66_19:
                                        ; implicit-def: $vgpr19
                                        ; implicit-def: $vgpr45
                                        ; implicit-def: $vgpr46
                                        ; implicit-def: $vgpr47
                                        ; implicit-def: $vgpr48
                                        ; implicit-def: $vgpr49
                                        ; implicit-def: $vgpr50
.LBB66_20:
	s_sub_i32 s4, 0, s29
	s_mul_i32 s4, s4, s38
	s_mul_hi_u32 s4, s38, s4
	s_add_i32 s38, s38, s4
	s_load_dwordx4 s[24:27], s[0:1], 0x98
	s_load_dword s10, s[0:1], 0x54
	s_load_dwordx2 s[4:5], s[0:1], 0x8c
	s_abs_i32 s15, s28
	s_mul_hi_u32 s20, s15, s38
	s_waitcnt lgkmcnt(0)
	s_ashr_i32 s11, s26, 2
	s_ashr_i32 s26, s37, 1
	;; [unrolled: 1-line block ×4, first 2 shown]
	s_mul_hi_u32 s36, s24, s33
	s_mul_i32 s37, s24, s4
	s_add_i32 s36, s36, s37
	s_mul_i32 s25, s25, s33
	s_ashr_i32 s21, s28, 31
	s_ashr_i32 s31, s31, 31
	s_add_i32 s36, s36, s25
	s_mul_i32 s24, s24, s33
	s_add_u32 s6, s6, s24
	s_mul_i32 s24, s20, s29
	s_addc_u32 s7, s7, s36
	s_sub_i32 s15, s15, s24
	s_xor_b32 s21, s21, s31
	s_add_i32 s24, s20, 1
	s_sub_i32 s25, s15, s29
	s_cmp_ge_u32 s15, s29
	s_cselect_b32 s20, s24, s20
	s_cselect_b32 s15, s25, s15
	s_add_i32 s24, s20, 1
	s_cmp_ge_u32 s15, s29
	s_load_dwordx2 s[38:39], s[0:1], 0xa8
	s_cselect_b32 s15, s24, s20
	s_xor_b32 s15, s15, s21
	s_sub_i32 s21, s15, s21
	s_mul_i32 s5, s21, s5
	s_ashr_i32 s20, s5, 31
	s_add_u32 s15, s6, s5
	s_waitcnt lgkmcnt(0)
	s_mul_hi_u32 s5, s38, s33
	s_mul_i32 s4, s38, s4
	s_addc_u32 s20, s7, s20
	s_add_i32 s4, s5, s4
	s_mul_i32 s5, s39, s33
	s_add_i32 s4, s4, s5
	s_mul_i32 s5, s38, s33
	s_add_u32 s5, s8, s5
	s_mul_i32 s21, s21, s27
	s_addc_u32 s4, s9, s4
	s_ashr_i32 s6, s21, 31
	s_add_u32 s8, s5, s21
	v_lshrrev_b32_e32 v3, 4, v8
	v_and_b32_e32 v4, 60, v28
	s_addc_u32 s9, s4, s6
	v_lshl_add_u32 v3, v1, 1, v3
	v_lshlrev_b32_e32 v5, 2, v4
	s_movk_i32 s4, 0x110
	v_mad_u32_u24 v31, v3, s4, v5
	v_mad_u64_u32 v[18:19], s[4:5], v2, s26, v[8:9]
	v_mov_b32_e32 v2, 0x4200
	v_lshl_add_u32 v34, v1, 7, v2
	v_mul_lo_u32 v2, s11, v1
	v_mul_lo_u32 v14, s14, v3
	v_lshlrev_b32_e32 v12, 2, v28
	v_lshl_add_u32 v6, s11, 3, v2
	v_mov_b32_e32 v13, 0
	v_lshl_add_u32 v16, s14, 4, v14
	v_lshl_add_u32 v35, v1, 9, v12
	v_ashrrev_i32_e32 v3, 31, v2
	v_ashrrev_i32_e32 v7, 31, v6
	s_add_u32 s4, s0, 0xd0
	v_ashrrev_i32_e32 v15, 31, v14
	v_add_u32_e32 v32, 0x1100, v31
	v_ashrrev_i32_e32 v17, 31, v16
	v_mul_u32_u24_e32 v33, 0x110, v8
	v_add_u32_e32 v36, 0x1000, v35
	s_addc_u32 s5, s1, 0
	v_mov_b32_e32 v44, 0xfeffffff
	v_lshlrev_b32_e32 v20, 2, v4
	v_mov_b32_e32 v21, v13
	s_mov_b32 s21, 0x3f200000
	s_mov_b32 s24, 0x3fb8aa3b
	;; [unrolled: 1-line block ×4, first 2 shown]
	v_mov_b32_e32 v37, 0x3ca908c9
	s_brev_b32 s27, -2
	s_mov_b32 s29, 0x10001
	v_lshlrev_b64 v[22:23], 2, v[2:3]
	v_lshlrev_b64 v[24:25], 2, v[6:7]
	v_mov_b32_e32 v38, 0x7f800000
	v_mbcnt_hi_u32_b32 v19, -1, v0
	v_mov_b32_e32 v5, v13
	v_mov_b32_e32 v6, v13
	;; [unrolled: 1-line block ×11, first 2 shown]
                                        ; implicit-def: $vgpr1
                                        ; implicit-def: $vgpr1
	;; [unrolled: 1-line block ×3, first 2 shown]
.LBB66_21:                              ; =>This Inner Loop Header: Depth=1
	s_mul_hi_i32 s7, s2, s14
	s_mul_i32 s6, s2, s14
	s_lshl_b64 s[6:7], s[6:7], 2
	s_add_u32 s6, s15, s6
	s_addc_u32 s7, s20, s7
	v_lshl_add_u64 v[0:1], v[14:15], 2, s[6:7]
	v_lshl_add_u64 v[0:1], v[0:1], 0, v[20:21]
	;; [unrolled: 1-line block ×4, first 2 shown]
	global_load_dwordx4 v[46:49], v[0:1], off
	global_load_dwordx4 v[50:53], v[2:3], off
	v_mov_b32_e32 v27, 0
	v_mov_b32_e32 v26, 0
	s_waitcnt vmcnt(1)
	ds_write_b128 v31, v[46:49]
	s_waitcnt vmcnt(0)
	ds_write_b128 v32, v[50:53]
	s_waitcnt lgkmcnt(0)
	s_barrier
	ds_read_b128 v[46:49], v33
	ds_read_b128 v[50:53], v29
	ds_read_b128 v[54:57], v29 offset:512
	s_waitcnt lgkmcnt(1)
	;;#ASMSTART
	v_dot2_f32_f16 v27, v46, v50, v27
	;;#ASMEND
	s_nop 0
	;;#ASMSTART
	v_dot2_f32_f16 v27, v47, v51, v27
	;;#ASMEND
	s_nop 0
	;;#ASMSTART
	v_dot2_f32_f16 v27, v48, v52, v27
	;;#ASMEND
	s_nop 0
	;;#ASMSTART
	v_dot2_f32_f16 v27, v49, v53, v27
	;;#ASMEND
	s_waitcnt lgkmcnt(0)
	;;#ASMSTART
	v_dot2_f32_f16 v26, v46, v54, v26
	;;#ASMEND
	s_nop 0
	;;#ASMSTART
	v_dot2_f32_f16 v26, v47, v55, v26
	;;#ASMEND
	s_nop 0
	;;#ASMSTART
	v_dot2_f32_f16 v26, v48, v56, v26
	;;#ASMEND
	s_nop 0
	;;#ASMSTART
	v_dot2_f32_f16 v26, v49, v57, v26
	;;#ASMEND
	ds_read_b128 v[46:49], v33 offset:16
	ds_read_b128 v[50:53], v29 offset:16
	ds_read_b128 v[54:57], v29 offset:528
	s_waitcnt lgkmcnt(1)
	;;#ASMSTART
	v_dot2_f32_f16 v27, v46, v50, v27
	;;#ASMEND
	s_nop 0
	;;#ASMSTART
	v_dot2_f32_f16 v27, v47, v51, v27
	;;#ASMEND
	s_nop 0
	;;#ASMSTART
	v_dot2_f32_f16 v27, v48, v52, v27
	;;#ASMEND
	s_nop 0
	;;#ASMSTART
	v_dot2_f32_f16 v27, v49, v53, v27
	;;#ASMEND
	s_waitcnt lgkmcnt(0)
	;;#ASMSTART
	v_dot2_f32_f16 v26, v46, v54, v26
	;;#ASMEND
	s_nop 0
	;;#ASMSTART
	v_dot2_f32_f16 v26, v47, v55, v26
	;;#ASMEND
	s_nop 0
	;;#ASMSTART
	v_dot2_f32_f16 v26, v48, v56, v26
	;;#ASMEND
	s_nop 0
	;;#ASMSTART
	v_dot2_f32_f16 v26, v49, v57, v26
	;;#ASMEND
	ds_read_b128 v[46:49], v33 offset:32
	ds_read_b128 v[50:53], v29 offset:32
	;; [unrolled: 35-line block ×15, first 2 shown]
	ds_read_b128 v[54:57], v29 offset:752
	s_waitcnt lgkmcnt(1)
	;;#ASMSTART
	v_dot2_f32_f16 v27, v46, v50, v27
	;;#ASMEND
	s_nop 0
	;;#ASMSTART
	v_dot2_f32_f16 v27, v47, v51, v27
	;;#ASMEND
	s_nop 0
	;; [unrolled: 4-line block ×3, first 2 shown]
	;;#ASMSTART
	v_dot2_f32_f16 v27, v49, v53, v27
	;;#ASMEND
	s_waitcnt lgkmcnt(0)
	;;#ASMSTART
	v_dot2_f32_f16 v26, v46, v54, v26
	;;#ASMEND
	s_nop 0
	;;#ASMSTART
	v_dot2_f32_f16 v26, v47, v55, v26
	;;#ASMEND
	s_nop 0
	;; [unrolled: 4-line block ×3, first 2 shown]
	;;#ASMSTART
	v_dot2_f32_f16 v26, v49, v57, v26
	;;#ASMEND
	s_barrier
	global_load_dwordx4 v[46:49], v[0:1], off offset:256
	global_load_dwordx4 v[50:53], v[2:3], off offset:256
	s_waitcnt vmcnt(1)
	ds_write_b128 v31, v[46:49]
	s_waitcnt vmcnt(0)
	ds_write_b128 v32, v[50:53]
	s_waitcnt lgkmcnt(0)
	s_barrier
	ds_read_b128 v[0:3], v33
	ds_read_b128 v[46:49], v29 offset:256
	ds_read_b128 v[50:53], v29 offset:768
	s_waitcnt lgkmcnt(1)
	;;#ASMSTART
	v_dot2_f32_f16 v27, v0, v46, v27
	;;#ASMEND
	s_nop 0
	;;#ASMSTART
	v_dot2_f32_f16 v27, v1, v47, v27
	;;#ASMEND
	s_nop 0
	;;#ASMSTART
	v_dot2_f32_f16 v27, v2, v48, v27
	;;#ASMEND
	s_nop 0
	;;#ASMSTART
	v_dot2_f32_f16 v27, v3, v49, v27
	;;#ASMEND
	s_waitcnt lgkmcnt(0)
	;;#ASMSTART
	v_dot2_f32_f16 v26, v0, v50, v26
	;;#ASMEND
	s_nop 0
	;;#ASMSTART
	v_dot2_f32_f16 v26, v1, v51, v26
	;;#ASMEND
	s_nop 0
	;;#ASMSTART
	v_dot2_f32_f16 v26, v2, v52, v26
	;;#ASMEND
	s_nop 0
	;;#ASMSTART
	v_dot2_f32_f16 v26, v3, v53, v26
	;;#ASMEND
	ds_read_b128 v[0:3], v33 offset:16
	ds_read_b128 v[46:49], v29 offset:272
	ds_read_b128 v[50:53], v29 offset:784
	s_waitcnt lgkmcnt(1)
	;;#ASMSTART
	v_dot2_f32_f16 v27, v0, v46, v27
	;;#ASMEND
	s_nop 0
	;;#ASMSTART
	v_dot2_f32_f16 v27, v1, v47, v27
	;;#ASMEND
	s_nop 0
	;;#ASMSTART
	v_dot2_f32_f16 v27, v2, v48, v27
	;;#ASMEND
	s_nop 0
	;;#ASMSTART
	v_dot2_f32_f16 v27, v3, v49, v27
	;;#ASMEND
	s_waitcnt lgkmcnt(0)
	;;#ASMSTART
	v_dot2_f32_f16 v26, v0, v50, v26
	;;#ASMEND
	s_nop 0
	;;#ASMSTART
	v_dot2_f32_f16 v26, v1, v51, v26
	;;#ASMEND
	s_nop 0
	;;#ASMSTART
	v_dot2_f32_f16 v26, v2, v52, v26
	;;#ASMEND
	s_nop 0
	;;#ASMSTART
	v_dot2_f32_f16 v26, v3, v53, v26
	;;#ASMEND
	ds_read_b128 v[0:3], v33 offset:32
	;; [unrolled: 35-line block ×14, first 2 shown]
	ds_read_b128 v[46:49], v29 offset:480
	ds_read_b128 v[50:53], v29 offset:992
	s_waitcnt lgkmcnt(1)
	;;#ASMSTART
	v_dot2_f32_f16 v27, v0, v46, v27
	;;#ASMEND
	s_nop 0
	;;#ASMSTART
	v_dot2_f32_f16 v27, v1, v47, v27
	;;#ASMEND
	s_nop 0
	;; [unrolled: 4-line block ×3, first 2 shown]
	;;#ASMSTART
	v_dot2_f32_f16 v27, v3, v49, v27
	;;#ASMEND
	s_waitcnt lgkmcnt(0)
	;;#ASMSTART
	v_dot2_f32_f16 v26, v0, v50, v26
	;;#ASMEND
	v_add_u32_e32 v50, s2, v18
	;;#ASMSTART
	v_dot2_f32_f16 v26, v1, v51, v26
	;;#ASMEND
	v_ashrrev_i32_e32 v51, 31, v50
	;;#ASMSTART
	v_dot2_f32_f16 v26, v2, v52, v26
	;;#ASMEND
	v_lshl_add_u64 v[54:55], v[50:51], 1, s[34:35]
	;;#ASMSTART
	v_dot2_f32_f16 v26, v3, v53, v26
	;;#ASMEND
	ds_read_b128 v[0:3], v33 offset:240
	ds_read_b128 v[46:49], v29 offset:496
	;; [unrolled: 1-line block ×3, first 2 shown]
	s_waitcnt lgkmcnt(1)
	;;#ASMSTART
	v_dot2_f32_f16 v27, v0, v46, v27
	;;#ASMEND
	s_nop 0
	;;#ASMSTART
	v_dot2_f32_f16 v27, v1, v47, v27
	;;#ASMEND
	s_nop 0
	;; [unrolled: 4-line block ×3, first 2 shown]
	;;#ASMSTART
	v_dot2_f32_f16 v27, v3, v49, v27
	;;#ASMEND
	s_waitcnt lgkmcnt(0)
	;;#ASMSTART
	v_dot2_f32_f16 v26, v0, v50, v26
	;;#ASMEND
                                        ; implicit-def: $vgpr0
	s_nop 0
	;;#ASMSTART
	v_dot2_f32_f16 v26, v1, v51, v26
	;;#ASMEND
	v_cmp_nlt_f32_e64 s[6:7], |v27|, s21
	;;#ASMSTART
	v_dot2_f32_f16 v26, v2, v52, v26
	;;#ASMEND
	s_nop 0
	;;#ASMSTART
	v_dot2_f32_f16 v26, v3, v53, v26
	;;#ASMEND
	global_load_ushort v52, v[54:55], off
	s_and_saveexec_b64 s[36:37], s[6:7]
	s_xor_b64 s[6:7], exec, s[36:37]
	s_cbranch_execz .LBB66_23
; %bb.22:                               ;   in Loop: Header=BB66_21 Depth=1
	v_add_f32_e64 v0, |v27|, |v27|
	v_mul_f32_e32 v1, 0x3fb8aa3b, v0
	v_rndne_f32_e32 v2, v1
	v_sub_f32_e32 v3, v1, v2
	v_fma_f32 v1, v0, s24, -v1
	v_fmac_f32_e32 v1, 0x32a5705f, v0
	v_add_f32_e32 v1, v3, v1
	v_cvt_i32_f32_e32 v2, v2
	v_exp_f32_e32 v1, v1
	v_cmp_ngt_f32_e32 vcc, s25, v0
	v_ldexp_f32 v1, v1, v2
	s_nop 0
	v_cndmask_b32_e32 v1, 0, v1, vcc
	v_cmp_nlt_f32_e32 vcc, s26, v0
	s_nop 1
	v_cndmask_b32_e32 v0, v38, v1, vcc
	v_add_f32_e32 v0, 1.0, v0
	v_rcp_f32_e32 v0, v0
	s_nop 0
	v_fma_f32 v0, v0, -2.0, 1.0
.LBB66_23:                              ;   in Loop: Header=BB66_21 Depth=1
	s_andn2_saveexec_b64 s[6:7], s[6:7]
; %bb.24:                               ;   in Loop: Header=BB66_21 Depth=1
	v_mul_f32_e32 v0, v27, v27
	v_fmamk_f32 v1, v0, 0xbbbac73d, v37
	v_fmaak_f32 v1, v0, v1, 0xbd5c1c4e
	v_fmaak_f32 v1, v0, v1, 0x3e088382
	;; [unrolled: 1-line block ×3, first 2 shown]
	v_mul_f32_e64 v1, |v27|, v1
	v_fma_f32 v0, v0, v1, |v27|
; %bb.25:                               ;   in Loop: Header=BB66_21 Depth=1
	s_or_b64 exec, exec, s[6:7]
	v_and_b32_e32 v1, 0x60, v19
	v_add_u32_e32 v45, 32, v1
	v_xor_b32_e32 v46, 16, v19
	v_cmp_lt_i32_e32 vcc, v46, v45
	v_bfi_b32 v0, s27, v0, v27
	s_waitcnt vmcnt(0)
	v_fma_mix_f32 v0, s10, v0, v52 op_sel_hi:[0,0,1]
	v_cndmask_b32_e32 v1, v19, v46, vcc
	v_lshlrev_b32_e32 v53, 2, v1
	v_add_f32_e32 v1, 0x40051340, v0
	v_max_f32_e32 v2, v44, v44
	v_max_f32_e32 v1, v2, v1
	ds_bpermute_b32 v2, v53, v1
	v_xor_b32_e32 v47, 8, v19
	v_cmp_lt_i32_e32 vcc, v47, v45
	v_xor_b32_e32 v48, 4, v19
	v_xor_b32_e32 v49, 2, v19
	v_cndmask_b32_e32 v3, v19, v47, vcc
	s_waitcnt lgkmcnt(0)
	v_max_f32_e32 v2, v2, v2
	v_lshlrev_b32_e32 v51, 2, v3
	v_max_f32_e32 v1, v1, v2
	ds_bpermute_b32 v2, v51, v1
	v_cmp_lt_i32_e32 vcc, v48, v45
	v_xor_b32_e32 v50, 1, v19
	v_cmp_nlt_f32_e64 s[6:7], |v26|, s21
	v_cndmask_b32_e32 v3, v19, v48, vcc
	s_waitcnt lgkmcnt(0)
	v_max_f32_e32 v2, v2, v2
	v_lshlrev_b32_e32 v27, 2, v3
	v_max_f32_e32 v1, v1, v2
	ds_bpermute_b32 v3, v27, v1
	v_cmp_lt_i32_e32 vcc, v49, v45
                                        ; implicit-def: $vgpr55
	s_waitcnt lgkmcnt(0)
	v_max_f32_e32 v3, v3, v3
	v_cndmask_b32_e32 v2, v19, v49, vcc
	v_lshlrev_b32_e32 v2, 2, v2
	v_max_f32_e32 v3, v1, v3
	ds_bpermute_b32 v54, v2, v3
	v_cmp_lt_i32_e32 vcc, v50, v45
	s_waitcnt lgkmcnt(0)
	v_max_f32_e32 v54, v54, v54
	v_cndmask_b32_e32 v1, v19, v50, vcc
	v_lshlrev_b32_e32 v1, 2, v1
	v_max_f32_e32 v3, v3, v54
	ds_bpermute_b32 v54, v1, v3
	s_and_saveexec_b64 s[36:37], s[6:7]
	s_xor_b64 s[6:7], exec, s[36:37]
	s_cbranch_execz .LBB66_27
; %bb.26:                               ;   in Loop: Header=BB66_21 Depth=1
	v_add_f32_e64 v55, |v26|, |v26|
	v_mul_f32_e32 v56, 0x3fb8aa3b, v55
	v_rndne_f32_e32 v57, v56
	v_sub_f32_e32 v58, v56, v57
	v_fma_f32 v56, v55, s24, -v56
	v_fmac_f32_e32 v56, 0x32a5705f, v55
	v_add_f32_e32 v56, v58, v56
	v_cvt_i32_f32_e32 v57, v57
	v_exp_f32_e32 v56, v56
	v_cmp_ngt_f32_e32 vcc, s25, v55
	v_ldexp_f32 v56, v56, v57
	s_nop 0
	v_cndmask_b32_e32 v56, 0, v56, vcc
	v_cmp_nlt_f32_e32 vcc, s26, v55
	s_nop 1
	v_cndmask_b32_e32 v55, v38, v56, vcc
	v_add_f32_e32 v55, 1.0, v55
	v_rcp_f32_e32 v55, v55
	s_nop 0
	v_fma_f32 v55, v55, -2.0, 1.0
.LBB66_27:                              ;   in Loop: Header=BB66_21 Depth=1
	s_andn2_saveexec_b64 s[6:7], s[6:7]
; %bb.28:                               ;   in Loop: Header=BB66_21 Depth=1
	v_mul_f32_e32 v55, v26, v26
	v_fmamk_f32 v56, v55, 0xbbbac73d, v37
	v_fmaak_f32 v56, v55, v56, 0xbd5c1c4e
	v_fmaak_f32 v56, v55, v56, 0x3e088382
	;; [unrolled: 1-line block ×3, first 2 shown]
	v_mul_f32_e64 v56, |v26|, v56
	v_fma_f32 v55, v55, v56, |v26|
; %bb.29:                               ;   in Loop: Header=BB66_21 Depth=1
	s_or_b64 exec, exec, s[6:7]
	v_cvt_f32_f16_e32 v62, v52
	v_bfi_b32 v26, s27, v55, v26
	v_max_f32_e32 v52, v4, v4
	s_waitcnt lgkmcnt(0)
	v_max_f32_e32 v63, v54, v54
	v_fmac_f32_e32 v62, s10, v26
	v_add_f32_e32 v26, 0x40051340, v62
	v_max_f32_e32 v26, v52, v26
	ds_bpermute_b32 v52, v53, v26
	s_mul_hi_i32 s7, s2, s11
	s_mul_i32 s6, s2, s11
	s_lshl_b64 s[6:7], s[6:7], 2
	s_add_u32 s6, s8, s6
	s_waitcnt lgkmcnt(0)
	v_max_f32_e32 v52, v52, v52
	v_max_f32_e32 v26, v26, v52
	ds_bpermute_b32 v51, v51, v26
	s_addc_u32 s7, s9, s7
	v_lshl_add_u64 v[52:53], s[6:7], 0, v[24:25]
	v_lshl_add_u64 v[60:61], v[52:53], 0, v[12:13]
	s_waitcnt lgkmcnt(0)
	v_max_f32_e32 v51, v51, v51
	v_max_f32_e32 v51, v26, v51
	ds_bpermute_b32 v54, v27, v51
	v_lshl_add_u64 v[26:27], s[6:7], 0, v[22:23]
	v_lshl_add_u64 v[26:27], v[26:27], 0, v[12:13]
	s_barrier
	s_waitcnt lgkmcnt(0)
	v_max_f32_e32 v52, v54, v54
	v_max_f32_e32 v51, v51, v52
	global_load_dwordx4 v[52:55], v[26:27], off
	global_load_dwordx4 v[56:59], v[60:61], off
	ds_bpermute_b32 v2, v2, v51
	v_max_f32_e32 v3, v3, v3
	v_max_f32_e32 v26, v3, v63
	v_sub_f32_e32 v3, v44, v26
	v_mul_f32_e32 v27, 0x3fb8aa3b, v3
	s_waitcnt lgkmcnt(0)
	v_max_f32_e32 v2, v2, v2
	v_max_f32_e32 v2, v51, v2
	ds_bpermute_b32 v1, v1, v2
	v_fma_f32 v44, v3, s24, -v27
	v_rndne_f32_e32 v51, v27
	v_fmac_f32_e32 v44, 0x32a5705f, v3
	v_sub_f32_e32 v27, v27, v51
	v_add_f32_e32 v27, v27, v44
	v_exp_f32_e32 v44, v27
	v_cvt_i32_f32_e32 v51, v51
	s_waitcnt lgkmcnt(0)
	v_max_f32_e32 v1, v1, v1
	v_max_f32_e32 v27, v2, v1
	v_sub_f32_e32 v2, v0, v26
	v_mul_f32_e32 v0, 0x3fb8aa3b, v2
	v_ldexp_f32 v1, v44, v51
	v_fma_f32 v44, v2, s24, -v0
	v_rndne_f32_e32 v51, v0
	v_fmac_f32_e32 v44, 0x32a5705f, v2
	v_sub_f32_e32 v0, v0, v51
	v_add_f32_e32 v0, v0, v44
	v_exp_f32_e32 v44, v0
	v_cvt_i32_f32_e32 v51, v51
	v_cmp_ngt_f32_e32 vcc, s25, v3
	v_add_u32_e32 v92, 0x800, v30
	s_or_b32 s6, s2, 16
	v_cndmask_b32_e32 v0, 0, v1, vcc
	v_cmp_nlt_f32_e32 vcc, s26, v3
	v_ldexp_f32 v1, v44, v51
	s_mul_hi_i32 s7, s6, s11
	v_cndmask_b32_e32 v0, v38, v0, vcc
	v_cvt_f16_f32_e32 v3, v0
	v_cmp_ngt_f32_e32 vcc, s25, v2
	s_mul_i32 s6, s6, s11
	s_lshl_b64 s[6:7], s[6:7], 2
	v_cndmask_b32_e32 v1, 0, v1, vcc
	v_cmp_nlt_f32_e32 vcc, s26, v2
	v_mul_u32_u24_e32 v44, 0x10001, v3
	v_pk_mul_f16 v43, v43, v44
	v_cndmask_b32_e32 v2, v38, v1, vcc
	v_sub_f32_e32 v1, v4, v27
	v_mul_f32_e32 v3, 0x3fb8aa3b, v1
	v_fma_f32 v4, v1, s24, -v3
	v_rndne_f32_e32 v51, v3
	v_fmac_f32_e32 v4, 0x32a5705f, v1
	v_sub_f32_e32 v3, v3, v51
	v_add_f32_e32 v3, v3, v4
	v_exp_f32_e32 v3, v3
	v_cvt_i32_f32_e32 v4, v51
	v_pk_mul_f16 v51, v41, v44
	v_cmp_ngt_f32_e32 vcc, s25, v1
	v_pk_mul_f16 v42, v42, v44
	v_ldexp_f32 v3, v3, v4
	v_sub_f32_e32 v4, v62, v27
	v_mul_f32_e32 v41, 0x3fb8aa3b, v4
	v_fma_f32 v60, v4, s24, -v41
	v_rndne_f32_e32 v61, v41
	v_fmac_f32_e32 v60, 0x32a5705f, v4
	v_sub_f32_e32 v41, v41, v61
	v_add_f32_e32 v41, v41, v60
	v_exp_f32_e32 v41, v41
	v_cvt_i32_f32_e32 v60, v61
	v_cndmask_b32_e32 v3, 0, v3, vcc
	v_cmp_nlt_f32_e32 vcc, s26, v1
	s_add_u32 s6, s8, s6
	s_addc_u32 s7, s9, s7
	v_cndmask_b32_e32 v1, v38, v3, vcc
	v_ldexp_f32 v3, v41, v60
	v_cvt_f16_f32_e32 v41, v1
	v_cmp_ngt_f32_e32 vcc, s25, v4
	v_lshl_add_u64 v[80:81], s[6:7], 0, v[22:23]
	v_add_u32_e32 v97, 0x1000, v30
	v_cndmask_b32_e32 v3, 0, v3, vcc
	v_cmp_nlt_f32_e32 vcc, s26, v4
	v_mul_u32_u24_e32 v41, 0x10001, v41
	v_pk_mul_f16 v64, v7, v41
	v_cndmask_b32_e32 v3, v38, v3, vcc
	v_pk_fma_f32 v[10:11], v[10:11], v[0:1], v[2:3]
	v_add_u32_e32 v0, v34, v28
	v_cvt_pk_f16_f32 v1, v2, v3
	v_pk_mul_f16 v65, v6, v41
	v_pk_mul_f16 v66, v5, v41
	ds_write_b32 v0, v1
	s_waitcnt vmcnt(1)
	ds_write_b128 v35, v[52:55]
	s_waitcnt vmcnt(0)
	ds_write_b128 v36, v[56:59]
	s_waitcnt lgkmcnt(0)
	s_barrier
	ds_read_b128 v[52:55], v34
	ds_read2_b64 v[56:59], v30 offset1:32
	ds_read_b128 v[60:63], v34 offset:16
	ds_read_b128 v[4:7], v34 offset:32
	;; [unrolled: 1-line block ×3, first 2 shown]
	s_waitcnt lgkmcnt(4)
	v_mul_u32_u24_sdwa v67, v52, s29 dst_sel:DWORD dst_unused:UNUSED_PAD src0_sel:WORD_0 src1_sel:DWORD
	v_mul_u32_u24_sdwa v52, v52, s29 dst_sel:DWORD dst_unused:UNUSED_PAD src0_sel:WORD_1 src1_sel:DWORD
	s_waitcnt lgkmcnt(3)
	v_pk_mul_f16 v68, v56, v67
	v_pk_fma_f16 v51, v59, v67, v51
	v_pk_fma_f16 v44, v40, v44, v68
	v_pk_mul_f16 v40, v56, v52
	v_pk_fma_f16 v56, v57, v67, v43
	v_pk_fma_f16 v39, v39, v41, v40
	;; [unrolled: 1-line block ×4, first 2 shown]
	ds_read2_b64 v[40:43], v30 offset0:64 offset1:96
	v_pk_fma_f16 v58, v58, v52, v65
	v_mul_u32_u24_sdwa v65, v53, s29 dst_sel:DWORD dst_unused:UNUSED_PAD src0_sel:WORD_0 src1_sel:DWORD
	v_mul_u32_u24_sdwa v53, v53, s29 dst_sel:DWORD dst_unused:UNUSED_PAD src0_sel:WORD_1 src1_sel:DWORD
	v_pk_fma_f16 v52, v59, v52, v66
	s_waitcnt lgkmcnt(0)
	v_pk_fma_f16 v44, v40, v65, v44
	v_pk_fma_f16 v39, v40, v53, v39
	;; [unrolled: 1-line block ×6, first 2 shown]
	ds_read2_b64 v[56:59], v30 offset0:128 offset1:160
	v_pk_fma_f16 v52, v43, v53, v52
	v_mul_u32_u24_sdwa v53, v54, s29 dst_sel:DWORD dst_unused:UNUSED_PAD src0_sel:WORD_0 src1_sel:DWORD
	v_mul_u32_u24_sdwa v54, v54, s29 dst_sel:DWORD dst_unused:UNUSED_PAD src0_sel:WORD_1 src1_sel:DWORD
	v_pk_fma_f16 v51, v43, v65, v51
	s_waitcnt lgkmcnt(0)
	v_pk_fma_f16 v44, v56, v53, v44
	v_pk_fma_f16 v39, v56, v54, v39
	;; [unrolled: 1-line block ×6, first 2 shown]
	ds_read2_b64 v[40:43], v30 offset0:192 offset1:224
	v_pk_fma_f16 v51, v59, v53, v51
	v_pk_fma_f16 v59, v59, v54, v52
	v_mul_u32_u24_sdwa v65, v55, s29 dst_sel:DWORD dst_unused:UNUSED_PAD src0_sel:WORD_0 src1_sel:DWORD
	v_mul_u32_u24_sdwa v66, v55, s29 dst_sel:DWORD dst_unused:UNUSED_PAD src0_sel:WORD_1 src1_sel:DWORD
	ds_read2_b64 v[52:55], v92 offset1:32
	s_waitcnt lgkmcnt(1)
	v_pk_fma_f16 v44, v40, v65, v44
	v_pk_fma_f16 v39, v40, v66, v39
	v_pk_fma_f16 v40, v41, v65, v56
	v_pk_fma_f16 v41, v41, v66, v57
	v_pk_fma_f16 v56, v42, v65, v64
	v_pk_fma_f16 v42, v42, v66, v58
	v_pk_fma_f16 v57, v43, v66, v59
	v_mul_u32_u24_sdwa v58, v60, s29 dst_sel:DWORD dst_unused:UNUSED_PAD src0_sel:WORD_0 src1_sel:DWORD
	v_mul_u32_u24_sdwa v59, v60, s29 dst_sel:DWORD dst_unused:UNUSED_PAD src0_sel:WORD_1 src1_sel:DWORD
	v_pk_fma_f16 v51, v43, v65, v51
	s_waitcnt lgkmcnt(0)
	v_pk_fma_f16 v44, v52, v58, v44
	v_pk_fma_f16 v39, v52, v59, v39
	v_pk_fma_f16 v52, v53, v58, v40
	v_pk_fma_f16 v53, v53, v59, v41
	v_pk_fma_f16 v56, v54, v58, v56
	v_pk_fma_f16 v54, v54, v59, v42
	ds_read2_b64 v[40:43], v92 offset0:64 offset1:96
	v_pk_fma_f16 v51, v55, v58, v51
	v_pk_fma_f16 v57, v55, v59, v57
	v_mul_u32_u24_sdwa v58, v61, s29 dst_sel:DWORD dst_unused:UNUSED_PAD src0_sel:WORD_0 src1_sel:DWORD
	v_mul_u32_u24_sdwa v59, v61, s29 dst_sel:DWORD dst_unused:UNUSED_PAD src0_sel:WORD_1 src1_sel:DWORD
	s_waitcnt lgkmcnt(0)
	v_pk_fma_f16 v44, v40, v58, v44
	v_pk_fma_f16 v39, v40, v59, v39
	v_pk_fma_f16 v40, v41, v58, v52
	v_pk_fma_f16 v41, v41, v59, v53
	v_pk_fma_f16 v56, v42, v58, v56
	v_pk_fma_f16 v42, v42, v59, v54
	ds_read2_b64 v[52:55], v92 offset0:128 offset1:160
	v_pk_fma_f16 v51, v43, v58, v51
	v_pk_fma_f16 v57, v43, v59, v57
	v_mul_u32_u24_sdwa v58, v62, s29 dst_sel:DWORD dst_unused:UNUSED_PAD src0_sel:WORD_0 src1_sel:DWORD
	v_mul_u32_u24_sdwa v59, v62, s29 dst_sel:DWORD dst_unused:UNUSED_PAD src0_sel:WORD_1 src1_sel:DWORD
	;; [unrolled: 12-line block ×3, first 2 shown]
	v_add_u32_e32 v100, 0x1800, v30
	v_lshl_add_u64 v[88:89], v[80:81], 0, v[12:13]
	v_lshl_add_u64 v[80:81], s[6:7], 0, v[24:25]
	s_waitcnt lgkmcnt(0)
	v_pk_fma_f16 v44, v40, v58, v44
	v_pk_fma_f16 v39, v40, v59, v39
	;; [unrolled: 1-line block ×6, first 2 shown]
	ds_read2_b64 v[52:55], v97 offset1:32
	v_pk_fma_f16 v51, v43, v58, v51
	v_pk_fma_f16 v98, v43, v59, v57
	ds_read2_b64 v[40:43], v97 offset0:64 offset1:96
	ds_read2_b64 v[56:59], v97 offset0:128 offset1:160
	;; [unrolled: 1-line block ×3, first 2 shown]
	ds_read2_b64 v[64:67], v100 offset1:32
	ds_read2_b64 v[68:71], v100 offset0:64 offset1:96
	ds_read2_b64 v[72:75], v100 offset0:128 offset1:160
	;; [unrolled: 1-line block ×3, first 2 shown]
	s_waitcnt lgkmcnt(0)
	s_barrier
	v_lshl_add_u64 v[90:91], v[80:81], 0, v[12:13]
	global_load_dwordx4 v[80:83], v[88:89], off
	global_load_dwordx4 v[84:87], v[90:91], off
	v_mul_u32_u24_sdwa v99, v4, s29 dst_sel:DWORD dst_unused:UNUSED_PAD src0_sel:WORD_0 src1_sel:DWORD
	v_mul_u32_u24_sdwa v4, v4, s29 dst_sel:DWORD dst_unused:UNUSED_PAD src0_sel:WORD_1 src1_sel:DWORD
	v_pk_fma_f16 v44, v52, v99, v44
	v_pk_fma_f16 v39, v52, v4, v39
	v_pk_fma_f16 v52, v53, v99, v93
	v_pk_fma_f16 v53, v53, v4, v94
	v_pk_fma_f16 v88, v54, v99, v95
	v_pk_fma_f16 v54, v54, v4, v96
	v_pk_fma_f16 v51, v55, v99, v51
	v_pk_fma_f16 v4, v55, v4, v98
	v_mul_u32_u24_sdwa v55, v5, s29 dst_sel:DWORD dst_unused:UNUSED_PAD src0_sel:WORD_0 src1_sel:DWORD
	v_mul_u32_u24_sdwa v5, v5, s29 dst_sel:DWORD dst_unused:UNUSED_PAD src0_sel:WORD_1 src1_sel:DWORD
	v_pk_fma_f16 v44, v40, v55, v44
	v_pk_fma_f16 v39, v40, v5, v39
	v_pk_fma_f16 v40, v41, v55, v52
	v_pk_fma_f16 v41, v41, v5, v53
	v_pk_fma_f16 v52, v42, v55, v88
	v_pk_fma_f16 v42, v42, v5, v54
	v_pk_fma_f16 v51, v43, v55, v51
	v_pk_fma_f16 v4, v43, v5, v4
	;; [unrolled: 10-line block ×8, first 2 shown]
	s_waitcnt vmcnt(1)
	ds_write_b128 v35, v[80:83]
	s_waitcnt vmcnt(0)
	ds_write_b128 v36, v[84:87]
	s_waitcnt lgkmcnt(0)
	s_barrier
	ds_read_b128 v[0:3], v34 offset:64
	ds_read2_b64 v[4:7], v30 offset1:32
	ds_read_b128 v[40:43], v34 offset:80
	ds_read_b128 v[52:55], v34 offset:96
	;; [unrolled: 1-line block ×3, first 2 shown]
	s_waitcnt lgkmcnt(4)
	v_mul_u32_u24_sdwa v66, v0, s29 dst_sel:DWORD dst_unused:UNUSED_PAD src0_sel:WORD_0 src1_sel:DWORD
	v_mul_u32_u24_sdwa v0, v0, s29 dst_sel:DWORD dst_unused:UNUSED_PAD src0_sel:WORD_1 src1_sel:DWORD
	s_waitcnt lgkmcnt(3)
	v_pk_fma_f16 v44, v4, v66, v44
	v_pk_fma_f16 v4, v4, v0, v51
	;; [unrolled: 1-line block ×6, first 2 shown]
	ds_read2_b64 v[60:63], v30 offset0:64 offset1:96
	v_pk_fma_f16 v0, v7, v0, v65
	v_mul_u32_u24_sdwa v65, v1, s29 dst_sel:DWORD dst_unused:UNUSED_PAD src0_sel:WORD_0 src1_sel:DWORD
	v_mul_u32_u24_sdwa v1, v1, s29 dst_sel:DWORD dst_unused:UNUSED_PAD src0_sel:WORD_1 src1_sel:DWORD
	v_pk_fma_f16 v64, v7, v66, v64
	s_waitcnt lgkmcnt(0)
	v_pk_fma_f16 v44, v60, v65, v44
	v_pk_fma_f16 v60, v60, v1, v4
	;; [unrolled: 1-line block ×6, first 2 shown]
	ds_read2_b64 v[4:7], v30 offset0:128 offset1:160
	v_pk_fma_f16 v0, v63, v1, v0
	v_mul_u32_u24_sdwa v1, v2, s29 dst_sel:DWORD dst_unused:UNUSED_PAD src0_sel:WORD_0 src1_sel:DWORD
	v_mul_u32_u24_sdwa v2, v2, s29 dst_sel:DWORD dst_unused:UNUSED_PAD src0_sel:WORD_1 src1_sel:DWORD
	v_pk_fma_f16 v64, v63, v65, v64
	s_waitcnt lgkmcnt(0)
	v_pk_fma_f16 v44, v4, v1, v44
	v_pk_fma_f16 v4, v4, v2, v60
	;; [unrolled: 1-line block ×6, first 2 shown]
	ds_read2_b64 v[60:63], v30 offset0:192 offset1:224
	v_pk_fma_f16 v64, v7, v1, v64
	v_pk_fma_f16 v7, v7, v2, v0
	v_mul_u32_u24_sdwa v65, v3, s29 dst_sel:DWORD dst_unused:UNUSED_PAD src0_sel:WORD_0 src1_sel:DWORD
	v_mul_u32_u24_sdwa v66, v3, s29 dst_sel:DWORD dst_unused:UNUSED_PAD src0_sel:WORD_1 src1_sel:DWORD
	ds_read2_b64 v[0:3], v92 offset1:32
	s_waitcnt lgkmcnt(1)
	v_pk_fma_f16 v44, v60, v65, v44
	v_pk_fma_f16 v4, v60, v66, v4
	;; [unrolled: 1-line block ×6, first 2 shown]
	v_mul_u32_u24_sdwa v62, v40, s29 dst_sel:DWORD dst_unused:UNUSED_PAD src0_sel:WORD_0 src1_sel:DWORD
	v_mul_u32_u24_sdwa v40, v40, s29 dst_sel:DWORD dst_unused:UNUSED_PAD src0_sel:WORD_1 src1_sel:DWORD
	v_pk_fma_f16 v61, v63, v66, v7
	s_waitcnt lgkmcnt(0)
	v_pk_fma_f16 v44, v0, v62, v44
	v_pk_fma_f16 v0, v0, v40, v4
	;; [unrolled: 1-line block ×6, first 2 shown]
	ds_read2_b64 v[4:7], v92 offset0:64 offset1:96
	v_pk_fma_f16 v60, v63, v65, v64
	v_pk_fma_f16 v40, v3, v40, v61
	v_mul_u32_u24_sdwa v61, v41, s29 dst_sel:DWORD dst_unused:UNUSED_PAD src0_sel:WORD_0 src1_sel:DWORD
	v_mul_u32_u24_sdwa v41, v41, s29 dst_sel:DWORD dst_unused:UNUSED_PAD src0_sel:WORD_1 src1_sel:DWORD
	v_pk_fma_f16 v60, v3, v62, v60
	s_waitcnt lgkmcnt(0)
	v_pk_fma_f16 v44, v4, v61, v44
	v_pk_fma_f16 v4, v4, v41, v0
	;; [unrolled: 1-line block ×6, first 2 shown]
	ds_read2_b64 v[0:3], v92 offset0:128 offset1:160
	v_pk_fma_f16 v40, v7, v41, v40
	v_mul_u32_u24_sdwa v41, v42, s29 dst_sel:DWORD dst_unused:UNUSED_PAD src0_sel:WORD_0 src1_sel:DWORD
	v_mul_u32_u24_sdwa v42, v42, s29 dst_sel:DWORD dst_unused:UNUSED_PAD src0_sel:WORD_1 src1_sel:DWORD
	v_pk_fma_f16 v60, v7, v61, v60
	s_waitcnt lgkmcnt(0)
	v_pk_fma_f16 v44, v0, v41, v44
	v_pk_fma_f16 v0, v0, v42, v4
	v_pk_fma_f16 v51, v1, v41, v51
	v_pk_fma_f16 v1, v1, v42, v5
	v_pk_fma_f16 v39, v2, v41, v39
	v_pk_fma_f16 v2, v2, v42, v6
	ds_read2_b64 v[4:7], v92 offset0:192 offset1:224
	v_pk_fma_f16 v40, v3, v42, v40
	v_mul_u32_u24_sdwa v42, v43, s29 dst_sel:DWORD dst_unused:UNUSED_PAD src0_sel:WORD_0 src1_sel:DWORD
	v_mul_u32_u24_sdwa v43, v43, s29 dst_sel:DWORD dst_unused:UNUSED_PAD src0_sel:WORD_1 src1_sel:DWORD
	v_pk_fma_f16 v41, v3, v41, v60
	s_waitcnt lgkmcnt(0)
	v_pk_fma_f16 v44, v4, v42, v44
	v_pk_fma_f16 v4, v4, v43, v0
	;; [unrolled: 1-line block ×6, first 2 shown]
	ds_read2_b64 v[0:3], v97 offset1:32
	v_pk_fma_f16 v41, v7, v42, v41
	v_pk_fma_f16 v40, v7, v43, v40
	v_mul_u32_u24_sdwa v42, v52, s29 dst_sel:DWORD dst_unused:UNUSED_PAD src0_sel:WORD_0 src1_sel:DWORD
	v_mul_u32_u24_sdwa v43, v52, s29 dst_sel:DWORD dst_unused:UNUSED_PAD src0_sel:WORD_1 src1_sel:DWORD
	s_waitcnt lgkmcnt(0)
	v_pk_fma_f16 v44, v0, v42, v44
	v_pk_fma_f16 v0, v0, v43, v4
	v_pk_fma_f16 v51, v1, v42, v51
	v_pk_fma_f16 v1, v1, v43, v5
	v_pk_fma_f16 v39, v2, v42, v39
	v_pk_fma_f16 v2, v2, v43, v6
	ds_read2_b64 v[4:7], v97 offset0:64 offset1:96
	v_pk_fma_f16 v41, v3, v42, v41
	v_pk_fma_f16 v40, v3, v43, v40
	v_mul_u32_u24_sdwa v42, v53, s29 dst_sel:DWORD dst_unused:UNUSED_PAD src0_sel:WORD_0 src1_sel:DWORD
	v_mul_u32_u24_sdwa v43, v53, s29 dst_sel:DWORD dst_unused:UNUSED_PAD src0_sel:WORD_1 src1_sel:DWORD
	s_waitcnt lgkmcnt(0)
	v_pk_fma_f16 v44, v4, v42, v44
	v_pk_fma_f16 v4, v4, v43, v0
	v_pk_fma_f16 v51, v5, v42, v51
	v_pk_fma_f16 v5, v5, v43, v1
	v_pk_fma_f16 v39, v6, v42, v39
	v_pk_fma_f16 v6, v6, v43, v2
	ds_read2_b64 v[0:3], v97 offset0:128 offset1:160
	v_pk_fma_f16 v41, v7, v42, v41
	v_pk_fma_f16 v40, v7, v43, v40
	v_mul_u32_u24_sdwa v42, v54, s29 dst_sel:DWORD dst_unused:UNUSED_PAD src0_sel:WORD_0 src1_sel:DWORD
	v_mul_u32_u24_sdwa v43, v54, s29 dst_sel:DWORD dst_unused:UNUSED_PAD src0_sel:WORD_1 src1_sel:DWORD
	s_waitcnt lgkmcnt(0)
	v_pk_fma_f16 v44, v0, v42, v44
	v_pk_fma_f16 v0, v0, v43, v4
	v_pk_fma_f16 v51, v1, v42, v51
	v_pk_fma_f16 v1, v1, v43, v5
	v_pk_fma_f16 v39, v2, v42, v39
	v_pk_fma_f16 v2, v2, v43, v6
	ds_read2_b64 v[4:7], v97 offset0:192 offset1:224
	v_pk_fma_f16 v41, v3, v42, v41
	v_pk_fma_f16 v40, v3, v43, v40
	v_mul_u32_u24_sdwa v42, v55, s29 dst_sel:DWORD dst_unused:UNUSED_PAD src0_sel:WORD_0 src1_sel:DWORD
	v_mul_u32_u24_sdwa v43, v55, s29 dst_sel:DWORD dst_unused:UNUSED_PAD src0_sel:WORD_1 src1_sel:DWORD
	s_waitcnt lgkmcnt(0)
	v_pk_fma_f16 v44, v4, v42, v44
	v_pk_fma_f16 v4, v4, v43, v0
	;; [unrolled: 1-line block ×6, first 2 shown]
	ds_read2_b64 v[0:3], v100 offset1:32
	v_pk_fma_f16 v41, v7, v42, v41
	v_pk_fma_f16 v40, v7, v43, v40
	v_mul_u32_u24_sdwa v42, v56, s29 dst_sel:DWORD dst_unused:UNUSED_PAD src0_sel:WORD_0 src1_sel:DWORD
	v_mul_u32_u24_sdwa v43, v56, s29 dst_sel:DWORD dst_unused:UNUSED_PAD src0_sel:WORD_1 src1_sel:DWORD
	s_waitcnt lgkmcnt(0)
	v_pk_fma_f16 v44, v0, v42, v44
	v_pk_fma_f16 v0, v0, v43, v4
	;; [unrolled: 1-line block ×6, first 2 shown]
	ds_read2_b64 v[4:7], v100 offset0:64 offset1:96
	v_pk_fma_f16 v41, v3, v42, v41
	v_pk_fma_f16 v40, v3, v43, v40
	v_mul_u32_u24_sdwa v42, v57, s29 dst_sel:DWORD dst_unused:UNUSED_PAD src0_sel:WORD_0 src1_sel:DWORD
	v_mul_u32_u24_sdwa v43, v57, s29 dst_sel:DWORD dst_unused:UNUSED_PAD src0_sel:WORD_1 src1_sel:DWORD
	s_waitcnt lgkmcnt(0)
	v_pk_fma_f16 v44, v4, v42, v44
	v_pk_fma_f16 v4, v4, v43, v0
	;; [unrolled: 1-line block ×6, first 2 shown]
	ds_read2_b64 v[0:3], v100 offset0:128 offset1:160
	ds_read2_b64 v[52:55], v100 offset0:192 offset1:224
	s_waitcnt lgkmcnt(0)
	s_barrier
	s_load_dword s6, s[4:5], 0x4
	v_pk_fma_f16 v41, v7, v42, v41
	v_pk_fma_f16 v7, v7, v43, v40
	v_mul_u32_u24_sdwa v40, v58, s29 dst_sel:DWORD dst_unused:UNUSED_PAD src0_sel:WORD_0 src1_sel:DWORD
	v_mul_u32_u24_sdwa v42, v58, s29 dst_sel:DWORD dst_unused:UNUSED_PAD src0_sel:WORD_1 src1_sel:DWORD
	s_waitcnt lgkmcnt(0)
	s_lshl_b32 s6, s6, 5
	v_pk_fma_f16 v43, v0, v40, v44
	v_pk_fma_f16 v0, v0, v42, v4
	v_pk_fma_f16 v4, v1, v40, v51
	v_pk_fma_f16 v1, v1, v42, v5
	v_pk_fma_f16 v5, v2, v40, v39
	v_pk_fma_f16 v2, v2, v42, v6
	v_pk_fma_f16 v41, v3, v40, v41
	v_pk_fma_f16 v3, v3, v42, v7
	v_mul_u32_u24_sdwa v44, v59, s29 dst_sel:DWORD dst_unused:UNUSED_PAD src0_sel:WORD_0 src1_sel:DWORD
	v_mul_u32_u24_sdwa v51, v59, s29 dst_sel:DWORD dst_unused:UNUSED_PAD src0_sel:WORD_1 src1_sel:DWORD
	s_add_i32 s2, s6, s2
	v_pk_fma_f16 v40, v52, v44, v43
	v_pk_fma_f16 v39, v52, v51, v0
	;; [unrolled: 1-line block ×7, first 2 shown]
	s_cmp_ge_i32 s2, s30
	v_pk_fma_f16 v5, v55, v51, v3
	s_cbranch_scc1 .LBB66_7
; %bb.30:                               ;   in Loop: Header=BB66_21 Depth=1
	v_mov_b32_e32 v44, v26
	v_mov_b32_e32 v4, v27
	s_branch .LBB66_21
	.section	.rodata,"a",@progbits
	.p2align	6, 0x0
	.amdhsa_kernel _ZL15flash_attn_tileILi256ELi256ELi8ELi2ELb1EEvPKcS1_S1_S1_S1_PKiPfP15HIP_vector_typeIfLj2EEffffjfiS5_IjLj3EEiiiiiiiiiiiliiliiiiil
		.amdhsa_group_segment_fixed_size 17920
		.amdhsa_private_segment_fixed_size 0
		.amdhsa_kernarg_size 464
		.amdhsa_user_sgpr_count 2
		.amdhsa_user_sgpr_dispatch_ptr 0
		.amdhsa_user_sgpr_queue_ptr 0
		.amdhsa_user_sgpr_kernarg_segment_ptr 1
		.amdhsa_user_sgpr_dispatch_id 0
		.amdhsa_user_sgpr_kernarg_preload_length 0
		.amdhsa_user_sgpr_kernarg_preload_offset 0
		.amdhsa_user_sgpr_private_segment_size 0
		.amdhsa_uses_dynamic_stack 0
		.amdhsa_enable_private_segment 0
		.amdhsa_system_sgpr_workgroup_id_x 1
		.amdhsa_system_sgpr_workgroup_id_y 1
		.amdhsa_system_sgpr_workgroup_id_z 1
		.amdhsa_system_sgpr_workgroup_info 0
		.amdhsa_system_vgpr_workitem_id 1
		.amdhsa_next_free_vgpr 101
		.amdhsa_next_free_sgpr 40
		.amdhsa_accum_offset 104
		.amdhsa_reserve_vcc 1
		.amdhsa_float_round_mode_32 0
		.amdhsa_float_round_mode_16_64 0
		.amdhsa_float_denorm_mode_32 3
		.amdhsa_float_denorm_mode_16_64 3
		.amdhsa_dx10_clamp 1
		.amdhsa_ieee_mode 1
		.amdhsa_fp16_overflow 0
		.amdhsa_tg_split 0
		.amdhsa_exception_fp_ieee_invalid_op 0
		.amdhsa_exception_fp_denorm_src 0
		.amdhsa_exception_fp_ieee_div_zero 0
		.amdhsa_exception_fp_ieee_overflow 0
		.amdhsa_exception_fp_ieee_underflow 0
		.amdhsa_exception_fp_ieee_inexact 0
		.amdhsa_exception_int_div_zero 0
	.end_amdhsa_kernel
	.section	.text._ZL15flash_attn_tileILi256ELi256ELi8ELi2ELb1EEvPKcS1_S1_S1_S1_PKiPfP15HIP_vector_typeIfLj2EEffffjfiS5_IjLj3EEiiiiiiiiiiiliiliiiiil,"axG",@progbits,_ZL15flash_attn_tileILi256ELi256ELi8ELi2ELb1EEvPKcS1_S1_S1_S1_PKiPfP15HIP_vector_typeIfLj2EEffffjfiS5_IjLj3EEiiiiiiiiiiiliiliiiiil,comdat
.Lfunc_end66:
	.size	_ZL15flash_attn_tileILi256ELi256ELi8ELi2ELb1EEvPKcS1_S1_S1_S1_PKiPfP15HIP_vector_typeIfLj2EEffffjfiS5_IjLj3EEiiiiiiiiiiiliiliiiiil, .Lfunc_end66-_ZL15flash_attn_tileILi256ELi256ELi8ELi2ELb1EEvPKcS1_S1_S1_S1_PKiPfP15HIP_vector_typeIfLj2EEffffjfiS5_IjLj3EEiiiiiiiiiiiliiliiiiil
                                        ; -- End function
	.set _ZL15flash_attn_tileILi256ELi256ELi8ELi2ELb1EEvPKcS1_S1_S1_S1_PKiPfP15HIP_vector_typeIfLj2EEffffjfiS5_IjLj3EEiiiiiiiiiiiliiliiiiil.num_vgpr, 101
	.set _ZL15flash_attn_tileILi256ELi256ELi8ELi2ELb1EEvPKcS1_S1_S1_S1_PKiPfP15HIP_vector_typeIfLj2EEffffjfiS5_IjLj3EEiiiiiiiiiiiliiliiiiil.num_agpr, 0
	.set _ZL15flash_attn_tileILi256ELi256ELi8ELi2ELb1EEvPKcS1_S1_S1_S1_PKiPfP15HIP_vector_typeIfLj2EEffffjfiS5_IjLj3EEiiiiiiiiiiiliiliiiiil.numbered_sgpr, 40
	.set _ZL15flash_attn_tileILi256ELi256ELi8ELi2ELb1EEvPKcS1_S1_S1_S1_PKiPfP15HIP_vector_typeIfLj2EEffffjfiS5_IjLj3EEiiiiiiiiiiiliiliiiiil.num_named_barrier, 0
	.set _ZL15flash_attn_tileILi256ELi256ELi8ELi2ELb1EEvPKcS1_S1_S1_S1_PKiPfP15HIP_vector_typeIfLj2EEffffjfiS5_IjLj3EEiiiiiiiiiiiliiliiiiil.private_seg_size, 0
	.set _ZL15flash_attn_tileILi256ELi256ELi8ELi2ELb1EEvPKcS1_S1_S1_S1_PKiPfP15HIP_vector_typeIfLj2EEffffjfiS5_IjLj3EEiiiiiiiiiiiliiliiiiil.uses_vcc, 1
	.set _ZL15flash_attn_tileILi256ELi256ELi8ELi2ELb1EEvPKcS1_S1_S1_S1_PKiPfP15HIP_vector_typeIfLj2EEffffjfiS5_IjLj3EEiiiiiiiiiiiliiliiiiil.uses_flat_scratch, 0
	.set _ZL15flash_attn_tileILi256ELi256ELi8ELi2ELb1EEvPKcS1_S1_S1_S1_PKiPfP15HIP_vector_typeIfLj2EEffffjfiS5_IjLj3EEiiiiiiiiiiiliiliiiiil.has_dyn_sized_stack, 0
	.set _ZL15flash_attn_tileILi256ELi256ELi8ELi2ELb1EEvPKcS1_S1_S1_S1_PKiPfP15HIP_vector_typeIfLj2EEffffjfiS5_IjLj3EEiiiiiiiiiiiliiliiiiil.has_recursion, 0
	.set _ZL15flash_attn_tileILi256ELi256ELi8ELi2ELb1EEvPKcS1_S1_S1_S1_PKiPfP15HIP_vector_typeIfLj2EEffffjfiS5_IjLj3EEiiiiiiiiiiiliiliiiiil.has_indirect_call, 0
	.section	.AMDGPU.csdata,"",@progbits
; Kernel info:
; codeLenInByte = 13532
; TotalNumSgprs: 46
; NumVgprs: 101
; NumAgprs: 0
; TotalNumVgprs: 101
; ScratchSize: 0
; MemoryBound: 0
; FloatMode: 240
; IeeeMode: 1
; LDSByteSize: 17920 bytes/workgroup (compile time only)
; SGPRBlocks: 5
; VGPRBlocks: 12
; NumSGPRsForWavesPerEU: 46
; NumVGPRsForWavesPerEU: 101
; AccumOffset: 104
; Occupancy: 4
; WaveLimiterHint : 1
; COMPUTE_PGM_RSRC2:SCRATCH_EN: 0
; COMPUTE_PGM_RSRC2:USER_SGPR: 2
; COMPUTE_PGM_RSRC2:TRAP_HANDLER: 0
; COMPUTE_PGM_RSRC2:TGID_X_EN: 1
; COMPUTE_PGM_RSRC2:TGID_Y_EN: 1
; COMPUTE_PGM_RSRC2:TGID_Z_EN: 1
; COMPUTE_PGM_RSRC2:TIDIG_COMP_CNT: 1
; COMPUTE_PGM_RSRC3_GFX90A:ACCUM_OFFSET: 25
; COMPUTE_PGM_RSRC3_GFX90A:TG_SPLIT: 0
	.section	.text._ZL15flash_attn_tileILi256ELi256ELi4ELi2ELb1EEvPKcS1_S1_S1_S1_PKiPfP15HIP_vector_typeIfLj2EEffffjfiS5_IjLj3EEiiiiiiiiiiiliiliiiiil,"axG",@progbits,_ZL15flash_attn_tileILi256ELi256ELi4ELi2ELb1EEvPKcS1_S1_S1_S1_PKiPfP15HIP_vector_typeIfLj2EEffffjfiS5_IjLj3EEiiiiiiiiiiiliiliiiiil,comdat
	.globl	_ZL15flash_attn_tileILi256ELi256ELi4ELi2ELb1EEvPKcS1_S1_S1_S1_PKiPfP15HIP_vector_typeIfLj2EEffffjfiS5_IjLj3EEiiiiiiiiiiiliiliiiiil ; -- Begin function _ZL15flash_attn_tileILi256ELi256ELi4ELi2ELb1EEvPKcS1_S1_S1_S1_PKiPfP15HIP_vector_typeIfLj2EEffffjfiS5_IjLj3EEiiiiiiiiiiiliiliiiiil
	.p2align	8
	.type	_ZL15flash_attn_tileILi256ELi256ELi4ELi2ELb1EEvPKcS1_S1_S1_S1_PKiPfP15HIP_vector_typeIfLj2EEffffjfiS5_IjLj3EEiiiiiiiiiiiliiliiiiil,@function
_ZL15flash_attn_tileILi256ELi256ELi4ELi2ELb1EEvPKcS1_S1_S1_S1_PKiPfP15HIP_vector_typeIfLj2EEffffjfiS5_IjLj3EEiiiiiiiiiiiliiliiiiil: ; @_ZL15flash_attn_tileILi256ELi256ELi4ELi2ELb1EEvPKcS1_S1_S1_S1_PKiPfP15HIP_vector_typeIfLj2EEffffjfiS5_IjLj3EEiiiiiiiiiiiliiliiiiil
; %bb.0:
	s_load_dwordx4 s[20:23], s[0:1], 0x5c
	s_load_dwordx2 s[24:25], s[0:1], 0x80
	s_load_dwordx2 s[28:29], s[0:1], 0xb8
	s_mov_b64 s[26:27], 0
	s_waitcnt lgkmcnt(0)
	s_lshr_b32 s5, s23, 31
	s_add_i32 s5, s23, s5
	s_ashr_i32 s5, s5, 1
	v_cvt_f32_u32_e32 v1, s5
	s_sub_i32 s6, 0, s5
	v_rcp_iflag_f32_e32 v1, v1
	s_nop 0
	v_mul_f32_e32 v1, 0x4f7ffffe, v1
	v_cvt_u32_f32_e32 v1, v1
	s_nop 0
	v_readfirstlane_b32 s7, v1
	s_mul_i32 s6, s6, s7
	s_mul_hi_u32 s6, s7, s6
	s_add_i32 s7, s7, s6
	s_mul_hi_u32 s6, s4, s7
	s_mul_i32 s7, s6, s5
	s_sub_i32 s7, s4, s7
	s_add_i32 s8, s6, 1
	s_sub_i32 s9, s7, s5
	s_cmp_ge_u32 s7, s5
	s_cselect_b32 s6, s8, s6
	s_cselect_b32 s7, s9, s7
	s_add_i32 s8, s6, 1
	s_cmp_ge_u32 s7, s5
	s_cselect_b32 s30, s8, s6
	s_abs_i32 s5, s25
	v_cvt_f32_u32_e32 v1, s5
	s_lshl_b32 s4, s4, 1
	s_mul_i32 s8, s30, s23
	s_xor_b32 s6, s23, s25
	v_rcp_iflag_f32_e32 v1, v1
	s_sub_i32 s9, 0, s5
	s_sub_i32 s25, s4, s8
	s_abs_i32 s7, s23
	v_mul_f32_e32 v1, 0x4f7ffffe, v1
	v_cvt_u32_f32_e32 v1, v1
	s_ashr_i32 s6, s6, 31
	v_readfirstlane_b32 s4, v1
	s_mul_i32 s9, s9, s4
	s_mul_hi_u32 s8, s4, s9
	s_add_i32 s4, s4, s8
	s_mul_hi_u32 s4, s7, s4
	s_mul_i32 s8, s4, s5
	s_sub_i32 s7, s7, s8
	s_add_i32 s9, s4, 1
	s_sub_i32 s8, s7, s5
	s_cmp_ge_u32 s7, s5
	s_cselect_b32 s4, s9, s4
	s_cselect_b32 s7, s8, s7
	s_add_i32 s8, s4, 1
	s_cmp_ge_u32 s7, s5
	s_cselect_b32 s4, s8, s4
	s_xor_b32 s4, s4, s6
	s_sub_i32 s33, s4, s6
	s_abs_i32 s31, s33
	v_cvt_f32_u32_e32 v1, s31
	s_load_dwordx16 s[4:19], s[0:1], 0x0
	v_rcp_iflag_f32_e32 v1, v1
	s_waitcnt lgkmcnt(0)
	s_cmp_eq_u64 s[10:11], 0
	v_mul_f32_e32 v1, 0x4f7ffffe, v1
	v_cvt_u32_f32_e32 v1, v1
	s_nop 0
	v_readfirstlane_b32 s34, v1
	s_cbranch_scc1 .LBB67_2
; %bb.1:
	s_abs_i32 s28, s28
	v_cvt_f32_u32_e32 v1, s28
	s_sub_i32 s37, 0, s28
	s_abs_i32 s36, s30
	s_ashr_i32 s35, s30, 31
	v_rcp_iflag_f32_e32 v1, v1
	s_load_dwordx2 s[26:27], s[0:1], 0xc8
	v_mul_f32_e32 v1, 0x4f7ffffe, v1
	v_cvt_u32_f32_e32 v1, v1
	s_nop 0
	v_readfirstlane_b32 s38, v1
	s_mul_i32 s37, s37, s38
	s_mul_hi_u32 s37, s38, s37
	s_add_i32 s38, s38, s37
	s_mul_hi_u32 s37, s36, s38
	s_mul_i32 s37, s37, s28
	s_sub_i32 s36, s36, s37
	s_sub_i32 s37, s36, s28
	s_cmp_ge_u32 s36, s28
	s_cselect_b32 s36, s37, s36
	s_sub_i32 s37, s36, s28
	s_cmp_ge_u32 s36, s28
	s_cselect_b32 s28, s37, s36
	s_xor_b32 s28, s28, s35
	s_sub_i32 s28, s28, s35
	s_ashr_i32 s35, s28, 31
	s_waitcnt lgkmcnt(0)
	s_mul_hi_u32 s36, s26, s28
	s_mul_i32 s35, s26, s35
	s_mul_i32 s27, s27, s28
	s_add_i32 s35, s36, s35
	s_add_i32 s35, s35, s27
	s_mul_i32 s26, s26, s28
	s_add_u32 s26, s10, s26
	s_addc_u32 s27, s11, s35
.LBB67_2:
	s_load_dwordx4 s[36:39], s[0:1], 0x70
	v_lshrrev_b32_e32 v1, 10, v0
	v_bfe_u32 v1, v1, 1, 9
	v_lshl_add_u32 v34, s2, 2, v1
	v_mul_hi_u32 v1, s20, v34
	s_waitcnt lgkmcnt(0)
	s_mul_i32 s10, s30, s38
	s_ashr_i32 s28, s10, 31
	s_mul_i32 s11, s25, s37
	s_add_u32 s4, s4, s10
	s_addc_u32 s5, s5, s28
	s_ashr_i32 s10, s11, 31
	s_add_u32 s4, s4, s11
	v_add_u32_e32 v1, v34, v1
	s_addc_u32 s5, s5, s10
	s_ashr_i32 s11, s37, 31
	s_mov_b32 s10, s37
	v_lshrrev_b32_e32 v1, s21, v1
	v_bfe_u32 v9, v0, 10, 1
	s_lshr_b64 s[38:39], s[10:11], 2
	s_lshr_b32 s10, s11, 2
	v_mul_lo_u32 v1, v1, s22
	s_ashr_i32 s37, s36, 31
	v_mul_lo_u32 v3, s10, v9
	v_sub_u32_e32 v1, v34, v1
	s_lshr_b64 s[10:11], s[36:37], 2
	v_mad_u64_u32 v[4:5], s[10:11], s10, v1, 0
	v_mov_b32_e32 v6, v5
	s_lshr_b32 s10, s37, 2
	v_mul_lo_u32 v2, s38, v9
	v_mad_u64_u32 v[6:7], s[10:11], s10, v1, v[6:7]
	v_mov_b32_e32 v5, v6
	v_and_b32_e32 v8, 0x3ff, v0
	v_lshl_add_u64 v[2:3], v[2:3], 2, s[4:5]
	v_mov_b32_e32 v7, 0
	v_lshl_add_u64 v[2:3], v[4:5], 2, v[2:3]
	v_lshlrev_b32_e32 v6, 4, v8
	v_lshl_add_u64 v[2:3], v[2:3], 0, v[6:7]
	global_load_dwordx4 v[4:7], v[2:3], off
	global_load_dwordx4 v[10:13], v[2:3], off offset:512
	s_load_dword s4, s[0:1], 0x40
	v_bfe_u32 v0, v0, 10, 10
	v_lshlrev_b32_e32 v2, 9, v0
	v_lshlrev_b32_e32 v33, 3, v8
	v_add_u32_e32 v36, 0x4400, v2
	v_add_u32_e32 v3, v36, v33
	s_cmp_eq_u64 s[14:15], 0
	s_waitcnt vmcnt(1) lgkmcnt(0)
	v_fma_mixlo_f16 v4, s4, v4, 0
	v_fma_mixlo_f16 v5, s4, v5, 0
	;; [unrolled: 1-line block ×4, first 2 shown]
	s_waitcnt vmcnt(0)
	v_fma_mixlo_f16 v10, s4, v10, 0
	v_fma_mixlo_f16 v11, s4, v11, 0
	;; [unrolled: 1-line block ×4, first 2 shown]
	v_lshlrev_b32_e32 v5, 16, v5
	v_and_b32_e32 v4, 0xffff, v4
	v_lshlrev_b32_e32 v7, 16, v7
	v_and_b32_e32 v6, 0xffff, v6
	;; [unrolled: 2-line block ×4, first 2 shown]
	v_or_b32_e32 v4, v5, v4
	v_or3_b32 v5, v7, v6, 0
	v_or_b32_e32 v6, v11, v10
	v_or3_b32 v7, v13, v12, 0
	v_or3_b32 v4, 0, 0, v4
	;; [unrolled: 1-line block ×3, first 2 shown]
	ds_write2_b64 v3, v[4:5], v[6:7] offset1:32
	s_waitcnt lgkmcnt(0)
	s_barrier
	s_cbranch_scc1 .LBB67_4
; %bb.3:
	s_load_dword s4, s[0:1], 0xd0
	s_mov_b32 s5, 0
	s_waitcnt lgkmcnt(0)
	s_mul_i32 s4, s4, s30
	s_add_i32 s4, s4, s2
	s_lshl_b64 s[4:5], s[4:5], 2
	s_add_u32 s4, s14, s4
	s_addc_u32 s5, s15, s5
	s_load_dword s24, s[4:5], 0x0
.LBB67_4:
	s_lshl_b32 s2, s3, 6
	v_lshlrev_b32_e32 v35, 2, v8
	s_waitcnt lgkmcnt(0)
	s_cmp_lt_i32 s2, s24
	v_mbcnt_lo_u32_b32 v3, -1, 0
	s_cbranch_scc1 .LBB67_10
; %bb.5:
	v_mbcnt_hi_u32_b32 v21, -1, v3
	v_and_b32_e32 v4, 0x60, v21
	v_add_u32_e32 v56, 32, v4
	v_xor_b32_e32 v58, 16, v21
	v_xor_b32_e32 v57, 8, v21
	;; [unrolled: 1-line block ×5, first 2 shown]
	s_cbranch_execz .LBB67_11
; %bb.6:
	v_mov_b32_e32 v54, 0
	v_mov_b32_e32 v62, 0
	;; [unrolled: 1-line block ×6, first 2 shown]
.LBB67_7:
	v_cmp_lt_i32_e32 vcc, v58, v56
	s_cmp_lg_u64 s[12:13], 0
	s_cselect_b64 s[4:5], -1, 0
	v_cndmask_b32_e32 v0, v21, v58, vcc
	v_lshlrev_b32_e32 v0, 2, v0
	ds_bpermute_b32 v0, v0, v62
	v_cmp_lt_i32_e32 vcc, v57, v56
	s_cmp_eq_u32 s3, 0
	s_cselect_b64 s[6:7], -1, 0
	v_cndmask_b32_e32 v1, v21, v57, vcc
	v_lshlrev_b32_e32 v1, 2, v1
	s_waitcnt lgkmcnt(0)
	v_add_f32_e32 v0, v62, v0
	ds_bpermute_b32 v1, v1, v0
	v_cmp_lt_i32_e32 vcc, v59, v56
	s_and_b64 s[4:5], s[6:7], s[4:5]
	s_waitcnt lgkmcnt(0)
	v_add_f32_e32 v0, v0, v1
	v_cndmask_b32_e32 v2, v21, v59, vcc
	v_lshlrev_b32_e32 v2, 2, v2
	ds_bpermute_b32 v1, v2, v0
	v_cmp_lt_i32_e32 vcc, v60, v56
	s_waitcnt lgkmcnt(0)
	v_add_f32_e32 v0, v0, v1
	v_cndmask_b32_e32 v2, v21, v60, vcc
	v_lshlrev_b32_e32 v2, 2, v2
	ds_bpermute_b32 v1, v2, v0
	v_cmp_lt_i32_e32 vcc, v61, v56
	s_waitcnt lgkmcnt(0)
	v_add_f32_e32 v0, v0, v1
	v_cndmask_b32_e32 v2, v21, v61, vcc
	v_lshlrev_b32_e32 v2, 2, v2
	ds_bpermute_b32 v1, v2, v0
	s_and_b64 vcc, exec, s[4:5]
	s_waitcnt lgkmcnt(0)
	v_add_f32_e32 v33, v0, v1
	s_cbranch_vccz .LBB67_22
; %bb.8:
	v_add_u32_e32 v0, s25, v9
	v_ashrrev_i32_e32 v1, 31, v0
	v_lshl_add_u64 v[0:1], v[0:1], 2, s[12:13]
	global_load_dword v1, v[0:1], off
	v_max_f32_e32 v0, v32, v32
	s_mov_b32 s2, 0x3fb8aa3b
	s_mov_b32 s4, 0xc2ce8ed0
	s_waitcnt vmcnt(0)
	v_max_f32_e32 v2, v1, v1
	v_max_f32_e32 v0, v0, v2
	v_sub_f32_e32 v2, v32, v0
	v_sub_f32_e32 v1, v1, v0
	v_mul_f32_e32 v3, 0x3fb8aa3b, v2
	v_mul_f32_e32 v4, 0x3fb8aa3b, v1
	v_fma_f32 v5, v2, s2, -v3
	v_rndne_f32_e32 v6, v3
	v_fma_f32 v7, v1, s2, -v4
	v_rndne_f32_e32 v10, v4
	v_fmac_f32_e32 v5, 0x32a5705f, v2
	v_sub_f32_e32 v3, v3, v6
	v_fmac_f32_e32 v7, 0x32a5705f, v1
	v_sub_f32_e32 v4, v4, v10
	v_add_f32_e32 v3, v3, v5
	v_cvt_i32_f32_e32 v6, v6
	v_add_f32_e32 v4, v4, v7
	v_exp_f32_e32 v3, v3
	v_cvt_i32_f32_e32 v10, v10
	v_exp_f32_e32 v4, v4
	v_cmp_ngt_f32_e32 vcc, s4, v2
	v_ldexp_f32 v3, v3, v6
	s_mov_b32 s2, 0x42b17218
	v_ldexp_f32 v4, v4, v10
	v_cndmask_b32_e32 v3, 0, v3, vcc
	v_cmp_ngt_f32_e32 vcc, s4, v1
	v_mov_b32_e32 v5, 0x7f800000
	s_nop 0
	v_cndmask_b32_e32 v4, 0, v4, vcc
	v_cmp_nlt_f32_e32 vcc, s2, v2
	s_nop 1
	v_cndmask_b32_e32 v2, v5, v3, vcc
	v_cvt_f16_f32_e32 v3, v2
	v_cmp_nlt_f32_e32 vcc, s2, v1
	s_nop 1
	v_cndmask_b32_e32 v1, v5, v4, vcc
	v_fmac_f32_e32 v1, v33, v2
	v_mul_u32_u24_e32 v2, 0x10001, v3
	v_pk_mul_f16 v54, v54, v2
	v_pk_mul_f16 v53, v53, v2
	;; [unrolled: 1-line block ×4, first 2 shown]
	v_mov_b64_e32 v[32:33], v[0:1]
	v_cmp_gt_i32_e32 vcc, s22, v34
	s_and_saveexec_b64 s[4:5], vcc
	s_cbranch_execnz .LBB67_23
.LBB67_9:
	s_endpgm
.LBB67_10:
                                        ; implicit-def: $vgpr21
                                        ; implicit-def: $vgpr56
                                        ; implicit-def: $vgpr58
                                        ; implicit-def: $vgpr57
                                        ; implicit-def: $vgpr59
                                        ; implicit-def: $vgpr60
                                        ; implicit-def: $vgpr61
.LBB67_11:
	s_sub_i32 s4, 0, s31
	s_mul_i32 s4, s4, s34
	s_mul_hi_u32 s4, s34, s4
	s_add_i32 s34, s34, s4
	s_load_dwordx4 s[36:39], s[0:1], 0x98
	s_load_dword s10, s[0:1], 0x54
	s_load_dwordx2 s[4:5], s[0:1], 0x8c
	s_ashr_i32 s28, s33, 31
	s_abs_i32 s15, s25
	s_waitcnt lgkmcnt(0)
	s_ashr_i32 s11, s38, 2
	s_mul_hi_u32 s33, s36, s30
	s_ashr_i32 s14, s4, 2
	s_ashr_i32 s4, s30, 31
	s_mul_i32 s38, s36, s4
	s_add_i32 s33, s33, s38
	s_mul_i32 s37, s37, s30
	s_ashr_i32 s21, s25, 31
	s_ashr_i32 s29, s29, 1
	s_add_i32 s33, s33, s37
	s_mul_i32 s36, s36, s30
	s_mul_hi_u32 s20, s15, s34
	s_add_u32 s6, s6, s36
	s_addc_u32 s7, s7, s33
	s_xor_b32 s21, s21, s28
	s_mul_i32 s28, s20, s31
	s_sub_i32 s15, s15, s28
	s_add_i32 s28, s20, 1
	s_sub_i32 s33, s15, s31
	s_cmp_ge_u32 s15, s31
	s_cselect_b32 s20, s28, s20
	s_cselect_b32 s15, s33, s15
	s_add_i32 s28, s20, 1
	s_cmp_ge_u32 s15, s31
	s_load_dwordx2 s[34:35], s[0:1], 0xa8
	s_cselect_b32 s15, s28, s20
	s_xor_b32 s15, s15, s21
	s_sub_i32 s21, s15, s21
	s_mul_i32 s5, s21, s5
	s_ashr_i32 s20, s5, 31
	s_add_u32 s15, s6, s5
	s_waitcnt lgkmcnt(0)
	s_mul_hi_u32 s5, s34, s30
	s_mul_i32 s4, s34, s4
	s_addc_u32 s20, s7, s20
	s_add_i32 s4, s5, s4
	s_mul_i32 s5, s35, s30
	s_add_i32 s4, s4, s5
	s_mul_i32 s5, s34, s30
	s_add_u32 s5, s8, s5
	s_mul_i32 s21, s21, s39
	s_addc_u32 s4, s9, s4
	s_ashr_i32 s6, s21, 31
	v_lshrrev_b32_e32 v4, 4, v8
	s_add_u32 s8, s5, s21
	v_lshl_add_u32 v5, v0, 1, v4
	v_and_b32_e32 v4, 60, v35
	s_addc_u32 s9, s4, s6
	v_lshlrev_b32_e32 v6, 2, v4
	s_movk_i32 s4, 0x110
	v_mad_u32_u24 v37, v5, s4, v6
	v_mul_lo_u32 v12, s14, v5
	s_lshl_b32 s4, s14, 4
	v_add_u32_e32 v14, s4, v12
	v_add_u32_e32 v16, s4, v14
	;; [unrolled: 1-line block ×3, first 2 shown]
	v_mad_u64_u32 v[20:21], s[4:5], v1, s29, v[8:9]
	v_mov_b32_e32 v1, 0x5400
	v_lshlrev_b32_e32 v10, 2, v35
	v_mul_lo_u32 v6, s11, v0
	s_lshl_b32 s4, s11, 3
	v_lshl_add_u32 v42, v0, 7, v1
	v_add_u32_e32 v44, v2, v10
	v_lshl_add_u32 v2, v0, 9, v10
	v_add_u32_e32 v0, s4, v6
	v_add_u32_e32 v28, s4, v0
	;; [unrolled: 1-line block ×3, first 2 shown]
	v_mov_b32_e32 v11, 0
	v_ashrrev_i32_e32 v7, 31, v6
	v_ashrrev_i32_e32 v1, 31, v0
	;; [unrolled: 1-line block ×4, first 2 shown]
	s_add_u32 s4, s0, 0xd0
	v_ashrrev_i32_e32 v13, 31, v12
	v_add_u32_e32 v38, 0x1100, v37
	v_ashrrev_i32_e32 v15, 31, v14
	v_add_u32_e32 v39, 0x2200, v37
	;; [unrolled: 2-line block ×3, first 2 shown]
	v_ashrrev_i32_e32 v19, 31, v18
	v_mul_u32_u24_e32 v41, 0x110, v8
	v_lshl_add_u32 v43, v8, 1, v42
	v_add_u32_e32 v45, 0x1000, v2
	v_add_u32_e32 v46, 0x2000, v2
	;; [unrolled: 1-line block ×3, first 2 shown]
	s_addc_u32 s5, s1, 0
	v_mov_b32_e32 v55, 0xfeffffff
	v_lshlrev_b32_e32 v22, 2, v4
	v_mov_b32_e32 v23, v11
	s_mov_b32 s21, 0x3f200000
	s_mov_b32 s28, 0x3fb8aa3b
	;; [unrolled: 1-line block ×4, first 2 shown]
	v_mov_b32_e32 v48, 0x3ca908c9
	s_brev_b32 s33, -2
	s_mov_b32 s34, 0x10001
	v_lshlrev_b64 v[24:25], 2, v[6:7]
	v_lshlrev_b64 v[26:27], 2, v[0:1]
	;; [unrolled: 1-line block ×4, first 2 shown]
	v_mov_b32_e32 v49, 0x7f800000
	v_mbcnt_hi_u32_b32 v21, -1, v3
	v_mov_b32_e32 v51, v11
	v_mov_b32_e32 v52, v11
	;; [unrolled: 1-line block ×5, first 2 shown]
                                        ; implicit-def: $vgpr2
                                        ; implicit-def: $vgpr2
	;; [unrolled: 1-line block ×3, first 2 shown]
.LBB67_12:                              ; =>This Inner Loop Header: Depth=1
	s_mul_hi_i32 s7, s2, s14
	s_mul_i32 s6, s2, s14
	s_lshl_b64 s[6:7], s[6:7], 2
	s_add_u32 s6, s15, s6
	s_addc_u32 s7, s20, s7
	v_lshl_add_u64 v[0:1], v[12:13], 2, s[6:7]
	v_lshl_add_u64 v[4:5], v[16:17], 2, s[6:7]
	;; [unrolled: 1-line block ×7, first 2 shown]
	global_load_dwordx4 v[56:59], v[0:1], off
	global_load_dwordx4 v[60:63], v[2:3], off
	v_lshl_add_u64 v[6:7], v[6:7], 0, v[22:23]
	global_load_dwordx4 v[64:67], v[4:5], off
	global_load_dwordx4 v[68:71], v[6:7], off
	v_mov_b32_e32 v32, 0
	s_waitcnt vmcnt(3)
	ds_write_b128 v37, v[56:59]
	s_waitcnt vmcnt(2)
	ds_write_b128 v38, v[60:63]
	;; [unrolled: 2-line block ×4, first 2 shown]
	s_waitcnt lgkmcnt(0)
	s_barrier
	ds_read_b128 v[58:61], v41
	ds_read_b128 v[62:65], v36
	ds_read_b128 v[66:69], v41 offset:8704
	s_waitcnt lgkmcnt(1)
	;;#ASMSTART
	v_dot2_f32_f16 v32, v58, v62, v32
	;;#ASMEND
	s_nop 0
	;;#ASMSTART
	v_dot2_f32_f16 v32, v59, v63, v32
	;;#ASMEND
	v_mov_b32_e32 v56, 0
	;;#ASMSTART
	v_dot2_f32_f16 v32, v60, v64, v32
	;;#ASMEND
	s_nop 0
	;;#ASMSTART
	v_dot2_f32_f16 v32, v61, v65, v32
	;;#ASMEND
	s_waitcnt lgkmcnt(0)
	;;#ASMSTART
	v_dot2_f32_f16 v56, v66, v62, v56
	;;#ASMEND
	s_nop 0
	;;#ASMSTART
	v_dot2_f32_f16 v56, v67, v63, v56
	;;#ASMEND
	s_nop 0
	;;#ASMSTART
	v_dot2_f32_f16 v56, v68, v64, v56
	;;#ASMEND
	s_nop 0
	;;#ASMSTART
	v_dot2_f32_f16 v56, v69, v65, v56
	;;#ASMEND
	ds_read_b128 v[58:61], v41 offset:16
	ds_read_b128 v[62:65], v36 offset:16
	ds_read_b128 v[66:69], v41 offset:8720
	s_waitcnt lgkmcnt(1)
	;;#ASMSTART
	v_dot2_f32_f16 v32, v58, v62, v32
	;;#ASMEND
	s_nop 0
	;;#ASMSTART
	v_dot2_f32_f16 v32, v59, v63, v32
	;;#ASMEND
	s_nop 0
	;;#ASMSTART
	v_dot2_f32_f16 v32, v60, v64, v32
	;;#ASMEND
	s_nop 0
	;;#ASMSTART
	v_dot2_f32_f16 v32, v61, v65, v32
	;;#ASMEND
	s_waitcnt lgkmcnt(0)
	;;#ASMSTART
	v_dot2_f32_f16 v56, v66, v62, v56
	;;#ASMEND
	s_nop 0
	;;#ASMSTART
	v_dot2_f32_f16 v56, v67, v63, v56
	;;#ASMEND
	s_nop 0
	;;#ASMSTART
	v_dot2_f32_f16 v56, v68, v64, v56
	;;#ASMEND
	s_nop 0
	;;#ASMSTART
	v_dot2_f32_f16 v56, v69, v65, v56
	;;#ASMEND
	ds_read_b128 v[58:61], v41 offset:32
	ds_read_b128 v[62:65], v36 offset:32
	ds_read_b128 v[66:69], v41 offset:8736
	s_waitcnt lgkmcnt(1)
	;;#ASMSTART
	v_dot2_f32_f16 v32, v58, v62, v32
	;;#ASMEND
	s_nop 0
	;;#ASMSTART
	v_dot2_f32_f16 v32, v59, v63, v32
	;;#ASMEND
	s_nop 0
	;; [unrolled: 35-line block ×15, first 2 shown]
	;;#ASMSTART
	v_dot2_f32_f16 v32, v60, v64, v32
	;;#ASMEND
	s_nop 0
	;;#ASMSTART
	v_dot2_f32_f16 v32, v61, v65, v32
	;;#ASMEND
	s_waitcnt lgkmcnt(0)
	;;#ASMSTART
	v_dot2_f32_f16 v56, v66, v62, v56
	;;#ASMEND
	s_nop 0
	;;#ASMSTART
	v_dot2_f32_f16 v56, v67, v63, v56
	;;#ASMEND
	s_nop 0
	;; [unrolled: 4-line block ×3, first 2 shown]
	;;#ASMSTART
	v_dot2_f32_f16 v56, v69, v65, v56
	;;#ASMEND
	s_barrier
	global_load_dwordx4 v[58:61], v[0:1], off offset:256
	global_load_dwordx4 v[62:65], v[2:3], off offset:256
	;; [unrolled: 1-line block ×4, first 2 shown]
	s_waitcnt vmcnt(3)
	ds_write_b128 v37, v[58:61]
	s_waitcnt vmcnt(2)
	ds_write_b128 v38, v[62:65]
	s_waitcnt vmcnt(1)
	ds_write_b128 v39, v[66:69]
	s_waitcnt vmcnt(0)
	ds_write_b128 v40, v[70:73]
	s_waitcnt lgkmcnt(0)
	s_barrier
	ds_read_b128 v[0:3], v41
	ds_read_b128 v[4:7], v36 offset:256
	ds_read_b128 v[58:61], v41 offset:8704
	s_waitcnt lgkmcnt(1)
	;;#ASMSTART
	v_dot2_f32_f16 v32, v0, v4, v32
	;;#ASMEND
	s_nop 0
	;;#ASMSTART
	v_dot2_f32_f16 v32, v1, v5, v32
	;;#ASMEND
	s_nop 0
	;;#ASMSTART
	v_dot2_f32_f16 v32, v2, v6, v32
	;;#ASMEND
	s_nop 0
	;;#ASMSTART
	v_dot2_f32_f16 v32, v3, v7, v32
	;;#ASMEND
	s_waitcnt lgkmcnt(0)
	;;#ASMSTART
	v_dot2_f32_f16 v56, v58, v4, v56
	;;#ASMEND
	s_nop 0
	;;#ASMSTART
	v_dot2_f32_f16 v56, v59, v5, v56
	;;#ASMEND
	s_nop 0
	;;#ASMSTART
	v_dot2_f32_f16 v56, v60, v6, v56
	;;#ASMEND
	s_nop 0
	;;#ASMSTART
	v_dot2_f32_f16 v56, v61, v7, v56
	;;#ASMEND
	ds_read_b128 v[0:3], v41 offset:16
	ds_read_b128 v[4:7], v36 offset:272
	ds_read_b128 v[58:61], v41 offset:8720
	s_waitcnt lgkmcnt(1)
	;;#ASMSTART
	v_dot2_f32_f16 v32, v0, v4, v32
	;;#ASMEND
	s_nop 0
	;;#ASMSTART
	v_dot2_f32_f16 v32, v1, v5, v32
	;;#ASMEND
	s_nop 0
	;;#ASMSTART
	v_dot2_f32_f16 v32, v2, v6, v32
	;;#ASMEND
	s_nop 0
	;;#ASMSTART
	v_dot2_f32_f16 v32, v3, v7, v32
	;;#ASMEND
	s_waitcnt lgkmcnt(0)
	;;#ASMSTART
	v_dot2_f32_f16 v56, v58, v4, v56
	;;#ASMEND
	s_nop 0
	;;#ASMSTART
	v_dot2_f32_f16 v56, v59, v5, v56
	;;#ASMEND
	s_nop 0
	;;#ASMSTART
	v_dot2_f32_f16 v56, v60, v6, v56
	;;#ASMEND
	s_nop 0
	;;#ASMSTART
	v_dot2_f32_f16 v56, v61, v7, v56
	;;#ASMEND
	ds_read_b128 v[0:3], v41 offset:32
	;; [unrolled: 35-line block ×15, first 2 shown]
	ds_read_b128 v[4:7], v36 offset:496
	ds_read_b128 v[58:61], v41 offset:8944
	s_waitcnt lgkmcnt(1)
	;;#ASMSTART
	v_dot2_f32_f16 v32, v0, v4, v32
	;;#ASMEND
	s_nop 0
	;;#ASMSTART
	v_dot2_f32_f16 v32, v1, v5, v32
	;;#ASMEND
	s_nop 0
	;; [unrolled: 4-line block ×3, first 2 shown]
	;;#ASMSTART
	v_dot2_f32_f16 v32, v3, v7, v32
	;;#ASMEND
	s_waitcnt lgkmcnt(0)
	;;#ASMSTART
	v_dot2_f32_f16 v56, v58, v4, v56
	;;#ASMEND
                                        ; implicit-def: $vgpr3
	s_nop 0
	;;#ASMSTART
	v_dot2_f32_f16 v56, v59, v5, v56
	;;#ASMEND
	v_cmp_nlt_f32_e64 s[6:7], |v32|, s21
	;;#ASMSTART
	v_dot2_f32_f16 v56, v60, v6, v56
	;;#ASMEND
	s_nop 0
	;;#ASMSTART
	v_dot2_f32_f16 v56, v61, v7, v56
	;;#ASMEND
	s_and_saveexec_b64 s[36:37], s[6:7]
	s_xor_b64 s[6:7], exec, s[36:37]
	s_cbranch_execz .LBB67_14
; %bb.13:                               ;   in Loop: Header=BB67_12 Depth=1
	v_add_f32_e64 v0, |v32|, |v32|
	v_mul_f32_e32 v1, 0x3fb8aa3b, v0
	v_rndne_f32_e32 v2, v1
	v_sub_f32_e32 v3, v1, v2
	v_fma_f32 v1, v0, s28, -v1
	v_fmac_f32_e32 v1, 0x32a5705f, v0
	v_add_f32_e32 v1, v3, v1
	v_cvt_i32_f32_e32 v2, v2
	v_exp_f32_e32 v1, v1
	v_cmp_ngt_f32_e32 vcc, s29, v0
	v_ldexp_f32 v1, v1, v2
	s_nop 0
	v_cndmask_b32_e32 v1, 0, v1, vcc
	v_cmp_nlt_f32_e32 vcc, s31, v0
	s_nop 1
	v_cndmask_b32_e32 v0, v49, v1, vcc
	v_add_f32_e32 v0, 1.0, v0
	v_rcp_f32_e32 v0, v0
	s_nop 0
	v_fma_f32 v3, v0, -2.0, 1.0
.LBB67_14:                              ;   in Loop: Header=BB67_12 Depth=1
	s_andn2_saveexec_b64 s[6:7], s[6:7]
; %bb.15:                               ;   in Loop: Header=BB67_12 Depth=1
	v_mul_f32_e32 v0, v32, v32
	v_fmamk_f32 v1, v0, 0xbbbac73d, v48
	v_fmaak_f32 v1, v0, v1, 0xbd5c1c4e
	v_fmaak_f32 v1, v0, v1, 0x3e088382
	;; [unrolled: 1-line block ×3, first 2 shown]
	v_mul_f32_e64 v1, |v32|, v1
	v_fma_f32 v3, v0, v1, |v32|
; %bb.16:                               ;   in Loop: Header=BB67_12 Depth=1
	s_or_b64 exec, exec, s[6:7]
	v_add_u32_e32 v0, s2, v20
	v_ashrrev_i32_e32 v1, 31, v0
	v_lshl_add_u64 v[0:1], v[0:1], 1, s[26:27]
	global_load_ushort v2, v[0:1], off
	v_cmp_nlt_f32_e64 s[6:7], |v56|, s21
                                        ; implicit-def: $vgpr4
	s_and_saveexec_b64 s[36:37], s[6:7]
	s_xor_b64 s[6:7], exec, s[36:37]
	s_cbranch_execz .LBB67_18
; %bb.17:                               ;   in Loop: Header=BB67_12 Depth=1
	v_add_f32_e64 v4, |v56|, |v56|
	v_mul_f32_e32 v5, 0x3fb8aa3b, v4
	v_rndne_f32_e32 v6, v5
	v_sub_f32_e32 v7, v5, v6
	v_fma_f32 v5, v4, s28, -v5
	v_fmac_f32_e32 v5, 0x32a5705f, v4
	v_add_f32_e32 v5, v7, v5
	v_cvt_i32_f32_e32 v6, v6
	v_exp_f32_e32 v5, v5
	v_cmp_ngt_f32_e32 vcc, s29, v4
	v_ldexp_f32 v5, v5, v6
	s_nop 0
	v_cndmask_b32_e32 v5, 0, v5, vcc
	v_cmp_nlt_f32_e32 vcc, s31, v4
	s_nop 1
	v_cndmask_b32_e32 v4, v49, v5, vcc
	v_add_f32_e32 v4, 1.0, v4
	v_rcp_f32_e32 v4, v4
	s_nop 0
	v_fma_f32 v4, v4, -2.0, 1.0
.LBB67_18:                              ;   in Loop: Header=BB67_12 Depth=1
	s_andn2_saveexec_b64 s[6:7], s[6:7]
; %bb.19:                               ;   in Loop: Header=BB67_12 Depth=1
	v_mul_f32_e32 v4, v56, v56
	v_fmamk_f32 v5, v4, 0xbbbac73d, v48
	v_fmaak_f32 v5, v4, v5, 0xbd5c1c4e
	v_fmaak_f32 v5, v4, v5, 0x3e088382
	;; [unrolled: 1-line block ×3, first 2 shown]
	v_mul_f32_e64 v5, |v56|, v5
	v_fma_f32 v4, v4, v5, |v56|
; %bb.20:                               ;   in Loop: Header=BB67_12 Depth=1
	s_or_b64 exec, exec, s[6:7]
	global_load_ushort v64, v[0:1], off offset:64
	v_and_b32_e32 v1, 0x60, v21
	v_bfi_b32 v0, s33, v3, v32
	v_xor_b32_e32 v57, 8, v21
	v_bfi_b32 v32, s33, v4, v56
	s_mul_hi_i32 s7, s2, s11
	s_mul_i32 s6, s2, s11
	v_add_u32_e32 v56, 32, v1
	v_xor_b32_e32 v58, 16, v21
	s_lshl_b64 s[6:7], s[6:7], 2
	v_cmp_lt_i32_e32 vcc, v57, v56
	s_waitcnt vmcnt(1)
	v_fma_mix_f32 v74, s10, v0, v2 op_sel_hi:[0,0,1]
	s_add_u32 s6, s8, s6
	v_cndmask_b32_e32 v0, v21, v57, vcc
	v_cmp_lt_i32_e32 vcc, v58, v56
	s_addc_u32 s7, s9, s7
	v_lshlrev_b32_e32 v67, 2, v0
	v_cndmask_b32_e32 v1, v21, v58, vcc
	v_lshlrev_b32_e32 v66, 2, v1
	v_lshl_add_u64 v[0:1], s[6:7], 0, v[24:25]
	v_add_f32_e32 v65, 0x40051340, v74
	v_lshl_add_u64 v[60:61], v[0:1], 0, v[10:11]
	v_lshl_add_u64 v[2:3], s[6:7], 0, v[26:27]
	;; [unrolled: 1-line block ×4, first 2 shown]
	s_barrier
	v_lshl_add_u64 v[62:63], v[2:3], 0, v[10:11]
	v_lshl_add_u64 v[70:71], v[4:5], 0, v[10:11]
	;; [unrolled: 1-line block ×3, first 2 shown]
	v_xor_b32_e32 v59, 4, v21
	v_cmp_lt_i32_e32 vcc, v59, v56
	v_add_u32_e32 v105, 0x800, v33
	v_add_u32_e32 v106, 0x1000, v33
	;; [unrolled: 1-line block ×6, first 2 shown]
	s_or_b32 s6, s2, 32
	s_mul_hi_i32 s7, s6, s11
	s_mul_i32 s6, s6, s11
	s_lshl_b64 s[6:7], s[6:7], 2
	s_add_u32 s6, s8, s6
	s_addc_u32 s7, s9, s7
	v_add_u32_e32 v114, 0x3800, v33
	s_waitcnt vmcnt(0)
	v_fma_mix_f32 v75, s10, v32, v64 op_sel_hi:[0,0,1]
	v_add_f32_e32 v0, 0x40051340, v75
	v_max3_f32 v32, v55, v65, v0
	ds_bpermute_b32 v64, v66, v32
	global_load_dwordx4 v[0:3], v[60:61], off
	global_load_dwordx4 v[4:7], v[62:63], off
	v_cndmask_b32_e32 v61, v21, v59, vcc
	v_lshlrev_b32_e32 v61, 2, v61
	s_waitcnt lgkmcnt(0)
	v_max_f32_e32 v60, v64, v64
	v_max_f32_e32 v32, v32, v60
	ds_bpermute_b32 v60, v67, v32
	global_load_dwordx4 v[62:65], v[70:71], off
	global_load_dwordx4 v[66:69], v[72:73], off
	s_waitcnt lgkmcnt(0)
	v_max_f32_e32 v60, v60, v60
	v_max_f32_e32 v32, v32, v60
	ds_bpermute_b32 v61, v61, v32
	v_xor_b32_e32 v60, 2, v21
	v_cmp_lt_i32_e32 vcc, v60, v56
	s_waitcnt lgkmcnt(0)
	v_max_f32_e32 v61, v61, v61
	v_cndmask_b32_e32 v70, v21, v60, vcc
	v_lshlrev_b32_e32 v70, 2, v70
	v_max_f32_e32 v32, v32, v61
	ds_bpermute_b32 v70, v70, v32
	v_xor_b32_e32 v61, 1, v21
	v_cmp_lt_i32_e32 vcc, v61, v56
	s_waitcnt lgkmcnt(0)
	v_max_f32_e32 v70, v70, v70
	v_cndmask_b32_e32 v71, v21, v61, vcc
	v_lshlrev_b32_e32 v71, 2, v71
	v_max_f32_e32 v32, v32, v70
	ds_bpermute_b32 v70, v71, v32
	s_waitcnt lgkmcnt(0)
	v_max_f32_e32 v70, v70, v70
	v_max_f32_e32 v32, v32, v70
	v_sub_f32_e32 v70, v74, v32
	v_sub_f32_e32 v71, v75, v32
	v_mul_f32_e32 v72, 0x3fb8aa3b, v70
	v_sub_f32_e32 v55, v55, v32
	v_mul_f32_e32 v73, 0x3fb8aa3b, v71
	v_fma_f32 v75, v70, s28, -v72
	v_rndne_f32_e32 v76, v72
	v_mul_f32_e32 v74, 0x3fb8aa3b, v55
	v_fma_f32 v77, v71, s28, -v73
	v_rndne_f32_e32 v78, v73
	v_fmac_f32_e32 v75, 0x32a5705f, v70
	v_sub_f32_e32 v72, v72, v76
	v_fma_f32 v79, v55, s28, -v74
	v_rndne_f32_e32 v80, v74
	v_fmac_f32_e32 v77, 0x32a5705f, v71
	v_sub_f32_e32 v73, v73, v78
	v_add_f32_e32 v72, v72, v75
	v_cvt_i32_f32_e32 v76, v76
	v_fmac_f32_e32 v79, 0x32a5705f, v55
	v_sub_f32_e32 v74, v74, v80
	v_add_f32_e32 v73, v73, v77
	v_exp_f32_e32 v72, v72
	v_cvt_i32_f32_e32 v78, v78
	v_add_f32_e32 v74, v74, v79
	v_exp_f32_e32 v73, v73
	v_cvt_i32_f32_e32 v80, v80
	v_exp_f32_e32 v74, v74
	v_ldexp_f32 v72, v72, v76
	v_cmp_ngt_f32_e32 vcc, s29, v70
	v_ldexp_f32 v73, v73, v78
	v_ldexp_f32 v74, v74, v80
	v_cndmask_b32_e32 v72, 0, v72, vcc
	v_cmp_ngt_f32_e32 vcc, s29, v71
	s_nop 1
	v_cndmask_b32_e32 v73, 0, v73, vcc
	v_cmp_ngt_f32_e32 vcc, s29, v55
	s_nop 1
	v_cndmask_b32_e32 v74, 0, v74, vcc
	v_cmp_nlt_f32_e32 vcc, s31, v70
	s_nop 1
	v_cndmask_b32_e32 v102, v49, v72, vcc
	v_cmp_nlt_f32_e32 vcc, s31, v71
	v_cvt_f16_f32_e32 v70, v102
	s_nop 0
	v_cndmask_b32_e32 v103, v49, v73, vcc
	v_cmp_nlt_f32_e32 vcc, s31, v55
	v_cvt_f16_f32_e32 v71, v103
	ds_write_b16 v43, v70
	ds_write_b16 v43, v71 offset:64
	s_waitcnt vmcnt(3)
	ds_write_b128 v44, v[0:3]
	s_waitcnt vmcnt(2)
	ds_write_b128 v45, v[4:7]
	;; [unrolled: 2-line block ×4, first 2 shown]
	v_cndmask_b32_e32 v104, v49, v74, vcc
	v_cvt_f16_f32_e32 v55, v104
	s_waitcnt lgkmcnt(0)
	s_barrier
	ds_read2_b64 v[62:65], v33 offset1:32
	ds_read_b128 v[66:69], v42
	ds_read_b128 v[70:73], v42 offset:16
	ds_read_b128 v[4:7], v42 offset:32
	ds_read_b128 v[0:3], v42 offset:48
	ds_read2_b64 v[74:77], v33 offset0:64 offset1:96
	ds_read2_b64 v[78:81], v33 offset0:128 offset1:160
	;; [unrolled: 1-line block ×3, first 2 shown]
	s_waitcnt lgkmcnt(6)
	v_mul_u32_u24_sdwa v86, v66, s34 dst_sel:DWORD dst_unused:UNUSED_PAD src0_sel:WORD_0 src1_sel:DWORD
	v_mul_u32_u24_e32 v55, 0x10001, v55
	v_pk_mul_f16 v62, v62, v86
	v_pk_mul_f16 v52, v52, v55
	v_mul_u32_u24_sdwa v66, v66, s34 dst_sel:DWORD dst_unused:UNUSED_PAD src0_sel:WORD_1 src1_sel:DWORD
	v_pk_mul_f16 v63, v63, v86
	v_pk_fma_f16 v54, v54, v55, v62
	v_mul_u32_u24_sdwa v87, v67, s34 dst_sel:DWORD dst_unused:UNUSED_PAD src0_sel:WORD_0 src1_sel:DWORD
	v_pk_fma_f16 v52, v64, v86, v52
	v_pk_fma_f16 v53, v53, v55, v63
	s_waitcnt lgkmcnt(2)
	v_pk_fma_f16 v54, v74, v66, v54
	v_pk_mul_f16 v51, v51, v55
	v_pk_fma_f16 v52, v76, v66, v52
	v_pk_fma_f16 v53, v75, v66, v53
	s_waitcnt lgkmcnt(1)
	v_pk_fma_f16 v54, v78, v87, v54
	v_mul_u32_u24_sdwa v64, v67, s34 dst_sel:DWORD dst_unused:UNUSED_PAD src0_sel:WORD_1 src1_sel:DWORD
	v_pk_fma_f16 v51, v65, v86, v51
	v_pk_fma_f16 v62, v79, v87, v53
	;; [unrolled: 1-line block ×3, first 2 shown]
	s_waitcnt lgkmcnt(0)
	v_pk_fma_f16 v65, v82, v64, v54
	ds_read2_b64 v[52:55], v105 offset1:32
	v_pk_fma_f16 v51, v77, v66, v51
	v_mul_u32_u24_sdwa v74, v68, s34 dst_sel:DWORD dst_unused:UNUSED_PAD src0_sel:WORD_0 src1_sel:DWORD
	v_pk_fma_f16 v51, v81, v87, v51
	v_pk_fma_f16 v66, v83, v64, v62
	;; [unrolled: 1-line block ×4, first 2 shown]
	s_waitcnt lgkmcnt(0)
	v_pk_fma_f16 v52, v52, v74, v65
	ds_read2_b64 v[62:65], v105 offset0:64 offset1:96
	v_mul_u32_u24_sdwa v68, v68, s34 dst_sel:DWORD dst_unused:UNUSED_PAD src0_sel:WORD_1 src1_sel:DWORD
	v_pk_fma_f16 v66, v53, v74, v66
	v_pk_fma_f16 v67, v54, v74, v67
	;; [unrolled: 1-line block ×3, first 2 shown]
	s_waitcnt lgkmcnt(0)
	v_pk_fma_f16 v62, v62, v68, v52
	ds_read2_b64 v[52:55], v105 offset0:128 offset1:160
	v_pk_fma_f16 v66, v63, v68, v66
	v_pk_fma_f16 v67, v64, v68, v67
	;; [unrolled: 1-line block ×3, first 2 shown]
	v_mul_u32_u24_sdwa v68, v69, s34 dst_sel:DWORD dst_unused:UNUSED_PAD src0_sel:WORD_0 src1_sel:DWORD
	s_waitcnt lgkmcnt(0)
	v_pk_fma_f16 v52, v52, v68, v62
	ds_read2_b64 v[62:65], v105 offset0:192 offset1:224
	v_pk_fma_f16 v66, v53, v68, v66
	v_pk_fma_f16 v67, v54, v68, v67
	;; [unrolled: 1-line block ×3, first 2 shown]
	v_mul_u32_u24_sdwa v68, v69, s34 dst_sel:DWORD dst_unused:UNUSED_PAD src0_sel:WORD_1 src1_sel:DWORD
	s_waitcnt lgkmcnt(0)
	v_pk_fma_f16 v62, v62, v68, v52
	ds_read2_b64 v[52:55], v106 offset1:32
	v_pk_fma_f16 v66, v63, v68, v66
	v_pk_fma_f16 v67, v64, v68, v67
	;; [unrolled: 1-line block ×3, first 2 shown]
	v_mul_u32_u24_sdwa v68, v70, s34 dst_sel:DWORD dst_unused:UNUSED_PAD src0_sel:WORD_0 src1_sel:DWORD
	s_waitcnt lgkmcnt(0)
	v_pk_fma_f16 v52, v52, v68, v62
	ds_read2_b64 v[62:65], v106 offset0:64 offset1:96
	v_pk_fma_f16 v66, v53, v68, v66
	v_pk_fma_f16 v67, v54, v68, v67
	;; [unrolled: 1-line block ×3, first 2 shown]
	v_mul_u32_u24_sdwa v68, v70, s34 dst_sel:DWORD dst_unused:UNUSED_PAD src0_sel:WORD_1 src1_sel:DWORD
	s_waitcnt lgkmcnt(0)
	v_pk_fma_f16 v62, v62, v68, v52
	ds_read2_b64 v[52:55], v106 offset0:128 offset1:160
	v_pk_fma_f16 v66, v63, v68, v66
	v_pk_fma_f16 v67, v64, v68, v67
	;; [unrolled: 1-line block ×3, first 2 shown]
	v_mul_u32_u24_sdwa v68, v71, s34 dst_sel:DWORD dst_unused:UNUSED_PAD src0_sel:WORD_0 src1_sel:DWORD
	s_waitcnt lgkmcnt(0)
	v_pk_fma_f16 v52, v52, v68, v62
	ds_read2_b64 v[62:65], v106 offset0:192 offset1:224
	v_pk_fma_f16 v66, v53, v68, v66
	v_pk_fma_f16 v67, v54, v68, v67
	;; [unrolled: 1-line block ×3, first 2 shown]
	v_mul_u32_u24_sdwa v68, v71, s34 dst_sel:DWORD dst_unused:UNUSED_PAD src0_sel:WORD_1 src1_sel:DWORD
	s_waitcnt lgkmcnt(0)
	v_pk_fma_f16 v62, v62, v68, v52
	ds_read2_b64 v[52:55], v107 offset1:32
	v_pk_fma_f16 v66, v63, v68, v66
	v_pk_fma_f16 v67, v64, v68, v67
	;; [unrolled: 1-line block ×3, first 2 shown]
	v_mul_u32_u24_sdwa v68, v72, s34 dst_sel:DWORD dst_unused:UNUSED_PAD src0_sel:WORD_0 src1_sel:DWORD
	s_waitcnt lgkmcnt(0)
	v_pk_fma_f16 v52, v52, v68, v62
	ds_read2_b64 v[62:65], v107 offset0:64 offset1:96
	v_pk_fma_f16 v66, v53, v68, v66
	v_pk_fma_f16 v67, v54, v68, v67
	;; [unrolled: 1-line block ×3, first 2 shown]
	v_mul_u32_u24_sdwa v68, v72, s34 dst_sel:DWORD dst_unused:UNUSED_PAD src0_sel:WORD_1 src1_sel:DWORD
	s_waitcnt lgkmcnt(0)
	v_pk_fma_f16 v62, v62, v68, v52
	ds_read2_b64 v[52:55], v107 offset0:128 offset1:160
	v_pk_fma_f16 v66, v63, v68, v66
	v_pk_fma_f16 v67, v64, v68, v67
	;; [unrolled: 1-line block ×3, first 2 shown]
	v_mul_u32_u24_sdwa v68, v73, s34 dst_sel:DWORD dst_unused:UNUSED_PAD src0_sel:WORD_0 src1_sel:DWORD
	s_waitcnt lgkmcnt(0)
	v_pk_fma_f16 v52, v52, v68, v62
	ds_read2_b64 v[62:65], v107 offset0:192 offset1:224
	v_pk_fma_f16 v66, v53, v68, v66
	v_pk_fma_f16 v67, v54, v68, v67
	v_pk_fma_f16 v51, v55, v68, v51
	v_mul_u32_u24_sdwa v68, v73, s34 dst_sel:DWORD dst_unused:UNUSED_PAD src0_sel:WORD_1 src1_sel:DWORD
	s_waitcnt lgkmcnt(0)
	v_pk_fma_f16 v62, v62, v68, v52
	ds_read2_b64 v[52:55], v108 offset1:32
	v_pk_fma_f16 v66, v63, v68, v66
	v_pk_fma_f16 v67, v64, v68, v67
	;; [unrolled: 1-line block ×3, first 2 shown]
	v_mul_u32_u24_sdwa v68, v4, s34 dst_sel:DWORD dst_unused:UNUSED_PAD src0_sel:WORD_0 src1_sel:DWORD
	s_waitcnt lgkmcnt(0)
	v_pk_fma_f16 v52, v52, v68, v62
	ds_read2_b64 v[62:65], v108 offset0:64 offset1:96
	v_mul_u32_u24_sdwa v4, v4, s34 dst_sel:DWORD dst_unused:UNUSED_PAD src0_sel:WORD_1 src1_sel:DWORD
	v_pk_fma_f16 v66, v53, v68, v66
	v_pk_fma_f16 v67, v54, v68, v67
	;; [unrolled: 1-line block ×3, first 2 shown]
	s_waitcnt lgkmcnt(0)
	v_pk_fma_f16 v62, v62, v4, v52
	ds_read2_b64 v[52:55], v108 offset0:128 offset1:160
	v_pk_fma_f16 v66, v63, v4, v66
	v_pk_fma_f16 v67, v64, v4, v67
	;; [unrolled: 1-line block ×3, first 2 shown]
	v_mul_u32_u24_sdwa v51, v5, s34 dst_sel:DWORD dst_unused:UNUSED_PAD src0_sel:WORD_0 src1_sel:DWORD
	s_waitcnt lgkmcnt(0)
	v_pk_fma_f16 v52, v52, v51, v62
	ds_read2_b64 v[62:65], v108 offset0:192 offset1:224
	v_mul_u32_u24_sdwa v5, v5, s34 dst_sel:DWORD dst_unused:UNUSED_PAD src0_sel:WORD_1 src1_sel:DWORD
	v_pk_fma_f16 v66, v53, v51, v66
	v_pk_fma_f16 v67, v54, v51, v67
	;; [unrolled: 1-line block ×3, first 2 shown]
	s_waitcnt lgkmcnt(0)
	v_pk_fma_f16 v51, v62, v5, v52
	ds_read2_b64 v[52:55], v109 offset1:32
	v_pk_fma_f16 v66, v63, v5, v66
	v_pk_fma_f16 v67, v64, v5, v67
	;; [unrolled: 1-line block ×3, first 2 shown]
	ds_read2_b64 v[62:65], v109 offset0:64 offset1:96
	v_mul_u32_u24_sdwa v5, v6, s34 dst_sel:DWORD dst_unused:UNUSED_PAD src0_sel:WORD_0 src1_sel:DWORD
	s_waitcnt lgkmcnt(1)
	v_pk_fma_f16 v51, v52, v5, v51
	v_pk_fma_f16 v66, v53, v5, v66
	;; [unrolled: 1-line block ×4, first 2 shown]
	v_mul_u32_u24_sdwa v5, v6, s34 dst_sel:DWORD dst_unused:UNUSED_PAD src0_sel:WORD_1 src1_sel:DWORD
	ds_read2_b64 v[52:55], v109 offset0:128 offset1:160
	s_waitcnt lgkmcnt(1)
	v_pk_fma_f16 v6, v62, v5, v51
	v_pk_fma_f16 v51, v63, v5, v66
	;; [unrolled: 1-line block ×4, first 2 shown]
	ds_read2_b64 v[62:65], v109 offset0:192 offset1:224
	v_mul_u32_u24_sdwa v5, v7, s34 dst_sel:DWORD dst_unused:UNUSED_PAD src0_sel:WORD_0 src1_sel:DWORD
	s_waitcnt lgkmcnt(1)
	v_pk_fma_f16 v6, v52, v5, v6
	v_pk_fma_f16 v52, v54, v5, v66
	v_mul_u32_u24_sdwa v54, v7, s34 dst_sel:DWORD dst_unused:UNUSED_PAD src0_sel:WORD_1 src1_sel:DWORD
	v_pk_fma_f16 v51, v53, v5, v51
	v_pk_fma_f16 v53, v55, v5, v4
	s_waitcnt lgkmcnt(0)
	v_pk_fma_f16 v55, v62, v54, v6
	ds_read2_b64 v[4:7], v110 offset1:32
	v_pk_fma_f16 v51, v63, v54, v51
	v_pk_fma_f16 v62, v64, v54, v52
	;; [unrolled: 1-line block ×3, first 2 shown]
	v_mul_u32_u24_sdwa v64, v0, s34 dst_sel:DWORD dst_unused:UNUSED_PAD src0_sel:WORD_0 src1_sel:DWORD
	s_waitcnt lgkmcnt(0)
	v_pk_fma_f16 v112, v6, v64, v62
	v_pk_fma_f16 v113, v7, v64, v63
	v_lshl_add_u64 v[62:63], s[6:7], 0, v[24:25]
	v_lshl_add_u64 v[62:63], v[62:63], 0, v[10:11]
	;; [unrolled: 1-line block ×3, first 2 shown]
	v_pk_fma_f16 v111, v4, v64, v55
	ds_read2_b64 v[52:55], v110 offset0:64 offset1:96
	v_pk_fma_f16 v51, v5, v64, v51
	ds_read2_b64 v[4:7], v110 offset0:128 offset1:160
	ds_read2_b64 v[64:67], v110 offset0:192 offset1:224
	ds_read2_b64 v[68:71], v114 offset1:32
	ds_read2_b64 v[72:75], v114 offset0:64 offset1:96
	ds_read2_b64 v[76:79], v114 offset0:128 offset1:160
	;; [unrolled: 1-line block ×3, first 2 shown]
	s_waitcnt lgkmcnt(0)
	s_barrier
	v_lshl_add_u64 v[92:93], v[84:85], 0, v[10:11]
	global_load_dwordx4 v[84:87], v[62:63], off
	global_load_dwordx4 v[88:91], v[92:93], off
	v_lshl_add_u64 v[62:63], s[6:7], 0, v[28:29]
	v_lshl_add_u64 v[62:63], v[62:63], 0, v[10:11]
	;; [unrolled: 1-line block ×4, first 2 shown]
	global_load_dwordx4 v[92:95], v[62:63], off
	global_load_dwordx4 v[96:99], v[100:101], off
	v_mul_u32_u24_sdwa v0, v0, s34 dst_sel:DWORD dst_unused:UNUSED_PAD src0_sel:WORD_1 src1_sel:DWORD
	v_pk_fma_f16 v52, v52, v0, v111
	v_pk_fma_f16 v51, v53, v0, v51
	;; [unrolled: 1-line block ×4, first 2 shown]
	v_mul_u32_u24_sdwa v54, v1, s34 dst_sel:DWORD dst_unused:UNUSED_PAD src0_sel:WORD_0 src1_sel:DWORD
	v_pk_fma_f16 v4, v4, v54, v52
	v_pk_fma_f16 v5, v5, v54, v51
	;; [unrolled: 1-line block ×4, first 2 shown]
	v_mul_u32_u24_sdwa v1, v1, s34 dst_sel:DWORD dst_unused:UNUSED_PAD src0_sel:WORD_1 src1_sel:DWORD
	v_pk_fma_f16 v4, v64, v1, v4
	v_pk_fma_f16 v5, v65, v1, v5
	;; [unrolled: 1-line block ×4, first 2 shown]
	v_mul_u32_u24_sdwa v1, v2, s34 dst_sel:DWORD dst_unused:UNUSED_PAD src0_sel:WORD_0 src1_sel:DWORD
	v_pk_fma_f16 v4, v68, v1, v4
	v_pk_fma_f16 v5, v69, v1, v5
	;; [unrolled: 1-line block ×4, first 2 shown]
	v_mul_u32_u24_sdwa v1, v2, s34 dst_sel:DWORD dst_unused:UNUSED_PAD src0_sel:WORD_1 src1_sel:DWORD
	v_pk_fma_f16 v2, v72, v1, v4
	v_pk_fma_f16 v4, v73, v1, v5
	;; [unrolled: 1-line block ×4, first 2 shown]
	v_mul_u32_u24_sdwa v1, v3, s34 dst_sel:DWORD dst_unused:UNUSED_PAD src0_sel:WORD_0 src1_sel:DWORD
	v_add_f32_e32 v62, v102, v103
	v_pk_fma_f16 v2, v76, v1, v2
	v_pk_fma_f16 v4, v77, v1, v4
	;; [unrolled: 1-line block ×4, first 2 shown]
	v_mul_u32_u24_sdwa v1, v3, s34 dst_sel:DWORD dst_unused:UNUSED_PAD src0_sel:WORD_1 src1_sel:DWORD
	v_fmac_f32_e32 v62, v50, v104
	v_pk_fma_f16 v54, v80, v1, v2
	v_pk_fma_f16 v55, v81, v1, v4
	v_pk_fma_f16 v63, v82, v1, v5
	v_pk_fma_f16 v76, v83, v1, v0
	s_waitcnt vmcnt(3)
	ds_write_b128 v44, v[84:87]
	s_waitcnt vmcnt(2)
	ds_write_b128 v45, v[88:91]
	;; [unrolled: 2-line block ×4, first 2 shown]
	s_waitcnt lgkmcnt(0)
	s_barrier
	ds_read_b128 v[50:53], v42 offset:64
	ds_read2_b64 v[64:67], v33 offset1:32
	ds_read_b128 v[68:71], v42 offset:80
	ds_read_b128 v[4:7], v42 offset:96
	;; [unrolled: 1-line block ×3, first 2 shown]
	ds_read2_b64 v[72:75], v33 offset0:64 offset1:96
	s_waitcnt lgkmcnt(5)
	v_mul_u32_u24_sdwa v77, v50, s34 dst_sel:DWORD dst_unused:UNUSED_PAD src0_sel:WORD_0 src1_sel:DWORD
	s_waitcnt lgkmcnt(4)
	v_pk_fma_f16 v54, v64, v77, v54
	v_pk_fma_f16 v55, v65, v77, v55
	;; [unrolled: 1-line block ×4, first 2 shown]
	v_mul_u32_u24_sdwa v50, v50, s34 dst_sel:DWORD dst_unused:UNUSED_PAD src0_sel:WORD_1 src1_sel:DWORD
	ds_read2_b64 v[64:67], v33 offset0:128 offset1:160
	s_waitcnt lgkmcnt(1)
	v_pk_fma_f16 v54, v72, v50, v54
	v_pk_fma_f16 v55, v73, v50, v55
	;; [unrolled: 1-line block ×4, first 2 shown]
	ds_read2_b64 v[72:75], v33 offset0:192 offset1:224
	v_mul_u32_u24_sdwa v76, v51, s34 dst_sel:DWORD dst_unused:UNUSED_PAD src0_sel:WORD_0 src1_sel:DWORD
	s_waitcnt lgkmcnt(1)
	v_pk_fma_f16 v54, v64, v76, v54
	v_pk_fma_f16 v55, v65, v76, v55
	;; [unrolled: 1-line block ×4, first 2 shown]
	v_mul_u32_u24_sdwa v51, v51, s34 dst_sel:DWORD dst_unused:UNUSED_PAD src0_sel:WORD_1 src1_sel:DWORD
	ds_read2_b64 v[64:67], v105 offset1:32
	s_waitcnt lgkmcnt(1)
	v_pk_fma_f16 v54, v72, v51, v54
	v_pk_fma_f16 v55, v73, v51, v55
	;; [unrolled: 1-line block ×4, first 2 shown]
	ds_read2_b64 v[72:75], v105 offset0:64 offset1:96
	v_mul_u32_u24_sdwa v51, v52, s34 dst_sel:DWORD dst_unused:UNUSED_PAD src0_sel:WORD_0 src1_sel:DWORD
	s_waitcnt lgkmcnt(1)
	v_pk_fma_f16 v54, v64, v51, v54
	v_pk_fma_f16 v55, v65, v51, v55
	;; [unrolled: 1-line block ×4, first 2 shown]
	v_mul_u32_u24_sdwa v51, v52, s34 dst_sel:DWORD dst_unused:UNUSED_PAD src0_sel:WORD_1 src1_sel:DWORD
	ds_read2_b64 v[64:67], v105 offset0:128 offset1:160
	s_waitcnt lgkmcnt(1)
	v_pk_fma_f16 v52, v72, v51, v54
	v_pk_fma_f16 v54, v73, v51, v55
	;; [unrolled: 1-line block ×4, first 2 shown]
	ds_read2_b64 v[72:75], v105 offset0:192 offset1:224
	v_mul_u32_u24_sdwa v51, v53, s34 dst_sel:DWORD dst_unused:UNUSED_PAD src0_sel:WORD_0 src1_sel:DWORD
	s_waitcnt lgkmcnt(1)
	v_pk_fma_f16 v52, v64, v51, v52
	v_mul_u32_u24_sdwa v64, v53, s34 dst_sel:DWORD dst_unused:UNUSED_PAD src0_sel:WORD_1 src1_sel:DWORD
	v_pk_fma_f16 v54, v65, v51, v54
	v_pk_fma_f16 v55, v66, v51, v55
	;; [unrolled: 1-line block ×3, first 2 shown]
	s_waitcnt lgkmcnt(0)
	v_pk_fma_f16 v65, v72, v64, v52
	ds_read2_b64 v[50:53], v106 offset1:32
	v_mul_u32_u24_sdwa v72, v68, s34 dst_sel:DWORD dst_unused:UNUSED_PAD src0_sel:WORD_0 src1_sel:DWORD
	v_pk_fma_f16 v54, v73, v64, v54
	v_pk_fma_f16 v55, v74, v64, v55
	v_pk_fma_f16 v63, v75, v64, v63
	s_waitcnt lgkmcnt(0)
	v_pk_fma_f16 v50, v50, v72, v65
	ds_read2_b64 v[64:67], v106 offset0:64 offset1:96
	v_mul_u32_u24_sdwa v68, v68, s34 dst_sel:DWORD dst_unused:UNUSED_PAD src0_sel:WORD_1 src1_sel:DWORD
	v_pk_fma_f16 v54, v51, v72, v54
	v_pk_fma_f16 v55, v52, v72, v55
	;; [unrolled: 1-line block ×3, first 2 shown]
	s_waitcnt lgkmcnt(0)
	v_pk_fma_f16 v64, v64, v68, v50
	ds_read2_b64 v[50:53], v106 offset0:128 offset1:160
	v_pk_fma_f16 v54, v65, v68, v54
	v_pk_fma_f16 v55, v66, v68, v55
	;; [unrolled: 1-line block ×3, first 2 shown]
	v_mul_u32_u24_sdwa v68, v69, s34 dst_sel:DWORD dst_unused:UNUSED_PAD src0_sel:WORD_0 src1_sel:DWORD
	s_waitcnt lgkmcnt(0)
	v_pk_fma_f16 v50, v50, v68, v64
	ds_read2_b64 v[64:67], v106 offset0:192 offset1:224
	v_pk_fma_f16 v54, v51, v68, v54
	v_pk_fma_f16 v55, v52, v68, v55
	v_pk_fma_f16 v63, v53, v68, v63
	v_mul_u32_u24_sdwa v68, v69, s34 dst_sel:DWORD dst_unused:UNUSED_PAD src0_sel:WORD_1 src1_sel:DWORD
	s_waitcnt lgkmcnt(0)
	v_pk_fma_f16 v64, v64, v68, v50
	ds_read2_b64 v[50:53], v107 offset1:32
	v_pk_fma_f16 v54, v65, v68, v54
	v_pk_fma_f16 v55, v66, v68, v55
	;; [unrolled: 1-line block ×3, first 2 shown]
	v_mul_u32_u24_sdwa v68, v70, s34 dst_sel:DWORD dst_unused:UNUSED_PAD src0_sel:WORD_0 src1_sel:DWORD
	s_waitcnt lgkmcnt(0)
	v_pk_fma_f16 v50, v50, v68, v64
	ds_read2_b64 v[64:67], v107 offset0:64 offset1:96
	v_pk_fma_f16 v54, v51, v68, v54
	v_pk_fma_f16 v55, v52, v68, v55
	;; [unrolled: 1-line block ×3, first 2 shown]
	v_mul_u32_u24_sdwa v68, v70, s34 dst_sel:DWORD dst_unused:UNUSED_PAD src0_sel:WORD_1 src1_sel:DWORD
	s_waitcnt lgkmcnt(0)
	v_pk_fma_f16 v64, v64, v68, v50
	ds_read2_b64 v[50:53], v107 offset0:128 offset1:160
	v_pk_fma_f16 v54, v65, v68, v54
	v_pk_fma_f16 v55, v66, v68, v55
	;; [unrolled: 1-line block ×3, first 2 shown]
	v_mul_u32_u24_sdwa v68, v71, s34 dst_sel:DWORD dst_unused:UNUSED_PAD src0_sel:WORD_0 src1_sel:DWORD
	s_waitcnt lgkmcnt(0)
	v_pk_fma_f16 v50, v50, v68, v64
	ds_read2_b64 v[64:67], v107 offset0:192 offset1:224
	v_pk_fma_f16 v54, v51, v68, v54
	v_pk_fma_f16 v55, v52, v68, v55
	;; [unrolled: 1-line block ×3, first 2 shown]
	v_mul_u32_u24_sdwa v68, v71, s34 dst_sel:DWORD dst_unused:UNUSED_PAD src0_sel:WORD_1 src1_sel:DWORD
	s_waitcnt lgkmcnt(0)
	v_pk_fma_f16 v64, v64, v68, v50
	ds_read2_b64 v[50:53], v108 offset1:32
	v_pk_fma_f16 v54, v65, v68, v54
	v_pk_fma_f16 v55, v66, v68, v55
	;; [unrolled: 1-line block ×3, first 2 shown]
	v_mul_u32_u24_sdwa v68, v4, s34 dst_sel:DWORD dst_unused:UNUSED_PAD src0_sel:WORD_0 src1_sel:DWORD
	s_waitcnt lgkmcnt(0)
	v_pk_fma_f16 v50, v50, v68, v64
	ds_read2_b64 v[64:67], v108 offset0:64 offset1:96
	v_mul_u32_u24_sdwa v4, v4, s34 dst_sel:DWORD dst_unused:UNUSED_PAD src0_sel:WORD_1 src1_sel:DWORD
	v_pk_fma_f16 v54, v51, v68, v54
	v_pk_fma_f16 v55, v52, v68, v55
	;; [unrolled: 1-line block ×3, first 2 shown]
	s_waitcnt lgkmcnt(0)
	v_pk_fma_f16 v64, v64, v4, v50
	ds_read2_b64 v[50:53], v108 offset0:128 offset1:160
	v_pk_fma_f16 v54, v65, v4, v54
	v_pk_fma_f16 v55, v66, v4, v55
	;; [unrolled: 1-line block ×3, first 2 shown]
	v_mul_u32_u24_sdwa v63, v5, s34 dst_sel:DWORD dst_unused:UNUSED_PAD src0_sel:WORD_0 src1_sel:DWORD
	s_waitcnt lgkmcnt(0)
	v_pk_fma_f16 v50, v50, v63, v64
	ds_read2_b64 v[64:67], v108 offset0:192 offset1:224
	v_mul_u32_u24_sdwa v5, v5, s34 dst_sel:DWORD dst_unused:UNUSED_PAD src0_sel:WORD_1 src1_sel:DWORD
	v_pk_fma_f16 v54, v51, v63, v54
	v_pk_fma_f16 v55, v52, v63, v55
	;; [unrolled: 1-line block ×3, first 2 shown]
	s_waitcnt lgkmcnt(0)
	v_pk_fma_f16 v63, v64, v5, v50
	ds_read2_b64 v[50:53], v109 offset1:32
	v_pk_fma_f16 v54, v65, v5, v54
	v_pk_fma_f16 v55, v66, v5, v55
	;; [unrolled: 1-line block ×3, first 2 shown]
	ds_read2_b64 v[64:67], v109 offset0:64 offset1:96
	v_mul_u32_u24_sdwa v5, v6, s34 dst_sel:DWORD dst_unused:UNUSED_PAD src0_sel:WORD_0 src1_sel:DWORD
	s_waitcnt lgkmcnt(1)
	v_pk_fma_f16 v50, v50, v5, v63
	v_pk_fma_f16 v54, v51, v5, v54
	;; [unrolled: 1-line block ×4, first 2 shown]
	v_mul_u32_u24_sdwa v5, v6, s34 dst_sel:DWORD dst_unused:UNUSED_PAD src0_sel:WORD_1 src1_sel:DWORD
	s_waitcnt lgkmcnt(0)
	v_pk_fma_f16 v6, v64, v5, v50
	ds_read2_b64 v[50:53], v109 offset0:128 offset1:160
	v_pk_fma_f16 v54, v65, v5, v54
	v_pk_fma_f16 v55, v66, v5, v55
	;; [unrolled: 1-line block ×3, first 2 shown]
	ds_read2_b64 v[64:67], v109 offset0:192 offset1:224
	v_mul_u32_u24_sdwa v5, v7, s34 dst_sel:DWORD dst_unused:UNUSED_PAD src0_sel:WORD_0 src1_sel:DWORD
	s_waitcnt lgkmcnt(1)
	v_pk_fma_f16 v6, v50, v5, v6
	v_pk_fma_f16 v50, v51, v5, v54
	;; [unrolled: 1-line block ×4, first 2 shown]
	v_mul_u32_u24_sdwa v53, v7, s34 dst_sel:DWORD dst_unused:UNUSED_PAD src0_sel:WORD_1 src1_sel:DWORD
	s_waitcnt lgkmcnt(0)
	v_pk_fma_f16 v54, v64, v53, v6
	ds_read2_b64 v[4:7], v110 offset1:32
	v_pk_fma_f16 v55, v65, v53, v50
	v_pk_fma_f16 v63, v66, v53, v51
	;; [unrolled: 1-line block ×3, first 2 shown]
	ds_read2_b64 v[50:53], v110 offset0:64 offset1:96
	v_mul_u32_u24_sdwa v65, v0, s34 dst_sel:DWORD dst_unused:UNUSED_PAD src0_sel:WORD_0 src1_sel:DWORD
	s_waitcnt lgkmcnt(1)
	v_pk_fma_f16 v4, v4, v65, v54
	v_mul_u32_u24_sdwa v0, v0, s34 dst_sel:DWORD dst_unused:UNUSED_PAD src0_sel:WORD_1 src1_sel:DWORD
	v_pk_fma_f16 v54, v5, v65, v55
	v_pk_fma_f16 v55, v6, v65, v63
	;; [unrolled: 1-line block ×3, first 2 shown]
	s_waitcnt lgkmcnt(0)
	v_pk_fma_f16 v50, v50, v0, v4
	ds_read2_b64 v[4:7], v110 offset0:128 offset1:160
	v_pk_fma_f16 v54, v51, v0, v54
	v_pk_fma_f16 v55, v52, v0, v55
	v_pk_fma_f16 v0, v53, v0, v63
	v_mul_u32_u24_sdwa v63, v1, s34 dst_sel:DWORD dst_unused:UNUSED_PAD src0_sel:WORD_0 src1_sel:DWORD
	s_waitcnt lgkmcnt(0)
	v_pk_fma_f16 v4, v4, v63, v50
	ds_read2_b64 v[50:53], v110 offset0:192 offset1:224
	v_mul_u32_u24_sdwa v1, v1, s34 dst_sel:DWORD dst_unused:UNUSED_PAD src0_sel:WORD_1 src1_sel:DWORD
	v_pk_fma_f16 v54, v5, v63, v54
	v_pk_fma_f16 v55, v6, v63, v55
	;; [unrolled: 1-line block ×3, first 2 shown]
	s_waitcnt lgkmcnt(0)
	v_pk_fma_f16 v50, v50, v1, v4
	ds_read2_b64 v[4:7], v114 offset1:32
	v_pk_fma_f16 v54, v51, v1, v54
	v_pk_fma_f16 v55, v52, v1, v55
	;; [unrolled: 1-line block ×3, first 2 shown]
	v_mul_u32_u24_sdwa v1, v2, s34 dst_sel:DWORD dst_unused:UNUSED_PAD src0_sel:WORD_0 src1_sel:DWORD
	s_waitcnt lgkmcnt(0)
	v_pk_fma_f16 v4, v4, v1, v50
	ds_read2_b64 v[50:53], v114 offset0:64 offset1:96
	v_pk_fma_f16 v54, v5, v1, v54
	v_pk_fma_f16 v55, v6, v1, v55
	;; [unrolled: 1-line block ×3, first 2 shown]
	v_mul_u32_u24_sdwa v1, v2, s34 dst_sel:DWORD dst_unused:UNUSED_PAD src0_sel:WORD_1 src1_sel:DWORD
	s_waitcnt lgkmcnt(0)
	v_pk_fma_f16 v2, v50, v1, v4
	ds_read2_b64 v[4:7], v114 offset0:128 offset1:160
	v_pk_fma_f16 v50, v51, v1, v54
	v_pk_fma_f16 v51, v52, v1, v55
	;; [unrolled: 1-line block ×3, first 2 shown]
	v_mul_u32_u24_sdwa v1, v3, s34 dst_sel:DWORD dst_unused:UNUSED_PAD src0_sel:WORD_0 src1_sel:DWORD
	s_waitcnt lgkmcnt(0)
	v_pk_fma_f16 v2, v4, v1, v2
	v_pk_fma_f16 v50, v5, v1, v50
	;; [unrolled: 1-line block ×4, first 2 shown]
	ds_read2_b64 v[4:7], v114 offset0:192 offset1:224
	s_waitcnt lgkmcnt(0)
	s_barrier
	s_load_dword s6, s[4:5], 0x4
	v_mul_u32_u24_sdwa v1, v3, s34 dst_sel:DWORD dst_unused:UNUSED_PAD src0_sel:WORD_1 src1_sel:DWORD
	v_pk_fma_f16 v54, v4, v1, v2
	v_pk_fma_f16 v53, v5, v1, v50
	;; [unrolled: 1-line block ×3, first 2 shown]
	s_waitcnt lgkmcnt(0)
	s_lshl_b32 s6, s6, 6
	s_add_i32 s2, s6, s2
	s_cmp_ge_i32 s2, s24
	v_pk_fma_f16 v51, v7, v1, v0
	s_cbranch_scc1 .LBB67_7
; %bb.21:                               ;   in Loop: Header=BB67_12 Depth=1
	v_mov_b32_e32 v55, v32
	v_mov_b32_e32 v50, v62
	s_branch .LBB67_12
.LBB67_22:
	v_mov_b32_e32 v1, v33
	v_cmp_gt_i32_e32 vcc, s22, v34
	s_and_saveexec_b64 s[4:5], vcc
	s_cbranch_execz .LBB67_9
.LBB67_23:
	s_load_dword s2, s[0:1], 0xd4
	v_div_scale_f32 v0, s[0:1], v1, v1, 1.0
	v_rcp_f32_e32 v2, v0
	s_mul_i32 s30, s30, s22
	s_waitcnt lgkmcnt(0)
	s_cmp_lg_u32 s2, 1
	s_cselect_b64 s[0:1], -1, 0
	v_fma_f32 v3, -v0, v2, 1.0
	v_fmac_f32_e32 v2, v3, v2
	v_div_scale_f32 v3, vcc, 1.0, v1, 1.0
	v_mul_f32_e32 v4, v3, v2
	v_fma_f32 v5, -v0, v4, v3
	v_fmac_f32_e32 v4, v5, v2
	v_fma_f32 v0, -v0, v4, v3
	v_div_fmas_f32 v0, v0, v2, v4
	v_div_fixup_f32 v0, v0, v1, 1.0
	v_cndmask_b32_e64 v6, v0, 1.0, s[0:1]
	v_add_u32_e32 v0, s30, v34
	v_mul_lo_u32 v0, v0, s23
	v_add3_u32 v0, s25, v9, v0
	v_cvt_f32_f16_sdwa v3, v54 dst_sel:DWORD dst_unused:UNUSED_PAD src0_sel:WORD_1
	v_cvt_f32_f16_e32 v2, v54
	v_cvt_f32_f16_sdwa v5, v53 dst_sel:DWORD dst_unused:UNUSED_PAD src0_sel:WORD_1
	v_cvt_f32_f16_e32 v4, v53
	v_mul_lo_u32 v0, s2, v0
	v_add_u32_e32 v0, s3, v0
	v_lshl_add_u32 v10, v0, 8, v35
	v_mov_b32_e32 v11, 0
	v_cmp_eq_u32_e32 vcc, 0, v8
	v_lshl_add_u64 v[8:9], v[10:11], 2, s[16:17]
	v_pk_mul_f32 v[2:3], v[6:7], v[2:3] op_sel_hi:[0,1]
	v_pk_mul_f32 v[4:5], v[6:7], v[4:5] op_sel_hi:[0,1]
	global_store_dwordx4 v[8:9], v[2:5], off
	v_add_u32_e32 v10, 0x80, v10
	s_and_b64 s[0:1], vcc, s[0:1]
	v_cvt_f32_f16_sdwa v3, v52 dst_sel:DWORD dst_unused:UNUSED_PAD src0_sel:WORD_1
	v_cvt_f32_f16_e32 v2, v52
	v_cvt_f32_f16_sdwa v5, v51 dst_sel:DWORD dst_unused:UNUSED_PAD src0_sel:WORD_1
	v_cvt_f32_f16_e32 v4, v51
	v_lshl_add_u64 v[8:9], v[10:11], 2, s[16:17]
	v_pk_mul_f32 v[2:3], v[6:7], v[2:3] op_sel_hi:[0,1]
	v_pk_mul_f32 v[4:5], v[6:7], v[4:5] op_sel_hi:[0,1]
	global_store_dwordx4 v[8:9], v[2:5], off
	s_and_b64 exec, exec, s[0:1]
	s_cbranch_execz .LBB67_9
; %bb.24:
	v_mov_b32_e32 v2, s18
	v_mov_b32_e32 v3, s19
	v_ashrrev_i32_e32 v1, 31, v0
	v_lshl_add_u64 v[0:1], v[0:1], 3, v[2:3]
	global_store_dwordx2 v[0:1], v[32:33], off
	s_endpgm
	.section	.rodata,"a",@progbits
	.p2align	6, 0x0
	.amdhsa_kernel _ZL15flash_attn_tileILi256ELi256ELi4ELi2ELb1EEvPKcS1_S1_S1_S1_PKiPfP15HIP_vector_typeIfLj2EEffffjfiS5_IjLj3EEiiiiiiiiiiiliiliiiiil
		.amdhsa_group_segment_fixed_size 22528
		.amdhsa_private_segment_fixed_size 0
		.amdhsa_kernarg_size 464
		.amdhsa_user_sgpr_count 2
		.amdhsa_user_sgpr_dispatch_ptr 0
		.amdhsa_user_sgpr_queue_ptr 0
		.amdhsa_user_sgpr_kernarg_segment_ptr 1
		.amdhsa_user_sgpr_dispatch_id 0
		.amdhsa_user_sgpr_kernarg_preload_length 0
		.amdhsa_user_sgpr_kernarg_preload_offset 0
		.amdhsa_user_sgpr_private_segment_size 0
		.amdhsa_uses_dynamic_stack 0
		.amdhsa_enable_private_segment 0
		.amdhsa_system_sgpr_workgroup_id_x 1
		.amdhsa_system_sgpr_workgroup_id_y 1
		.amdhsa_system_sgpr_workgroup_id_z 1
		.amdhsa_system_sgpr_workgroup_info 0
		.amdhsa_system_vgpr_workitem_id 1
		.amdhsa_next_free_vgpr 115
		.amdhsa_next_free_sgpr 75
		.amdhsa_accum_offset 116
		.amdhsa_reserve_vcc 1
		.amdhsa_float_round_mode_32 0
		.amdhsa_float_round_mode_16_64 0
		.amdhsa_float_denorm_mode_32 3
		.amdhsa_float_denorm_mode_16_64 3
		.amdhsa_dx10_clamp 1
		.amdhsa_ieee_mode 1
		.amdhsa_fp16_overflow 0
		.amdhsa_tg_split 0
		.amdhsa_exception_fp_ieee_invalid_op 0
		.amdhsa_exception_fp_denorm_src 0
		.amdhsa_exception_fp_ieee_div_zero 0
		.amdhsa_exception_fp_ieee_overflow 0
		.amdhsa_exception_fp_ieee_underflow 0
		.amdhsa_exception_fp_ieee_inexact 0
		.amdhsa_exception_int_div_zero 0
	.end_amdhsa_kernel
	.section	.text._ZL15flash_attn_tileILi256ELi256ELi4ELi2ELb1EEvPKcS1_S1_S1_S1_PKiPfP15HIP_vector_typeIfLj2EEffffjfiS5_IjLj3EEiiiiiiiiiiiliiliiiiil,"axG",@progbits,_ZL15flash_attn_tileILi256ELi256ELi4ELi2ELb1EEvPKcS1_S1_S1_S1_PKiPfP15HIP_vector_typeIfLj2EEffffjfiS5_IjLj3EEiiiiiiiiiiiliiliiiiil,comdat
.Lfunc_end67:
	.size	_ZL15flash_attn_tileILi256ELi256ELi4ELi2ELb1EEvPKcS1_S1_S1_S1_PKiPfP15HIP_vector_typeIfLj2EEffffjfiS5_IjLj3EEiiiiiiiiiiiliiliiiiil, .Lfunc_end67-_ZL15flash_attn_tileILi256ELi256ELi4ELi2ELb1EEvPKcS1_S1_S1_S1_PKiPfP15HIP_vector_typeIfLj2EEffffjfiS5_IjLj3EEiiiiiiiiiiiliiliiiiil
                                        ; -- End function
	.set _ZL15flash_attn_tileILi256ELi256ELi4ELi2ELb1EEvPKcS1_S1_S1_S1_PKiPfP15HIP_vector_typeIfLj2EEffffjfiS5_IjLj3EEiiiiiiiiiiiliiliiiiil.num_vgpr, 115
	.set _ZL15flash_attn_tileILi256ELi256ELi4ELi2ELb1EEvPKcS1_S1_S1_S1_PKiPfP15HIP_vector_typeIfLj2EEffffjfiS5_IjLj3EEiiiiiiiiiiiliiliiiiil.num_agpr, 0
	.set _ZL15flash_attn_tileILi256ELi256ELi4ELi2ELb1EEvPKcS1_S1_S1_S1_PKiPfP15HIP_vector_typeIfLj2EEffffjfiS5_IjLj3EEiiiiiiiiiiiliiliiiiil.numbered_sgpr, 40
	.set _ZL15flash_attn_tileILi256ELi256ELi4ELi2ELb1EEvPKcS1_S1_S1_S1_PKiPfP15HIP_vector_typeIfLj2EEffffjfiS5_IjLj3EEiiiiiiiiiiiliiliiiiil.num_named_barrier, 0
	.set _ZL15flash_attn_tileILi256ELi256ELi4ELi2ELb1EEvPKcS1_S1_S1_S1_PKiPfP15HIP_vector_typeIfLj2EEffffjfiS5_IjLj3EEiiiiiiiiiiiliiliiiiil.private_seg_size, 0
	.set _ZL15flash_attn_tileILi256ELi256ELi4ELi2ELb1EEvPKcS1_S1_S1_S1_PKiPfP15HIP_vector_typeIfLj2EEffffjfiS5_IjLj3EEiiiiiiiiiiiliiliiiiil.uses_vcc, 1
	.set _ZL15flash_attn_tileILi256ELi256ELi4ELi2ELb1EEvPKcS1_S1_S1_S1_PKiPfP15HIP_vector_typeIfLj2EEffffjfiS5_IjLj3EEiiiiiiiiiiiliiliiiiil.uses_flat_scratch, 0
	.set _ZL15flash_attn_tileILi256ELi256ELi4ELi2ELb1EEvPKcS1_S1_S1_S1_PKiPfP15HIP_vector_typeIfLj2EEffffjfiS5_IjLj3EEiiiiiiiiiiiliiliiiiil.has_dyn_sized_stack, 0
	.set _ZL15flash_attn_tileILi256ELi256ELi4ELi2ELb1EEvPKcS1_S1_S1_S1_PKiPfP15HIP_vector_typeIfLj2EEffffjfiS5_IjLj3EEiiiiiiiiiiiliiliiiiil.has_recursion, 0
	.set _ZL15flash_attn_tileILi256ELi256ELi4ELi2ELb1EEvPKcS1_S1_S1_S1_PKiPfP15HIP_vector_typeIfLj2EEffffjfiS5_IjLj3EEiiiiiiiiiiiliiliiiiil.has_indirect_call, 0
	.section	.AMDGPU.csdata,"",@progbits
; Kernel info:
; codeLenInByte = 13388
; TotalNumSgprs: 46
; NumVgprs: 115
; NumAgprs: 0
; TotalNumVgprs: 115
; ScratchSize: 0
; MemoryBound: 0
; FloatMode: 240
; IeeeMode: 1
; LDSByteSize: 22528 bytes/workgroup (compile time only)
; SGPRBlocks: 10
; VGPRBlocks: 14
; NumSGPRsForWavesPerEU: 81
; NumVGPRsForWavesPerEU: 115
; AccumOffset: 116
; Occupancy: 4
; WaveLimiterHint : 1
; COMPUTE_PGM_RSRC2:SCRATCH_EN: 0
; COMPUTE_PGM_RSRC2:USER_SGPR: 2
; COMPUTE_PGM_RSRC2:TRAP_HANDLER: 0
; COMPUTE_PGM_RSRC2:TGID_X_EN: 1
; COMPUTE_PGM_RSRC2:TGID_Y_EN: 1
; COMPUTE_PGM_RSRC2:TGID_Z_EN: 1
; COMPUTE_PGM_RSRC2:TIDIG_COMP_CNT: 1
; COMPUTE_PGM_RSRC3_GFX90A:ACCUM_OFFSET: 28
; COMPUTE_PGM_RSRC3_GFX90A:TG_SPLIT: 0
	.section	.text._ZL15flash_attn_tileILi256ELi256ELi2ELi2ELb1EEvPKcS1_S1_S1_S1_PKiPfP15HIP_vector_typeIfLj2EEffffjfiS5_IjLj3EEiiiiiiiiiiiliiliiiiil,"axG",@progbits,_ZL15flash_attn_tileILi256ELi256ELi2ELi2ELb1EEvPKcS1_S1_S1_S1_PKiPfP15HIP_vector_typeIfLj2EEffffjfiS5_IjLj3EEiiiiiiiiiiiliiliiiiil,comdat
	.globl	_ZL15flash_attn_tileILi256ELi256ELi2ELi2ELb1EEvPKcS1_S1_S1_S1_PKiPfP15HIP_vector_typeIfLj2EEffffjfiS5_IjLj3EEiiiiiiiiiiiliiliiiiil ; -- Begin function _ZL15flash_attn_tileILi256ELi256ELi2ELi2ELb1EEvPKcS1_S1_S1_S1_PKiPfP15HIP_vector_typeIfLj2EEffffjfiS5_IjLj3EEiiiiiiiiiiiliiliiiiil
	.p2align	8
	.type	_ZL15flash_attn_tileILi256ELi256ELi2ELi2ELb1EEvPKcS1_S1_S1_S1_PKiPfP15HIP_vector_typeIfLj2EEffffjfiS5_IjLj3EEiiiiiiiiiiiliiliiiiil,@function
_ZL15flash_attn_tileILi256ELi256ELi2ELi2ELb1EEvPKcS1_S1_S1_S1_PKiPfP15HIP_vector_typeIfLj2EEffffjfiS5_IjLj3EEiiiiiiiiiiiliiliiiiil: ; @_ZL15flash_attn_tileILi256ELi256ELi2ELi2ELb1EEvPKcS1_S1_S1_S1_PKiPfP15HIP_vector_typeIfLj2EEffffjfiS5_IjLj3EEiiiiiiiiiiiliiliiiiil
; %bb.0:
	s_load_dwordx4 s[20:23], s[0:1], 0x5c
	s_load_dwordx2 s[24:25], s[0:1], 0x80
	s_load_dwordx2 s[28:29], s[0:1], 0xb8
	s_mov_b64 s[26:27], 0
	s_waitcnt lgkmcnt(0)
	s_lshr_b32 s5, s23, 31
	s_add_i32 s5, s23, s5
	s_ashr_i32 s5, s5, 1
	v_cvt_f32_u32_e32 v1, s5
	s_sub_i32 s6, 0, s5
	v_rcp_iflag_f32_e32 v1, v1
	s_nop 0
	v_mul_f32_e32 v1, 0x4f7ffffe, v1
	v_cvt_u32_f32_e32 v1, v1
	s_nop 0
	v_readfirstlane_b32 s7, v1
	s_mul_i32 s6, s6, s7
	s_mul_hi_u32 s6, s7, s6
	s_add_i32 s7, s7, s6
	s_mul_hi_u32 s6, s4, s7
	s_mul_i32 s7, s6, s5
	s_sub_i32 s7, s4, s7
	s_add_i32 s8, s6, 1
	s_sub_i32 s9, s7, s5
	s_cmp_ge_u32 s7, s5
	s_cselect_b32 s6, s8, s6
	s_cselect_b32 s7, s9, s7
	s_add_i32 s8, s6, 1
	s_cmp_ge_u32 s7, s5
	s_cselect_b32 s30, s8, s6
	s_abs_i32 s5, s25
	v_cvt_f32_u32_e32 v1, s5
	s_lshl_b32 s4, s4, 1
	s_mul_i32 s8, s30, s23
	s_xor_b32 s6, s23, s25
	v_rcp_iflag_f32_e32 v1, v1
	s_sub_i32 s9, 0, s5
	s_sub_i32 s25, s4, s8
	s_abs_i32 s7, s23
	v_mul_f32_e32 v1, 0x4f7ffffe, v1
	v_cvt_u32_f32_e32 v1, v1
	s_ashr_i32 s6, s6, 31
	v_readfirstlane_b32 s4, v1
	s_mul_i32 s9, s9, s4
	s_mul_hi_u32 s8, s4, s9
	s_add_i32 s4, s4, s8
	s_mul_hi_u32 s4, s7, s4
	s_mul_i32 s8, s4, s5
	s_sub_i32 s7, s7, s8
	s_add_i32 s9, s4, 1
	s_sub_i32 s8, s7, s5
	s_cmp_ge_u32 s7, s5
	s_cselect_b32 s4, s9, s4
	s_cselect_b32 s7, s8, s7
	s_add_i32 s8, s4, 1
	s_cmp_ge_u32 s7, s5
	s_cselect_b32 s4, s8, s4
	s_xor_b32 s4, s4, s6
	s_sub_i32 s33, s4, s6
	s_abs_i32 s31, s33
	v_cvt_f32_u32_e32 v1, s31
	s_load_dwordx16 s[4:19], s[0:1], 0x0
	v_rcp_iflag_f32_e32 v1, v1
	s_waitcnt lgkmcnt(0)
	s_cmp_eq_u64 s[10:11], 0
	v_mul_f32_e32 v1, 0x4f7ffffe, v1
	v_cvt_u32_f32_e32 v1, v1
	s_nop 0
	v_readfirstlane_b32 s34, v1
	s_cbranch_scc1 .LBB68_2
; %bb.1:
	s_abs_i32 s28, s28
	v_cvt_f32_u32_e32 v1, s28
	s_sub_i32 s37, 0, s28
	s_abs_i32 s36, s30
	s_ashr_i32 s35, s30, 31
	v_rcp_iflag_f32_e32 v1, v1
	s_load_dwordx2 s[26:27], s[0:1], 0xc8
	v_mul_f32_e32 v1, 0x4f7ffffe, v1
	v_cvt_u32_f32_e32 v1, v1
	s_nop 0
	v_readfirstlane_b32 s38, v1
	s_mul_i32 s37, s37, s38
	s_mul_hi_u32 s37, s38, s37
	s_add_i32 s38, s38, s37
	s_mul_hi_u32 s37, s36, s38
	s_mul_i32 s37, s37, s28
	s_sub_i32 s36, s36, s37
	s_sub_i32 s37, s36, s28
	s_cmp_ge_u32 s36, s28
	s_cselect_b32 s36, s37, s36
	s_sub_i32 s37, s36, s28
	s_cmp_ge_u32 s36, s28
	s_cselect_b32 s28, s37, s36
	s_xor_b32 s28, s28, s35
	s_sub_i32 s28, s28, s35
	s_ashr_i32 s35, s28, 31
	s_waitcnt lgkmcnt(0)
	s_mul_hi_u32 s36, s26, s28
	s_mul_i32 s35, s26, s35
	s_mul_i32 s27, s27, s28
	s_add_i32 s35, s36, s35
	s_add_i32 s35, s35, s27
	s_mul_i32 s26, s26, s28
	s_add_u32 s26, s10, s26
	s_addc_u32 s27, s11, s35
.LBB68_2:
	s_load_dwordx4 s[36:39], s[0:1], 0x70
	v_lshrrev_b32_e32 v10, 10, v0
	v_bfe_u32 v1, v10, 2, 8
	v_lshl_add_u32 v37, s2, 1, v1
	v_mul_hi_u32 v1, s20, v37
	s_waitcnt lgkmcnt(0)
	s_mul_i32 s10, s30, s38
	s_ashr_i32 s28, s10, 31
	s_mul_i32 s11, s25, s37
	s_add_u32 s4, s4, s10
	s_addc_u32 s5, s5, s28
	s_ashr_i32 s10, s11, 31
	s_add_u32 s4, s4, s11
	v_add_u32_e32 v1, v37, v1
	v_bfe_u32 v40, v0, 10, 10
	s_addc_u32 s5, s5, s10
	s_ashr_i32 s11, s37, 31
	s_mov_b32 s10, s37
	v_lshrrev_b32_e32 v1, s21, v1
	v_bfe_u32 v36, v40, 1, 1
	s_lshr_b64 s[38:39], s[10:11], 2
	s_lshr_b32 s10, s11, 2
	v_mul_lo_u32 v1, v1, s22
	s_ashr_i32 s37, s36, 31
	v_mul_lo_u32 v3, s10, v36
	v_sub_u32_e32 v1, v37, v1
	s_lshr_b64 s[10:11], s[36:37], 2
	v_mad_u64_u32 v[6:7], s[10:11], s10, v1, 0
	v_mov_b32_e32 v4, v7
	s_lshr_b32 s10, s37, 2
	v_mul_lo_u32 v2, s38, v36
	v_mad_u64_u32 v[4:5], s[10:11], s10, v1, v[4:5]
	v_mov_b32_e32 v7, v4
	v_and_b32_e32 v38, 0x3ff, v0
	v_lshl_add_u64 v[2:3], v[2:3], 2, s[4:5]
	v_lshlrev_b32_e32 v0, 9, v40
	v_mov_b32_e32 v5, 0
	v_lshl_add_u64 v[2:3], v[6:7], 2, v[2:3]
	v_and_b32_e32 v4, 0x200, v0
	v_lshl_add_u64 v[2:3], v[2:3], 0, v[4:5]
	v_lshlrev_b32_e32 v4, 4, v38
	v_lshl_add_u64 v[2:3], v[2:3], 0, v[4:5]
	global_load_dwordx4 v[6:9], v[2:3], off
	s_load_dword s4, s[0:1], 0x40
	v_lshlrev_b32_e32 v3, 8, v40
	v_bfe_u32 v2, v10, 1, 9
	v_and_b32_e32 v3, 0x100, v3
	v_lshlrev_b32_e32 v0, 3, v38
	v_lshl_or_b32 v2, v2, 9, v3
	v_add_u32_e32 v5, v2, v0
	s_cmp_eq_u64 s[14:15], 0
	s_waitcnt vmcnt(0) lgkmcnt(0)
	v_fma_mixlo_f16 v2, s4, v6, 0
	v_fma_mixlo_f16 v3, s4, v8, 0
	v_mov_b32_e32 v6, v9
	v_and_b32_e32 v8, 0xffff, v2
	v_and_b32_e32 v9, 0xffff, v3
	v_pk_mul_f32 v[2:3], s[4:5], v[6:7] op_sel_hi:[0,1]
	v_cvt_pk_f16_f32 v2, v2, v3
	v_lshlrev_b32_e32 v3, 16, v2
	v_and_b32_e32 v2, 0xffff0000, v2
	v_or_b32_e32 v2, v2, v8
	v_or3_b32 v3, v3, v9, 0
	v_or3_b32 v2, 0, 0, v2
	ds_write_b64 v5, v[2:3] offset:17408
	s_waitcnt lgkmcnt(0)
	s_barrier
	s_cbranch_scc1 .LBB68_4
; %bb.3:
	s_load_dword s4, s[0:1], 0xd0
	s_mov_b32 s5, 0
	s_waitcnt lgkmcnt(0)
	s_mul_i32 s4, s4, s30
	s_add_i32 s4, s4, s2
	s_lshl_b64 s[4:5], s[4:5], 2
	s_add_u32 s4, s14, s4
	s_addc_u32 s5, s15, s5
	s_load_dword s24, s[4:5], 0x0
.LBB68_4:
	s_lshl_b32 s2, s3, 6
	v_lshlrev_b32_e32 v39, 2, v38
	s_waitcnt lgkmcnt(0)
	s_cmp_lt_i32 s2, s24
	v_mbcnt_lo_u32_b32 v2, -1, 0
	v_and_b32_e32 v5, 1, v40
	s_cbranch_scc1 .LBB68_7
; %bb.5:
	v_mbcnt_hi_u32_b32 v17, -1, v2
	v_and_b32_e32 v3, 0x60, v17
	v_add_u32_e32 v29, 32, v3
	v_xor_b32_e32 v30, 16, v17
	v_xor_b32_e32 v31, 8, v17
	;; [unrolled: 1-line block ×5, first 2 shown]
	v_and_b32_e32 v6, 1, v40
	s_cbranch_execz .LBB68_8
; %bb.6:
	v_mov_b32_e32 v3, 0
	v_mov_b32_e32 v46, 0
	;; [unrolled: 1-line block ×6, first 2 shown]
	s_branch .LBB68_18
.LBB68_7:
                                        ; implicit-def: $vgpr17
                                        ; implicit-def: $vgpr29
                                        ; implicit-def: $vgpr30
                                        ; implicit-def: $vgpr31
                                        ; implicit-def: $vgpr32
                                        ; implicit-def: $vgpr33
                                        ; implicit-def: $vgpr34
                                        ; implicit-def: $vgpr6
.LBB68_8:
	s_sub_i32 s4, 0, s31
	s_mul_i32 s4, s4, s34
	s_mul_hi_u32 s4, s34, s4
	s_add_i32 s34, s34, s4
	s_load_dwordx4 s[36:39], s[0:1], 0x98
	s_load_dword s20, s[0:1], 0x54
	s_load_dwordx2 s[4:5], s[0:1], 0x8c
	s_ashr_i32 s35, s29, 1
	s_abs_i32 s14, s25
	s_waitcnt lgkmcnt(0)
	s_ashr_i32 s21, s38, 2
	s_mul_hi_u32 s29, s36, s30
	s_ashr_i32 s28, s4, 2
	s_ashr_i32 s4, s30, 31
	s_mul_i32 s38, s36, s4
	s_add_i32 s29, s29, s38
	s_mul_i32 s37, s37, s30
	s_mul_hi_u32 s15, s14, s34
	s_ashr_i32 s34, s25, 31
	s_ashr_i32 s33, s33, 31
	s_add_i32 s29, s29, s37
	s_mul_i32 s36, s36, s30
	s_add_u32 s6, s6, s36
	s_addc_u32 s7, s7, s29
	s_xor_b32 s29, s34, s33
	s_mul_i32 s33, s15, s31
	s_sub_i32 s14, s14, s33
	s_add_i32 s33, s15, 1
	s_sub_i32 s34, s14, s31
	s_cmp_ge_u32 s14, s31
	s_cselect_b32 s15, s33, s15
	s_cselect_b32 s14, s34, s14
	s_add_i32 s33, s15, 1
	s_cmp_ge_u32 s14, s31
	s_load_dwordx2 s[10:11], s[0:1], 0xa8
	s_cselect_b32 s14, s33, s15
	s_xor_b32 s14, s14, s29
	s_sub_i32 s14, s14, s29
	s_mul_i32 s5, s14, s5
	s_ashr_i32 s15, s5, 31
	s_add_u32 s29, s6, s5
	s_waitcnt lgkmcnt(0)
	s_mul_hi_u32 s5, s10, s30
	s_mul_i32 s4, s10, s4
	s_addc_u32 s31, s7, s15
	s_add_i32 s4, s5, s4
	s_mul_i32 s5, s11, s30
	s_add_i32 s4, s4, s5
	s_mul_i32 s5, s10, s30
	s_add_u32 s5, s8, s5
	s_mul_i32 s14, s14, s39
	s_addc_u32 s4, s9, s4
	s_ashr_i32 s6, s14, 31
	s_add_u32 s33, s5, s14
	v_lshrrev_b32_e32 v6, 4, v38
	v_and_b32_e32 v18, 60, v39
	s_addc_u32 s34, s4, s6
	v_lshl_add_u32 v6, v40, 1, v6
	v_lshlrev_b32_e32 v8, 2, v18
	s_movk_i32 s4, 0x110
	v_mad_u32_u24 v41, v6, s4, v8
	v_mul_lo_u32 v8, s28, v6
	s_lshl_b32 s4, s28, 4
	v_lshlrev_b32_e32 v6, 5, v40
	v_lshlrev_b32_e32 v3, 6, v40
	v_add_u32_e32 v10, s4, v8
	v_and_b32_e32 v19, 32, v6
	v_mov_b32_e32 v7, 0
	v_add_u32_e32 v12, s4, v10
	v_add_u32_e32 v6, v19, v38
	v_and_b32_e32 v3, 0xff80, v3
	v_mov_b32_e32 v16, 0x4400
	v_add_u32_e32 v14, s4, v12
	v_lshl_add_u32 v47, v3, 2, v16
	v_mad_u64_u32 v[16:17], s[4:5], v1, s35, v[6:7]
	v_mul_u32_u24_e32 v45, 0x110, v6
	v_and_b32_e32 v6, 1, v38
	s_movk_i32 s4, 0x3fe
	v_and_or_b32 v6, v40, s4, v6
	v_mul_lo_u32 v20, s21, v40
	s_lshl_b32 s4, s21, 3
	v_add_u32_e32 v22, s4, v20
	v_mov_b32_e32 v1, 0x4e00
	v_add_u32_e32 v24, s4, v22
	v_lshl_add_u32 v48, v40, 2, v1
	v_lshl_add_u32 v49, v6, 2, v1
	v_add_u32_e32 v1, 0x4c00, v3
	v_lshlrev_b32_e32 v6, 2, v39
	v_add_u32_e32 v26, s4, v24
	v_lshl_or_b32 v3, v19, 1, v1
	v_lshl_add_u32 v51, v40, 9, v6
	v_ashrrev_i32_e32 v21, 31, v20
	v_ashrrev_i32_e32 v23, 31, v22
	;; [unrolled: 1-line block ×4, first 2 shown]
	v_lshl_add_u32 v56, v5, 9, v0
	s_add_u32 s14, s0, 0xd0
                                        ; implicit-def: $vgpr0
                                        ; implicit-def: $vgpr0
	;; [unrolled: 1-line block ×3, first 2 shown]
	v_ashrrev_i32_e32 v9, 31, v8
	v_add_u32_e32 v42, 0x1100, v41
	v_ashrrev_i32_e32 v11, 31, v10
	v_add_u32_e32 v43, 0x2200, v41
	;; [unrolled: 2-line block ×3, first 2 shown]
	v_ashrrev_i32_e32 v15, 31, v14
	v_cmp_eq_u32_e32 vcc, 0, v38
	v_lshl_add_u32 v50, v38, 1, v3
	v_add_u32_e32 v52, 0x1000, v51
	v_add_u32_e32 v53, 0x2000, v51
	;; [unrolled: 1-line block ×3, first 2 shown]
	v_lshl_or_b32 v55, v5, 1, v1
	s_addc_u32 s15, s1, 0
	v_mov_b32_e32 v59, 0xfeffffff
	v_lshlrev_b32_e32 v18, 2, v18
	v_mov_b32_e32 v19, v7
	s_mov_b32 s35, 0x3f200000
	s_mov_b32 s36, 0x3fb8aa3b
	;; [unrolled: 1-line block ×4, first 2 shown]
	v_mov_b32_e32 v57, 0x3ca908c9
	v_mbcnt_hi_u32_b32 v17, -1, v2
	s_brev_b32 s39, -2
	v_lshlrev_b64 v[20:21], 2, v[20:21]
	v_lshlrev_b64 v[22:23], 2, v[22:23]
	;; [unrolled: 1-line block ×4, first 2 shown]
	v_mov_b32_e32 v58, 0x7f800000
	v_mov_b32_e32 v0, v7
	;; [unrolled: 1-line block ×6, first 2 shown]
.LBB68_9:                               ; =>This Inner Loop Header: Depth=1
	s_mul_hi_i32 s5, s2, s28
	s_mul_i32 s4, s2, s28
	s_lshl_b64 s[4:5], s[4:5], 2
	s_add_u32 s4, s29, s4
	s_addc_u32 s5, s31, s5
	v_lshl_add_u64 v[28:29], v[8:9], 2, s[4:5]
	v_lshl_add_u64 v[32:33], v[12:13], 2, s[4:5]
	;; [unrolled: 1-line block ×7, first 2 shown]
	global_load_dwordx4 v[60:63], v[28:29], off
	global_load_dwordx4 v[64:67], v[30:31], off
	v_lshl_add_u64 v[34:35], v[34:35], 0, v[18:19]
	global_load_dwordx4 v[68:71], v[32:33], off
	global_load_dwordx4 v[72:75], v[34:35], off
	s_waitcnt vmcnt(3)
	ds_write_b128 v41, v[60:63]
	s_waitcnt vmcnt(2)
	ds_write_b128 v42, v[64:67]
	;; [unrolled: 2-line block ×4, first 2 shown]
	s_waitcnt lgkmcnt(0)
	s_barrier
	ds_read_b128 v[62:65], v45
	ds_read_b128 v[66:69], v47
	v_mov_b32_e32 v60, 0
	s_waitcnt lgkmcnt(0)
	;;#ASMSTART
	v_dot2_f32_f16 v60, v62, v66, v60
	;;#ASMEND
	s_nop 0
	;;#ASMSTART
	v_dot2_f32_f16 v60, v63, v67, v60
	;;#ASMEND
	s_nop 0
	;;#ASMSTART
	v_dot2_f32_f16 v60, v64, v68, v60
	;;#ASMEND
	s_nop 0
	;;#ASMSTART
	v_dot2_f32_f16 v60, v65, v69, v60
	;;#ASMEND
	ds_read_b128 v[62:65], v45 offset:16
	ds_read_b128 v[66:69], v47 offset:16
	s_waitcnt lgkmcnt(0)
	;;#ASMSTART
	v_dot2_f32_f16 v60, v62, v66, v60
	;;#ASMEND
	s_nop 0
	;;#ASMSTART
	v_dot2_f32_f16 v60, v63, v67, v60
	;;#ASMEND
	s_nop 0
	;;#ASMSTART
	v_dot2_f32_f16 v60, v64, v68, v60
	;;#ASMEND
	s_nop 0
	;;#ASMSTART
	v_dot2_f32_f16 v60, v65, v69, v60
	;;#ASMEND
	ds_read_b128 v[62:65], v45 offset:32
	ds_read_b128 v[66:69], v47 offset:32
	;; [unrolled: 18-line block ×15, first 2 shown]
	s_waitcnt lgkmcnt(0)
	;;#ASMSTART
	v_dot2_f32_f16 v60, v62, v66, v60
	;;#ASMEND
	s_nop 0
	;;#ASMSTART
	v_dot2_f32_f16 v60, v63, v67, v60
	;;#ASMEND
	s_nop 0
	;;#ASMSTART
	v_dot2_f32_f16 v60, v64, v68, v60
	;;#ASMEND
	s_nop 0
	;;#ASMSTART
	v_dot2_f32_f16 v60, v65, v69, v60
	;;#ASMEND
	s_barrier
	global_load_dwordx4 v[62:65], v[28:29], off offset:256
	global_load_dwordx4 v[66:69], v[30:31], off offset:256
	;; [unrolled: 1-line block ×4, first 2 shown]
	s_waitcnt vmcnt(3)
	ds_write_b128 v41, v[62:65]
	s_waitcnt vmcnt(2)
	ds_write_b128 v42, v[66:69]
	s_waitcnt vmcnt(1)
	ds_write_b128 v43, v[70:73]
	s_waitcnt vmcnt(0)
	ds_write_b128 v44, v[74:77]
	s_waitcnt lgkmcnt(0)
	s_barrier
	ds_read_b128 v[28:31], v45
	ds_read_b128 v[32:35], v47 offset:256
	s_waitcnt lgkmcnt(0)
	;;#ASMSTART
	v_dot2_f32_f16 v60, v28, v32, v60
	;;#ASMEND
	s_nop 0
	;;#ASMSTART
	v_dot2_f32_f16 v60, v29, v33, v60
	;;#ASMEND
	v_add_u32_e32 v62, s2, v16
	;;#ASMSTART
	v_dot2_f32_f16 v60, v30, v34, v60
	;;#ASMEND
	v_ashrrev_i32_e32 v63, 31, v62
	;;#ASMSTART
	v_dot2_f32_f16 v60, v31, v35, v60
	;;#ASMEND
	ds_read_b128 v[28:31], v45 offset:16
	ds_read_b128 v[32:35], v47 offset:272
	s_waitcnt lgkmcnt(0)
	;;#ASMSTART
	v_dot2_f32_f16 v60, v28, v32, v60
	;;#ASMEND
	s_nop 0
	;;#ASMSTART
	v_dot2_f32_f16 v60, v29, v33, v60
	;;#ASMEND
	v_lshl_add_u64 v[62:63], v[62:63], 1, s[26:27]
	;;#ASMSTART
	v_dot2_f32_f16 v60, v30, v34, v60
	;;#ASMEND
	s_nop 0
	;;#ASMSTART
	v_dot2_f32_f16 v60, v31, v35, v60
	;;#ASMEND
	ds_read_b128 v[28:31], v45 offset:32
	ds_read_b128 v[32:35], v47 offset:288
	s_waitcnt lgkmcnt(0)
	;;#ASMSTART
	v_dot2_f32_f16 v60, v28, v32, v60
	;;#ASMEND
	s_nop 0
	;;#ASMSTART
	v_dot2_f32_f16 v60, v29, v33, v60
	;;#ASMEND
	s_nop 0
	;;#ASMSTART
	v_dot2_f32_f16 v60, v30, v34, v60
	;;#ASMEND
	s_nop 0
	;;#ASMSTART
	v_dot2_f32_f16 v60, v31, v35, v60
	;;#ASMEND
	ds_read_b128 v[28:31], v45 offset:48
	ds_read_b128 v[32:35], v47 offset:304
	s_waitcnt lgkmcnt(0)
	;;#ASMSTART
	v_dot2_f32_f16 v60, v28, v32, v60
	;;#ASMEND
	s_nop 0
	;;#ASMSTART
	v_dot2_f32_f16 v60, v29, v33, v60
	;;#ASMEND
	s_nop 0
	;; [unrolled: 18-line block ×14, first 2 shown]
	;;#ASMSTART
	v_dot2_f32_f16 v60, v30, v34, v60
	;;#ASMEND
	s_nop 0
	;;#ASMSTART
	v_dot2_f32_f16 v60, v31, v35, v60
	;;#ASMEND
	global_load_ushort v28, v[62:63], off
	v_cmp_nlt_f32_e64 s[4:5], |v60|, s35
                                        ; implicit-def: $vgpr31
	s_and_saveexec_b64 s[6:7], s[4:5]
	s_xor_b64 s[6:7], exec, s[6:7]
	s_cbranch_execz .LBB68_11
; %bb.10:                               ;   in Loop: Header=BB68_9 Depth=1
	v_add_f32_e64 v29, |v60|, |v60|
	v_mul_f32_e32 v30, 0x3fb8aa3b, v29
	v_rndne_f32_e32 v31, v30
	v_sub_f32_e32 v32, v30, v31
	v_fma_f32 v30, v29, s36, -v30
	v_fmac_f32_e32 v30, 0x32a5705f, v29
	v_add_f32_e32 v30, v32, v30
	v_cvt_i32_f32_e32 v31, v31
	v_exp_f32_e32 v30, v30
	v_cmp_ngt_f32_e64 s[4:5], s37, v29
	v_ldexp_f32 v30, v30, v31
	s_nop 0
	v_cndmask_b32_e64 v30, 0, v30, s[4:5]
	v_cmp_nlt_f32_e64 s[4:5], s38, v29
	s_nop 1
	v_cndmask_b32_e64 v29, v58, v30, s[4:5]
	v_add_f32_e32 v29, 1.0, v29
	v_rcp_f32_e32 v29, v29
	s_nop 0
	v_fma_f32 v31, v29, -2.0, 1.0
.LBB68_11:                              ;   in Loop: Header=BB68_9 Depth=1
	s_andn2_saveexec_b64 s[4:5], s[6:7]
; %bb.12:                               ;   in Loop: Header=BB68_9 Depth=1
	v_mul_f32_e32 v29, v60, v60
	v_fmamk_f32 v30, v29, 0xbbbac73d, v57
	v_fmaak_f32 v30, v29, v30, 0xbd5c1c4e
	v_fmaak_f32 v30, v29, v30, 0x3e088382
	;; [unrolled: 1-line block ×3, first 2 shown]
	v_mul_f32_e64 v30, |v60|, v30
	v_fma_f32 v31, v29, v30, |v60|
; %bb.13:                               ;   in Loop: Header=BB68_9 Depth=1
	s_or_b64 exec, exec, s[4:5]
	v_and_b32_e32 v29, 0x60, v17
	v_add_u32_e32 v29, 32, v29
	v_xor_b32_e32 v30, 16, v17
	v_bfi_b32 v31, s39, v31, v60
	v_cmp_lt_i32_e64 s[4:5], v30, v29
	s_waitcnt vmcnt(0)
	v_fma_mix_f32 v35, s20, v31, v28 op_sel_hi:[0,0,1]
	v_add_f32_e32 v28, 0x40051340, v35
	v_cndmask_b32_e64 v32, v17, v30, s[4:5]
	v_max_f32_e32 v31, v59, v59
	v_lshlrev_b32_e32 v32, 2, v32
	v_max_f32_e32 v28, v31, v28
	ds_bpermute_b32 v32, v32, v28
	v_xor_b32_e32 v31, 8, v17
	v_cmp_lt_i32_e64 s[4:5], v31, v29
	s_waitcnt lgkmcnt(0)
	v_max_f32_e32 v32, v32, v32
	v_cndmask_b32_e64 v33, v17, v31, s[4:5]
	v_lshlrev_b32_e32 v33, 2, v33
	v_max_f32_e32 v28, v28, v32
	ds_bpermute_b32 v33, v33, v28
	v_xor_b32_e32 v32, 4, v17
	v_cmp_lt_i32_e64 s[4:5], v32, v29
	s_waitcnt lgkmcnt(0)
	v_max_f32_e32 v33, v33, v33
	v_cndmask_b32_e64 v34, v17, v32, s[4:5]
	;; [unrolled: 8-line block ×4, first 2 shown]
	v_lshlrev_b32_e32 v61, 2, v61
	v_max_f32_e32 v28, v28, v60
	ds_bpermute_b32 v60, v61, v28
	s_and_saveexec_b64 s[4:5], vcc
	s_cbranch_execz .LBB68_15
; %bb.14:                               ;   in Loop: Header=BB68_9 Depth=1
	s_waitcnt lgkmcnt(0)
	v_max_f32_e32 v60, v60, v60
	v_max_f32_e32 v28, v28, v28
	;; [unrolled: 1-line block ×3, first 2 shown]
	ds_write_b32 v48, v28
.LBB68_15:                              ;   in Loop: Header=BB68_9 Depth=1
	s_or_b64 exec, exec, s[4:5]
	s_mul_hi_i32 s5, s2, s21
	s_mul_i32 s4, s2, s21
	s_lshl_b64 s[4:5], s[4:5], 2
	s_add_u32 s4, s33, s4
	s_addc_u32 s5, s34, s5
	s_waitcnt lgkmcnt(0)
	v_lshl_add_u64 v[60:61], s[4:5], 0, v[20:21]
	v_lshl_add_u64 v[68:69], v[60:61], 0, v[6:7]
	;; [unrolled: 1-line block ×3, first 2 shown]
	s_barrier
	v_lshl_add_u64 v[70:71], v[60:61], 0, v[6:7]
	global_load_dwordx4 v[60:63], v[68:69], off
	global_load_dwordx4 v[64:67], v[70:71], off
	v_lshl_add_u64 v[68:69], s[4:5], 0, v[24:25]
	v_lshl_add_u64 v[76:77], v[68:69], 0, v[6:7]
	;; [unrolled: 1-line block ×4, first 2 shown]
	global_load_dwordx4 v[68:71], v[76:77], off
	global_load_dwordx4 v[72:75], v[78:79], off
	ds_read_b32 v28, v49
	v_and_b32_e32 v76, 0x7e, v17
	v_add_u32_e32 v76, 2, v76
	v_cmp_lt_i32_e64 s[4:5], v34, v76
	v_add_u32_e32 v106, 0x800, v56
	v_add_u32_e32 v107, 0x1000, v56
	v_cndmask_b32_e64 v76, v17, v34, s[4:5]
	v_lshlrev_b32_e32 v76, 2, v76
	s_waitcnt lgkmcnt(0)
	ds_bpermute_b32 v76, v76, v28
	v_max_f32_e32 v28, v28, v28
	v_add_u32_e32 v108, 0x1800, v56
	v_add_u32_e32 v109, 0x2000, v56
	;; [unrolled: 1-line block ×3, first 2 shown]
	s_waitcnt lgkmcnt(0)
	v_max_f32_e32 v76, v76, v76
	v_max_f32_e32 v28, v28, v76
	v_sub_f32_e32 v35, v35, v28
	v_mul_f32_e32 v76, 0x3fb8aa3b, v35
	v_sub_f32_e32 v59, v59, v28
	v_fma_f32 v78, v35, s36, -v76
	v_rndne_f32_e32 v79, v76
	v_mul_f32_e32 v77, 0x3fb8aa3b, v59
	v_fmac_f32_e32 v78, 0x32a5705f, v35
	v_sub_f32_e32 v76, v76, v79
	v_fma_f32 v80, v59, s36, -v77
	v_rndne_f32_e32 v81, v77
	v_add_f32_e32 v76, v76, v78
	v_cvt_i32_f32_e32 v79, v79
	v_fmac_f32_e32 v80, 0x32a5705f, v59
	v_sub_f32_e32 v77, v77, v81
	v_exp_f32_e32 v76, v76
	v_add_f32_e32 v77, v77, v80
	v_cvt_i32_f32_e32 v81, v81
	v_exp_f32_e32 v77, v77
	v_cmp_ngt_f32_e64 s[4:5], s37, v35
	v_cmp_nlt_f32_e64 s[8:9], s38, v35
	v_ldexp_f32 v35, v76, v79
	v_cndmask_b32_e64 v35, 0, v35, s[4:5]
	v_cmp_ngt_f32_e64 s[6:7], s37, v59
	v_cmp_nlt_f32_e64 s[10:11], s38, v59
	v_ldexp_f32 v59, v77, v81
	v_cndmask_b32_e64 v35, v58, v35, s[8:9]
	v_cndmask_b32_e64 v59, 0, v59, s[6:7]
	v_cvt_f16_f32_e32 v77, v35
	v_cndmask_b32_e64 v59, v58, v59, s[10:11]
	v_cvt_f16_f32_e32 v76, v59
	s_or_b32 s4, s2, 32
	ds_write_b16 v50, v77
	s_mul_hi_i32 s5, s4, s21
	v_mul_u32_u24_e32 v76, 0x10001, v76
	v_pk_mul_f16 v2, v2, v76
	v_pk_mul_f16 v3, v3, v76
	s_mul_i32 s4, s4, s21
	s_lshl_b64 s[4:5], s[4:5], 2
	s_add_u32 s4, s33, s4
	s_addc_u32 s5, s34, s5
	v_lshl_add_u64 v[80:81], s[4:5], 0, v[20:21]
	v_add_u32_e32 v115, 0x3000, v56
	v_add_u32_e32 v116, 0x3800, v56
	v_lshl_add_u64 v[88:89], v[80:81], 0, v[6:7]
	v_lshl_add_u64 v[80:81], s[4:5], 0, v[22:23]
	;; [unrolled: 1-line block ×3, first 2 shown]
	v_fma_f32 v46, v46, v59, v35
	s_waitcnt vmcnt(3)
	ds_write_b128 v51, v[60:63]
	s_waitcnt vmcnt(2)
	ds_write_b128 v52, v[64:67]
	;; [unrolled: 2-line block ×4, first 2 shown]
	s_waitcnt lgkmcnt(0)
	s_barrier
	ds_read2_b64 v[60:63], v56 offset1:32
	ds_read_u16 v68, v55
	ds_read_u16 v69, v55 offset:4
	ds_read_u16 v70, v55 offset:8
	;; [unrolled: 1-line block ×15, first 2 shown]
	ds_read2_b64 v[64:67], v56 offset0:128 offset1:160
	s_waitcnt lgkmcnt(14)
	v_mul_u32_u24_e32 v68, 0x10001, v68
	v_pk_mul_f16 v60, v60, v68
	v_pk_mul_f16 v61, v61, v68
	v_pk_fma_f16 v0, v0, v76, v60
	v_pk_fma_f16 v60, v1, v76, v61
	;; [unrolled: 1-line block ×4, first 2 shown]
	v_mul_u32_u24_e32 v63, 0x10001, v69
	s_waitcnt lgkmcnt(0)
	v_pk_fma_f16 v64, v64, v63, v0
	ds_read2_b64 v[0:3], v106 offset1:32
	v_pk_fma_f16 v65, v65, v63, v60
	v_pk_fma_f16 v66, v66, v63, v61
	;; [unrolled: 1-line block ×3, first 2 shown]
	ds_read2_b64 v[60:63], v106 offset0:128 offset1:160
	v_mul_u32_u24_e32 v68, 0x10001, v70
	s_waitcnt lgkmcnt(1)
	v_pk_fma_f16 v0, v0, v68, v64
	v_pk_fma_f16 v64, v1, v68, v65
	;; [unrolled: 1-line block ×4, first 2 shown]
	v_mul_u32_u24_e32 v67, 0x10001, v71
	s_waitcnt lgkmcnt(0)
	v_pk_fma_f16 v60, v60, v67, v0
	ds_read2_b64 v[0:3], v107 offset1:32
	v_pk_fma_f16 v64, v61, v67, v64
	v_pk_fma_f16 v65, v62, v67, v65
	v_pk_fma_f16 v66, v63, v67, v66
	v_mul_u32_u24_e32 v67, 0x10001, v72
	s_waitcnt lgkmcnt(0)
	v_pk_fma_f16 v0, v0, v67, v60
	ds_read2_b64 v[60:63], v107 offset0:128 offset1:160
	v_pk_fma_f16 v64, v1, v67, v64
	v_pk_fma_f16 v65, v2, v67, v65
	v_pk_fma_f16 v66, v3, v67, v66
	v_mul_u32_u24_e32 v67, 0x10001, v73
	s_waitcnt lgkmcnt(0)
	v_pk_fma_f16 v60, v60, v67, v0
	ds_read2_b64 v[0:3], v108 offset1:32
	v_pk_fma_f16 v64, v61, v67, v64
	v_pk_fma_f16 v65, v62, v67, v65
	v_pk_fma_f16 v66, v63, v67, v66
	v_mul_u32_u24_e32 v67, 0x10001, v74
	s_waitcnt lgkmcnt(0)
	v_pk_fma_f16 v0, v0, v67, v60
	ds_read2_b64 v[60:63], v108 offset0:128 offset1:160
	v_pk_fma_f16 v64, v1, v67, v64
	v_pk_fma_f16 v65, v2, v67, v65
	v_pk_fma_f16 v66, v3, v67, v66
	;; [unrolled: 14-line block ×3, first 2 shown]
	v_mul_u32_u24_e32 v67, 0x10001, v78
	s_waitcnt lgkmcnt(0)
	v_pk_fma_f16 v110, v60, v67, v0
	ds_read2_b64 v[0:3], v111 offset1:32
	v_pk_fma_f16 v112, v61, v67, v64
	v_pk_fma_f16 v113, v62, v67, v65
	;; [unrolled: 1-line block ×3, first 2 shown]
	ds_read2_b64 v[60:63], v111 offset0:128 offset1:160
	ds_read2_b64 v[64:67], v115 offset1:32
	ds_read2_b64 v[68:71], v115 offset0:128 offset1:160
	ds_read2_b64 v[72:75], v116 offset1:32
	ds_read2_b64 v[76:79], v116 offset0:128 offset1:160
	s_waitcnt lgkmcnt(0)
	s_barrier
	global_load_dwordx4 v[80:83], v[88:89], off
	global_load_dwordx4 v[84:87], v[90:91], off
	v_lshl_add_u64 v[88:89], s[4:5], 0, v[24:25]
	v_lshl_add_u64 v[96:97], v[88:89], 0, v[6:7]
	;; [unrolled: 1-line block ×4, first 2 shown]
	global_load_dwordx4 v[88:91], v[96:97], off
	global_load_dwordx4 v[92:95], v[98:99], off
	v_mul_u32_u24_e32 v35, 0x10001, v100
	v_pk_fma_f16 v0, v0, v35, v110
	v_pk_fma_f16 v1, v1, v35, v112
	v_pk_fma_f16 v2, v2, v35, v113
	v_pk_fma_f16 v3, v3, v35, v114
	v_mul_u32_u24_e32 v35, 0x10001, v101
	v_pk_fma_f16 v0, v60, v35, v0
	v_pk_fma_f16 v1, v61, v35, v1
	v_pk_fma_f16 v2, v62, v35, v2
	v_pk_fma_f16 v3, v63, v35, v3
	;; [unrolled: 5-line block ×6, first 2 shown]
	s_waitcnt vmcnt(3)
	ds_write_b128 v51, v[80:83]
	s_waitcnt vmcnt(2)
	ds_write_b128 v52, v[84:87]
	;; [unrolled: 2-line block ×4, first 2 shown]
	s_waitcnt lgkmcnt(0)
	s_barrier
	ds_read2_b64 v[0:3], v56 offset1:32
	ds_read_u16 v60, v55 offset:64
	ds_read_u16 v66, v55 offset:68
	;; [unrolled: 1-line block ×16, first 2 shown]
	s_waitcnt lgkmcnt(14)
	v_mul_u32_u24_e32 v81, 0x10001, v60
	ds_read2_b64 v[60:63], v56 offset0:128 offset1:160
	v_pk_fma_f16 v0, v0, v81, v59
	v_pk_fma_f16 v59, v1, v81, v64
	;; [unrolled: 1-line block ×3, first 2 shown]
	v_mul_u32_u24_e32 v65, 0x10001, v66
	v_pk_fma_f16 v35, v3, v81, v35
	s_waitcnt lgkmcnt(0)
	v_pk_fma_f16 v60, v60, v65, v0
	ds_read2_b64 v[0:3], v106 offset1:32
	v_pk_fma_f16 v59, v61, v65, v59
	v_pk_fma_f16 v64, v62, v65, v64
	v_pk_fma_f16 v35, v63, v65, v35
	v_mul_u32_u24_e32 v65, 0x10001, v67
	s_waitcnt lgkmcnt(0)
	v_pk_fma_f16 v0, v0, v65, v60
	ds_read2_b64 v[60:63], v106 offset0:128 offset1:160
	v_pk_fma_f16 v59, v1, v65, v59
	v_pk_fma_f16 v64, v2, v65, v64
	v_pk_fma_f16 v35, v3, v65, v35
	v_mul_u32_u24_e32 v65, 0x10001, v68
	s_waitcnt lgkmcnt(0)
	v_pk_fma_f16 v60, v60, v65, v0
	ds_read2_b64 v[0:3], v107 offset1:32
	v_pk_fma_f16 v59, v61, v65, v59
	v_pk_fma_f16 v64, v62, v65, v64
	v_pk_fma_f16 v35, v63, v65, v35
	v_mul_u32_u24_e32 v65, 0x10001, v69
	s_waitcnt lgkmcnt(0)
	v_pk_fma_f16 v0, v0, v65, v60
	ds_read2_b64 v[60:63], v107 offset0:128 offset1:160
	v_pk_fma_f16 v59, v1, v65, v59
	v_pk_fma_f16 v64, v2, v65, v64
	v_pk_fma_f16 v35, v3, v65, v35
	v_mul_u32_u24_e32 v65, 0x10001, v70
	;; [unrolled: 14-line block ×6, first 2 shown]
	s_waitcnt lgkmcnt(0)
	v_pk_fma_f16 v60, v60, v65, v0
	ds_read2_b64 v[0:3], v116 offset1:32
	v_pk_fma_f16 v59, v61, v65, v59
	v_pk_fma_f16 v61, v62, v65, v64
	;; [unrolled: 1-line block ×3, first 2 shown]
	v_mul_u32_u24_e32 v62, 0x10001, v79
	s_waitcnt lgkmcnt(0)
	v_pk_fma_f16 v60, v0, v62, v60
	v_pk_fma_f16 v59, v1, v62, v59
	;; [unrolled: 1-line block ×4, first 2 shown]
	ds_read2_b64 v[0:3], v116 offset0:128 offset1:160
	s_waitcnt lgkmcnt(0)
	s_barrier
	s_load_dword s4, s[14:15], 0x4
	v_mul_u32_u24_e32 v62, 0x10001, v80
	v_pk_fma_f16 v0, v0, v62, v60
	v_pk_fma_f16 v1, v1, v62, v59
	;; [unrolled: 1-line block ×3, first 2 shown]
	s_waitcnt lgkmcnt(0)
	s_lshl_b32 s4, s4, 6
	s_add_i32 s2, s4, s2
	s_cmp_ge_i32 s2, s24
	v_pk_fma_f16 v3, v3, v62, v35
	s_cbranch_scc1 .LBB68_17
; %bb.16:                               ;   in Loop: Header=BB68_9 Depth=1
	v_mov_b32_e32 v59, v28
	s_branch .LBB68_9
.LBB68_17:
	v_mov_b32_e32 v6, v5
.LBB68_18:
	v_cmp_lt_i32_e32 vcc, v30, v29
	v_cmp_ne_u32_e64 s[4:5], 0, v6
	s_nop 0
	v_cndmask_b32_e32 v5, v17, v30, vcc
	v_lshlrev_b32_e32 v5, 2, v5
	ds_bpermute_b32 v5, v5, v46
	v_cmp_lt_i32_e32 vcc, v31, v29
	s_waitcnt lgkmcnt(0)
	v_add_f32_e32 v5, v46, v5
	v_cndmask_b32_e32 v7, v17, v31, vcc
	v_lshlrev_b32_e32 v7, 2, v7
	ds_bpermute_b32 v7, v7, v5
	v_cmp_lt_i32_e32 vcc, v32, v29
	s_waitcnt lgkmcnt(0)
	v_add_f32_e32 v5, v5, v7
	;; [unrolled: 6-line block ×4, first 2 shown]
	v_cndmask_b32_e32 v8, v17, v34, vcc
	v_lshlrev_b32_e32 v8, 2, v8
	ds_bpermute_b32 v7, v8, v5
	v_cmp_eq_u32_e32 vcc, 0, v6
	s_waitcnt lgkmcnt(0)
	v_add_f32_e32 v29, v5, v7
	s_and_saveexec_b64 s[6:7], s[4:5]
	s_xor_b64 s[6:7], exec, s[6:7]
	s_cbranch_execnz .LBB68_22
; %bb.19:
	s_andn2_saveexec_b64 s[4:5], s[6:7]
	s_cbranch_execnz .LBB68_25
.LBB68_20:
	s_or_b64 exec, exec, s[4:5]
	s_and_saveexec_b64 s[4:5], vcc
	s_cbranch_execnz .LBB68_26
.LBB68_21:
	s_endpgm
.LBB68_22:
	v_lshl_add_u32 v4, v40, 9, v4
	v_cmp_eq_u32_e64 s[4:5], 0, v38
	ds_write_b128 v4, v[0:3]
	s_and_saveexec_b64 s[8:9], s[4:5]
; %bb.23:
	v_lshlrev_b32_e32 v4, 2, v40
	ds_write_b32 v4, v29 offset:17408
; %bb.24:
	s_or_b64 exec, exec, s[8:9]
                                        ; implicit-def: $vgpr40
                                        ; implicit-def: $vgpr4
	s_andn2_saveexec_b64 s[4:5], s[6:7]
	s_cbranch_execz .LBB68_20
.LBB68_25:
	v_lshl_add_u32 v4, v40, 9, v4
	v_lshlrev_b32_e32 v8, 2, v40
	s_waitcnt lgkmcnt(0)
	s_barrier
	ds_read_b128 v[4:7], v4 offset:512
	ds_read_b32 v8, v8 offset:17412
	s_waitcnt lgkmcnt(1)
	v_pk_add_f16 v0, v4, v0
	v_pk_add_f16 v1, v5, v1
	;; [unrolled: 1-line block ×4, first 2 shown]
	s_waitcnt lgkmcnt(0)
	v_add_f32_e32 v29, v29, v8
	s_or_b64 exec, exec, s[4:5]
	s_and_saveexec_b64 s[4:5], vcc
	s_cbranch_execz .LBB68_21
.LBB68_26:
	s_cmp_eq_u64 s[12:13], 0
	s_cselect_b64 s[4:5], -1, 0
	s_cmp_lg_u32 s3, 0
	s_cselect_b64 s[6:7], -1, 0
	s_or_b64 s[4:5], s[6:7], s[4:5]
	s_and_b64 vcc, exec, s[4:5]
	s_cbranch_vccnz .LBB68_28
; %bb.27:
	v_add_u32_e32 v4, s25, v36
	v_ashrrev_i32_e32 v5, 31, v4
	v_lshl_add_u64 v[4:5], v[4:5], 2, s[12:13]
	global_load_dword v5, v[4:5], off
	v_max_f32_e32 v4, v28, v28
	s_mov_b32 s2, 0x3fb8aa3b
	s_mov_b32 s4, 0xc2ce8ed0
	s_waitcnt vmcnt(0)
	v_max_f32_e32 v6, v5, v5
	v_max_f32_e32 v4, v4, v6
	v_sub_f32_e32 v6, v28, v4
	v_sub_f32_e32 v5, v5, v4
	v_mul_f32_e32 v7, 0x3fb8aa3b, v6
	v_mul_f32_e32 v8, 0x3fb8aa3b, v5
	v_fma_f32 v9, v6, s2, -v7
	v_rndne_f32_e32 v10, v7
	v_fma_f32 v11, v5, s2, -v8
	v_rndne_f32_e32 v12, v8
	v_fmac_f32_e32 v9, 0x32a5705f, v6
	v_sub_f32_e32 v7, v7, v10
	v_fmac_f32_e32 v11, 0x32a5705f, v5
	v_sub_f32_e32 v8, v8, v12
	v_add_f32_e32 v7, v7, v9
	v_cvt_i32_f32_e32 v10, v10
	v_add_f32_e32 v8, v8, v11
	v_exp_f32_e32 v7, v7
	v_cvt_i32_f32_e32 v12, v12
	v_exp_f32_e32 v8, v8
	v_cmp_ngt_f32_e32 vcc, s4, v6
	v_ldexp_f32 v7, v7, v10
	s_mov_b32 s2, 0x42b17218
	v_ldexp_f32 v8, v8, v12
	v_cndmask_b32_e32 v7, 0, v7, vcc
	v_cmp_ngt_f32_e32 vcc, s4, v5
	v_mov_b32_e32 v9, 0x7f800000
	s_nop 0
	v_cndmask_b32_e32 v8, 0, v8, vcc
	v_cmp_nlt_f32_e32 vcc, s2, v6
	s_nop 1
	v_cndmask_b32_e32 v6, v9, v7, vcc
	v_cvt_f16_f32_e32 v7, v6
	v_cmp_nlt_f32_e32 vcc, s2, v5
	s_nop 1
	v_cndmask_b32_e32 v5, v9, v8, vcc
	v_fmac_f32_e32 v5, v29, v6
	v_mul_u32_u24_e32 v6, 0x10001, v7
	v_pk_mul_f16 v0, v0, v6
	v_pk_mul_f16 v1, v1, v6
	;; [unrolled: 1-line block ×4, first 2 shown]
	v_mov_b64_e32 v[28:29], v[4:5]
	v_cmp_gt_i32_e32 vcc, s22, v37
	s_and_b64 exec, exec, vcc
	s_cbranch_execz .LBB68_21
	s_branch .LBB68_29
.LBB68_28:
	v_mov_b32_e32 v5, v29
	v_cmp_gt_i32_e32 vcc, s22, v37
	s_and_b64 exec, exec, vcc
	s_cbranch_execz .LBB68_21
.LBB68_29:
	s_load_dword s2, s[0:1], 0xd4
	v_div_scale_f32 v4, s[0:1], v5, v5, 1.0
	v_rcp_f32_e32 v6, v4
	s_mul_i32 s30, s30, s22
	s_waitcnt lgkmcnt(0)
	s_cmp_lg_u32 s2, 1
	s_cselect_b64 s[0:1], -1, 0
	v_fma_f32 v7, -v4, v6, 1.0
	v_fmac_f32_e32 v6, v7, v6
	v_div_scale_f32 v7, vcc, 1.0, v5, 1.0
	v_mul_f32_e32 v8, v7, v6
	v_fma_f32 v9, -v4, v8, v7
	v_fmac_f32_e32 v8, v9, v6
	v_fma_f32 v4, -v4, v8, v7
	v_div_fmas_f32 v4, v4, v6, v8
	v_div_fixup_f32 v4, v4, v5, 1.0
	v_cndmask_b32_e64 v10, v4, 1.0, s[0:1]
	v_add_u32_e32 v4, s30, v37
	v_mul_lo_u32 v4, v4, s23
	v_add3_u32 v4, s25, v36, v4
	v_cvt_f32_f16_sdwa v7, v0 dst_sel:DWORD dst_unused:UNUSED_PAD src0_sel:WORD_1
	v_cvt_f32_f16_e32 v6, v0
	v_cvt_f32_f16_sdwa v9, v1 dst_sel:DWORD dst_unused:UNUSED_PAD src0_sel:WORD_1
	v_cvt_f32_f16_e32 v8, v1
	v_mul_lo_u32 v4, s2, v4
	v_add_u32_e32 v4, s3, v4
	v_lshl_add_u32 v12, v4, 8, v39
	v_mov_b32_e32 v13, 0
	v_lshl_add_u64 v[0:1], v[12:13], 2, s[16:17]
	v_pk_mul_f32 v[6:7], v[10:11], v[6:7] op_sel_hi:[0,1]
	v_pk_mul_f32 v[8:9], v[10:11], v[8:9] op_sel_hi:[0,1]
	global_store_dwordx4 v[0:1], v[6:9], off
	v_cvt_f32_f16_sdwa v1, v2 dst_sel:DWORD dst_unused:UNUSED_PAD src0_sel:WORD_1
	v_cvt_f32_f16_e32 v0, v2
	v_cvt_f32_f16_sdwa v7, v3 dst_sel:DWORD dst_unused:UNUSED_PAD src0_sel:WORD_1
	v_cvt_f32_f16_e32 v6, v3
	v_cmp_eq_u32_e32 vcc, 0, v38
	v_add_u32_e32 v12, 0x80, v12
	s_and_b64 s[0:1], vcc, s[0:1]
	v_lshl_add_u64 v[8:9], v[12:13], 2, s[16:17]
	v_pk_mul_f32 v[0:1], v[10:11], v[0:1] op_sel_hi:[0,1]
	v_pk_mul_f32 v[2:3], v[10:11], v[6:7] op_sel_hi:[0,1]
	global_store_dwordx4 v[8:9], v[0:3], off
	s_and_b64 exec, exec, s[0:1]
	s_cbranch_execz .LBB68_21
; %bb.30:
	v_mov_b32_e32 v0, s18
	v_mov_b32_e32 v1, s19
	v_ashrrev_i32_e32 v5, 31, v4
	v_lshl_add_u64 v[0:1], v[4:5], 3, v[0:1]
	global_store_dwordx2 v[0:1], v[28:29], off
	s_endpgm
	.section	.rodata,"a",@progbits
	.p2align	6, 0x0
	.amdhsa_kernel _ZL15flash_attn_tileILi256ELi256ELi2ELi2ELb1EEvPKcS1_S1_S1_S1_PKiPfP15HIP_vector_typeIfLj2EEffffjfiS5_IjLj3EEiiiiiiiiiiiliiliiiiil
		.amdhsa_group_segment_fixed_size 20000
		.amdhsa_private_segment_fixed_size 0
		.amdhsa_kernarg_size 464
		.amdhsa_user_sgpr_count 2
		.amdhsa_user_sgpr_dispatch_ptr 0
		.amdhsa_user_sgpr_queue_ptr 0
		.amdhsa_user_sgpr_kernarg_segment_ptr 1
		.amdhsa_user_sgpr_dispatch_id 0
		.amdhsa_user_sgpr_kernarg_preload_length 0
		.amdhsa_user_sgpr_kernarg_preload_offset 0
		.amdhsa_user_sgpr_private_segment_size 0
		.amdhsa_uses_dynamic_stack 0
		.amdhsa_enable_private_segment 0
		.amdhsa_system_sgpr_workgroup_id_x 1
		.amdhsa_system_sgpr_workgroup_id_y 1
		.amdhsa_system_sgpr_workgroup_id_z 1
		.amdhsa_system_sgpr_workgroup_info 0
		.amdhsa_system_vgpr_workitem_id 1
		.amdhsa_next_free_vgpr 117
		.amdhsa_next_free_sgpr 40
		.amdhsa_accum_offset 120
		.amdhsa_reserve_vcc 1
		.amdhsa_float_round_mode_32 0
		.amdhsa_float_round_mode_16_64 0
		.amdhsa_float_denorm_mode_32 3
		.amdhsa_float_denorm_mode_16_64 3
		.amdhsa_dx10_clamp 1
		.amdhsa_ieee_mode 1
		.amdhsa_fp16_overflow 0
		.amdhsa_tg_split 0
		.amdhsa_exception_fp_ieee_invalid_op 0
		.amdhsa_exception_fp_denorm_src 0
		.amdhsa_exception_fp_ieee_div_zero 0
		.amdhsa_exception_fp_ieee_overflow 0
		.amdhsa_exception_fp_ieee_underflow 0
		.amdhsa_exception_fp_ieee_inexact 0
		.amdhsa_exception_int_div_zero 0
	.end_amdhsa_kernel
	.section	.text._ZL15flash_attn_tileILi256ELi256ELi2ELi2ELb1EEvPKcS1_S1_S1_S1_PKiPfP15HIP_vector_typeIfLj2EEffffjfiS5_IjLj3EEiiiiiiiiiiiliiliiiiil,"axG",@progbits,_ZL15flash_attn_tileILi256ELi256ELi2ELi2ELb1EEvPKcS1_S1_S1_S1_PKiPfP15HIP_vector_typeIfLj2EEffffjfiS5_IjLj3EEiiiiiiiiiiiliiliiiiil,comdat
.Lfunc_end68:
	.size	_ZL15flash_attn_tileILi256ELi256ELi2ELi2ELb1EEvPKcS1_S1_S1_S1_PKiPfP15HIP_vector_typeIfLj2EEffffjfiS5_IjLj3EEiiiiiiiiiiiliiliiiiil, .Lfunc_end68-_ZL15flash_attn_tileILi256ELi256ELi2ELi2ELb1EEvPKcS1_S1_S1_S1_PKiPfP15HIP_vector_typeIfLj2EEffffjfiS5_IjLj3EEiiiiiiiiiiiliiliiiiil
                                        ; -- End function
	.set _ZL15flash_attn_tileILi256ELi256ELi2ELi2ELb1EEvPKcS1_S1_S1_S1_PKiPfP15HIP_vector_typeIfLj2EEffffjfiS5_IjLj3EEiiiiiiiiiiiliiliiiiil.num_vgpr, 117
	.set _ZL15flash_attn_tileILi256ELi256ELi2ELi2ELb1EEvPKcS1_S1_S1_S1_PKiPfP15HIP_vector_typeIfLj2EEffffjfiS5_IjLj3EEiiiiiiiiiiiliiliiiiil.num_agpr, 0
	.set _ZL15flash_attn_tileILi256ELi256ELi2ELi2ELb1EEvPKcS1_S1_S1_S1_PKiPfP15HIP_vector_typeIfLj2EEffffjfiS5_IjLj3EEiiiiiiiiiiiliiliiiiil.numbered_sgpr, 40
	.set _ZL15flash_attn_tileILi256ELi256ELi2ELi2ELb1EEvPKcS1_S1_S1_S1_PKiPfP15HIP_vector_typeIfLj2EEffffjfiS5_IjLj3EEiiiiiiiiiiiliiliiiiil.num_named_barrier, 0
	.set _ZL15flash_attn_tileILi256ELi256ELi2ELi2ELb1EEvPKcS1_S1_S1_S1_PKiPfP15HIP_vector_typeIfLj2EEffffjfiS5_IjLj3EEiiiiiiiiiiiliiliiiiil.private_seg_size, 0
	.set _ZL15flash_attn_tileILi256ELi256ELi2ELi2ELb1EEvPKcS1_S1_S1_S1_PKiPfP15HIP_vector_typeIfLj2EEffffjfiS5_IjLj3EEiiiiiiiiiiiliiliiiiil.uses_vcc, 1
	.set _ZL15flash_attn_tileILi256ELi256ELi2ELi2ELb1EEvPKcS1_S1_S1_S1_PKiPfP15HIP_vector_typeIfLj2EEffffjfiS5_IjLj3EEiiiiiiiiiiiliiliiiiil.uses_flat_scratch, 0
	.set _ZL15flash_attn_tileILi256ELi256ELi2ELi2ELb1EEvPKcS1_S1_S1_S1_PKiPfP15HIP_vector_typeIfLj2EEffffjfiS5_IjLj3EEiiiiiiiiiiiliiliiiiil.has_dyn_sized_stack, 0
	.set _ZL15flash_attn_tileILi256ELi256ELi2ELi2ELb1EEvPKcS1_S1_S1_S1_PKiPfP15HIP_vector_typeIfLj2EEffffjfiS5_IjLj3EEiiiiiiiiiiiliiliiiiil.has_recursion, 0
	.set _ZL15flash_attn_tileILi256ELi256ELi2ELi2ELb1EEvPKcS1_S1_S1_S1_PKiPfP15HIP_vector_typeIfLj2EEffffjfiS5_IjLj3EEiiiiiiiiiiiliiliiiiil.has_indirect_call, 0
	.section	.AMDGPU.csdata,"",@progbits
; Kernel info:
; codeLenInByte = 9208
; TotalNumSgprs: 46
; NumVgprs: 117
; NumAgprs: 0
; TotalNumVgprs: 117
; ScratchSize: 0
; MemoryBound: 0
; FloatMode: 240
; IeeeMode: 1
; LDSByteSize: 20000 bytes/workgroup (compile time only)
; SGPRBlocks: 5
; VGPRBlocks: 14
; NumSGPRsForWavesPerEU: 46
; NumVGPRsForWavesPerEU: 117
; AccumOffset: 120
; Occupancy: 4
; WaveLimiterHint : 1
; COMPUTE_PGM_RSRC2:SCRATCH_EN: 0
; COMPUTE_PGM_RSRC2:USER_SGPR: 2
; COMPUTE_PGM_RSRC2:TRAP_HANDLER: 0
; COMPUTE_PGM_RSRC2:TGID_X_EN: 1
; COMPUTE_PGM_RSRC2:TGID_Y_EN: 1
; COMPUTE_PGM_RSRC2:TGID_Z_EN: 1
; COMPUTE_PGM_RSRC2:TIDIG_COMP_CNT: 1
; COMPUTE_PGM_RSRC3_GFX90A:ACCUM_OFFSET: 29
; COMPUTE_PGM_RSRC3_GFX90A:TG_SPLIT: 0
	.section	.text._ZL15flash_attn_tileILi256ELi256ELi1ELi2ELb1EEvPKcS1_S1_S1_S1_PKiPfP15HIP_vector_typeIfLj2EEffffjfiS5_IjLj3EEiiiiiiiiiiiliiliiiiil,"axG",@progbits,_ZL15flash_attn_tileILi256ELi256ELi1ELi2ELb1EEvPKcS1_S1_S1_S1_PKiPfP15HIP_vector_typeIfLj2EEffffjfiS5_IjLj3EEiiiiiiiiiiiliiliiiiil,comdat
	.globl	_ZL15flash_attn_tileILi256ELi256ELi1ELi2ELb1EEvPKcS1_S1_S1_S1_PKiPfP15HIP_vector_typeIfLj2EEffffjfiS5_IjLj3EEiiiiiiiiiiiliiliiiiil ; -- Begin function _ZL15flash_attn_tileILi256ELi256ELi1ELi2ELb1EEvPKcS1_S1_S1_S1_PKiPfP15HIP_vector_typeIfLj2EEffffjfiS5_IjLj3EEiiiiiiiiiiiliiliiiiil
	.p2align	8
	.type	_ZL15flash_attn_tileILi256ELi256ELi1ELi2ELb1EEvPKcS1_S1_S1_S1_PKiPfP15HIP_vector_typeIfLj2EEffffjfiS5_IjLj3EEiiiiiiiiiiiliiliiiiil,@function
_ZL15flash_attn_tileILi256ELi256ELi1ELi2ELb1EEvPKcS1_S1_S1_S1_PKiPfP15HIP_vector_typeIfLj2EEffffjfiS5_IjLj3EEiiiiiiiiiiiliiliiiiil: ; @_ZL15flash_attn_tileILi256ELi256ELi1ELi2ELb1EEvPKcS1_S1_S1_S1_PKiPfP15HIP_vector_typeIfLj2EEffffjfiS5_IjLj3EEiiiiiiiiiiiliiliiiiil
; %bb.0:
	s_load_dwordx4 s[20:23], s[0:1], 0x5c
	s_load_dwordx2 s[24:25], s[0:1], 0x80
	s_load_dwordx2 s[28:29], s[0:1], 0xb8
	s_mov_b64 s[26:27], 0
	s_waitcnt lgkmcnt(0)
	s_lshr_b32 s5, s23, 31
	s_add_i32 s5, s23, s5
	s_ashr_i32 s5, s5, 1
	v_cvt_f32_u32_e32 v1, s5
	s_sub_i32 s6, 0, s5
	v_rcp_iflag_f32_e32 v1, v1
	s_nop 0
	v_mul_f32_e32 v1, 0x4f7ffffe, v1
	v_cvt_u32_f32_e32 v1, v1
	s_nop 0
	v_readfirstlane_b32 s7, v1
	s_mul_i32 s6, s6, s7
	s_mul_hi_u32 s6, s7, s6
	s_add_i32 s7, s7, s6
	s_mul_hi_u32 s6, s4, s7
	s_mul_i32 s7, s6, s5
	s_sub_i32 s7, s4, s7
	s_add_i32 s8, s6, 1
	s_sub_i32 s9, s7, s5
	s_cmp_ge_u32 s7, s5
	s_cselect_b32 s6, s8, s6
	s_cselect_b32 s7, s9, s7
	s_add_i32 s8, s6, 1
	s_cmp_ge_u32 s7, s5
	s_cselect_b32 s30, s8, s6
	s_abs_i32 s5, s25
	v_cvt_f32_u32_e32 v1, s5
	s_sub_i32 s7, 0, s5
	s_abs_i32 s6, s23
	s_lshl_b32 s35, s4, 1
	v_rcp_iflag_f32_e32 v1, v1
	s_xor_b32 s4, s23, s25
	s_ashr_i32 s4, s4, 31
	s_mul_i32 s25, s30, s23
	v_mul_f32_e32 v1, 0x4f7ffffe, v1
	v_cvt_u32_f32_e32 v1, v1
	s_nop 0
	v_readfirstlane_b32 s8, v1
	s_mul_i32 s7, s7, s8
	s_mul_hi_u32 s7, s8, s7
	s_add_i32 s8, s8, s7
	s_mul_hi_u32 s7, s6, s8
	s_mul_i32 s8, s7, s5
	s_sub_i32 s6, s6, s8
	s_add_i32 s9, s7, 1
	s_sub_i32 s8, s6, s5
	s_cmp_ge_u32 s6, s5
	s_cselect_b32 s7, s9, s7
	s_cselect_b32 s6, s8, s6
	s_add_i32 s8, s7, 1
	s_cmp_ge_u32 s6, s5
	s_cselect_b32 s5, s8, s7
	s_xor_b32 s5, s5, s4
	s_sub_i32 s33, s5, s4
	s_abs_i32 s34, s33
	v_cvt_f32_u32_e32 v1, s34
	s_load_dwordx16 s[4:19], s[0:1], 0x0
	v_rcp_iflag_f32_e32 v1, v1
	s_waitcnt lgkmcnt(0)
	s_cmp_eq_u64 s[10:11], 0
	v_mul_f32_e32 v1, 0x4f7ffffe, v1
	v_cvt_u32_f32_e32 v1, v1
	s_nop 0
	v_readfirstlane_b32 s31, v1
	s_cbranch_scc1 .LBB69_2
; %bb.1:
	s_abs_i32 s28, s28
	v_cvt_f32_u32_e32 v1, s28
	s_sub_i32 s38, 0, s28
	s_abs_i32 s37, s30
	s_ashr_i32 s36, s30, 31
	v_rcp_iflag_f32_e32 v1, v1
	s_load_dwordx2 s[26:27], s[0:1], 0xc8
	v_mul_f32_e32 v1, 0x4f7ffffe, v1
	v_cvt_u32_f32_e32 v1, v1
	s_nop 0
	v_readfirstlane_b32 s39, v1
	s_mul_i32 s38, s38, s39
	s_mul_hi_u32 s38, s39, s38
	s_add_i32 s39, s39, s38
	s_mul_hi_u32 s38, s37, s39
	s_mul_i32 s38, s38, s28
	s_sub_i32 s37, s37, s38
	s_sub_i32 s38, s37, s28
	s_cmp_ge_u32 s37, s28
	s_cselect_b32 s37, s38, s37
	s_sub_i32 s38, s37, s28
	s_cmp_ge_u32 s37, s28
	s_cselect_b32 s28, s38, s37
	s_xor_b32 s28, s28, s36
	s_sub_i32 s28, s28, s36
	s_ashr_i32 s36, s28, 31
	s_waitcnt lgkmcnt(0)
	s_mul_hi_u32 s37, s26, s28
	s_mul_i32 s36, s26, s36
	s_mul_i32 s27, s27, s28
	s_add_i32 s36, s37, s36
	s_add_i32 s36, s36, s27
	s_mul_i32 s26, s26, s28
	s_add_u32 s26, s10, s26
	s_addc_u32 s27, s11, s36
.LBB69_2:
	v_bfe_u32 v52, v0, 10, 10
	v_lshlrev_b32_e32 v1, 7, v52
	v_and_b32_e32 v25, 0x3ff, v0
	v_and_b32_e32 v1, 0x180, v1
	v_lshlrev_b32_e32 v24, 2, v25
	v_add_u32_e32 v0, v1, v24
	s_movk_i32 s10, 0x100
	s_sub_i32 s25, s35, s25
	v_cmp_gt_u32_e32 vcc, s10, v0
	v_lshlrev_b32_e32 v2, 3, v25
	v_bfe_u32 v51, v52, 2, 1
	v_lshrrev_b32_e32 v50, 3, v52
	v_lshlrev_b32_e32 v0, 2, v24
	s_and_saveexec_b64 s[10:11], vcc
	s_cbranch_execz .LBB69_4
; %bb.3:
	s_load_dwordx4 s[36:39], s[0:1], 0x70
	v_add_u32_e32 v3, s2, v50
	v_mul_hi_u32 v6, s20, v3
	v_add_u32_e32 v6, v3, v6
	v_lshrrev_b32_e32 v6, s21, v6
	s_waitcnt lgkmcnt(0)
	s_mul_i32 s28, s30, s38
	s_ashr_i32 s39, s28, 31
	s_mul_i32 s35, s25, s37
	s_add_u32 s4, s4, s28
	s_addc_u32 s5, s5, s39
	s_ashr_i32 s28, s35, 31
	s_add_u32 s4, s4, s35
	s_mov_b32 s38, s37
	s_addc_u32 s5, s5, s28
	s_ashr_i32 s39, s37, 31
	s_lshr_b64 s[40:41], s[38:39], 2
	s_lshr_b32 s28, s39, 2
	v_mul_lo_u32 v5, s28, v51
	v_mul_lo_u32 v4, s40, v51
	s_ashr_i32 s37, s36, 31
	v_mul_lo_u32 v6, v6, s22
	v_lshl_add_u64 v[4:5], v[4:5], 2, s[4:5]
	s_lshr_b64 s[4:5], s[36:37], 2
	v_sub_u32_e32 v3, v3, v6
	v_mad_u64_u32 v[6:7], s[4:5], s4, v3, 0
	v_mov_b32_e32 v8, v7
	s_lshr_b32 s4, s37, 2
	v_mad_u64_u32 v[8:9], s[4:5], s4, v3, v[8:9]
	v_mov_b32_e32 v7, v8
	v_lshl_add_u64 v[4:5], v[6:7], 2, v[4:5]
	v_lshlrev_b32_e32 v6, 2, v1
	v_mov_b32_e32 v7, 0
	v_lshl_add_u64 v[4:5], v[4:5], 0, v[6:7]
	v_mov_b32_e32 v1, v7
	v_lshl_add_u64 v[4:5], v[4:5], 0, v[0:1]
	global_load_dwordx4 v[4:7], v[4:5], off
	s_load_dword s4, s[0:1], 0x40
	v_lshrrev_b32_e32 v1, 2, v52
	v_lshlrev_b32_e32 v3, 8, v52
	v_lshlrev_b32_e32 v1, 9, v1
	v_and_b32_e32 v3, 0x300, v3
	v_add3_u32 v1, v1, v3, v2
	s_waitcnt vmcnt(0) lgkmcnt(0)
	v_fma_mixlo_f16 v3, s4, v4, 0
	v_mov_b32_e32 v4, v7
	v_pk_mul_f32 v[4:5], s[4:5], v[4:5] op_sel_hi:[0,1]
	v_cvt_pk_f16_f32 v4, v4, v5
	v_fma_mixlo_f16 v6, s4, v6, 0
	v_and_b32_e32 v3, 0xffff, v3
	v_lshlrev_b32_e32 v5, 16, v4
	v_and_b32_e32 v4, 0xffff0000, v4
	v_and_b32_e32 v6, 0xffff, v6
	v_or_b32_e32 v3, v4, v3
	v_or3_b32 v5, v5, v6, 0
	v_or3_b32 v4, 0, 0, v3
	ds_write_b64 v1, v[4:5] offset:18432
.LBB69_4:
	s_or_b64 exec, exec, s[10:11]
	s_cmp_eq_u64 s[14:15], 0
	s_waitcnt lgkmcnt(0)
	s_barrier
	s_cbranch_scc1 .LBB69_6
; %bb.5:
	s_load_dword s4, s[0:1], 0xd0
	s_mov_b32 s5, 0
	s_waitcnt lgkmcnt(0)
	s_mul_i32 s4, s4, s30
	s_add_i32 s4, s4, s2
	s_lshl_b64 s[4:5], s[4:5], 2
	s_add_u32 s4, s14, s4
	s_addc_u32 s5, s15, s5
	s_load_dword s24, s[4:5], 0x0
.LBB69_6:
	s_lshl_b32 s28, s3, 7
	s_waitcnt lgkmcnt(0)
	s_cmp_lt_i32 s28, s24
	v_mbcnt_lo_u32_b32 v1, -1, 0
	v_and_b32_e32 v49, 3, v52
	s_cbranch_scc1 .LBB69_9
; %bb.7:
	v_mbcnt_hi_u32_b32 v37, -1, v1
	v_and_b32_e32 v3, 0x60, v37
	v_add_u32_e32 v72, 32, v3
	v_xor_b32_e32 v73, 16, v37
	v_xor_b32_e32 v74, 8, v37
	;; [unrolled: 1-line block ×5, first 2 shown]
	v_and_b32_e32 v4, 3, v52
	v_lshlrev_b32_e32 v53, 2, v52
	v_cmp_eq_u32_e64 s[4:5], 0, v25
	s_cbranch_execz .LBB69_10
; %bb.8:
	v_mov_b32_e32 v3, 0
	v_mov_b32_e32 v60, 0
	;; [unrolled: 1-line block ×6, first 2 shown]
	s_branch .LBB69_20
.LBB69_9:
                                        ; implicit-def: $vgpr37
                                        ; implicit-def: $vgpr72
                                        ; implicit-def: $vgpr73
                                        ; implicit-def: $vgpr74
                                        ; implicit-def: $vgpr75
                                        ; implicit-def: $vgpr76
                                        ; implicit-def: $vgpr77
                                        ; implicit-def: $vgpr4
	v_lshlrev_b32_e32 v53, 2, v52
	v_cmp_eq_u32_e64 s[4:5], 0, v25
.LBB69_10:
	s_sub_i32 s10, 0, s34
	s_mul_i32 s10, s10, s31
	s_mul_hi_u32 s10, s31, s10
	s_abs_i32 s35, s25
	s_add_i32 s31, s31, s10
	s_mul_hi_u32 s40, s35, s31
	s_load_dwordx4 s[36:39], s[0:1], 0x98
	s_load_dword s31, s[0:1], 0x54
	s_load_dwordx2 s[10:11], s[0:1], 0x8c
	s_ashr_i32 s42, s33, 31
	s_ashr_i32 s41, s25, 31
	s_waitcnt lgkmcnt(0)
	s_ashr_i32 s33, s38, 2
	s_ashr_i32 s38, s29, 1
	s_ashr_i32 s29, s10, 2
	s_ashr_i32 s10, s30, 31
	s_mul_hi_u32 s43, s36, s30
	s_mul_i32 s44, s36, s10
	s_add_i32 s43, s43, s44
	s_mul_i32 s37, s37, s30
	s_add_i32 s43, s43, s37
	s_mul_i32 s36, s36, s30
	s_add_u32 s6, s6, s36
	s_mul_i32 s37, s40, s34
	s_addc_u32 s7, s7, s43
	s_sub_i32 s35, s35, s37
	s_xor_b32 s36, s41, s42
	s_add_i32 s37, s40, 1
	s_sub_i32 s41, s35, s34
	s_cmp_ge_u32 s35, s34
	s_cselect_b32 s37, s37, s40
	s_cselect_b32 s35, s41, s35
	s_add_i32 s40, s37, 1
	s_cmp_ge_u32 s35, s34
	s_cselect_b32 s34, s40, s37
	s_load_dwordx2 s[14:15], s[0:1], 0xa8
	s_xor_b32 s34, s34, s36
	s_sub_i32 s36, s34, s36
	s_mul_i32 s11, s36, s11
	s_ashr_i32 s35, s11, 31
	s_add_u32 s34, s6, s11
	s_addc_u32 s35, s7, s35
	s_waitcnt lgkmcnt(0)
	s_mul_hi_u32 s6, s14, s30
	s_mul_i32 s7, s14, s10
	s_add_i32 s6, s6, s7
	s_mul_i32 s7, s15, s30
	s_add_i32 s6, s6, s7
	s_mul_i32 s7, s14, s30
	s_add_u32 s7, s8, s7
	s_mul_i32 s36, s36, s39
	s_addc_u32 s6, s9, s6
	s_ashr_i32 s8, s36, 31
	s_add_u32 s36, s7, s36
	v_lshrrev_b32_e32 v3, 3, v25
	v_and_b32_e32 v4, 28, v24
	s_addc_u32 s37, s6, s8
	v_add_u32_e32 v3, v3, v53
	v_lshlrev_b32_e32 v5, 2, v4
	s_movk_i32 s6, 0x90
	v_mad_u32_u24 v54, v3, s6, v5
	v_mul_lo_u32 v28, s29, v3
	v_lshlrev_b32_e32 v3, 5, v52
	v_and_b32_e32 v5, 0x60, v3
	v_and_b32_e32 v3, 0x7f80, v3
	v_mov_b32_e32 v7, 0x4800
	v_lshl_add_u32 v59, v3, 2, v7
	v_add_u32_e32 v7, s2, v50
	v_mul_hi_u32 v8, s20, v7
	v_add_u32_e32 v8, v7, v8
	s_lshl_b32 s6, s29, 5
	v_lshrrev_b32_e32 v8, s21, v8
	v_add_u32_e32 v30, s6, v28
	v_mul_lo_u32 v8, v8, s22
	v_add_u32_e32 v32, s6, v30
	v_add_u32_e32 v6, v5, v25
	v_sub_u32_e32 v7, v7, v8
	v_add_u32_e32 v34, s6, v32
	v_mad_u64_u32 v[36:37], s[6:7], v7, s38, v[6:7]
	v_mul_u32_u24_e32 v58, 0x90, v6
	v_and_b32_e32 v6, 3, v25
	s_movk_i32 s6, 0x3fc
	v_and_or_b32 v6, v52, s6, v6
	v_mov_b32_e32 v7, 0x4e00
	v_lshl_add_u32 v62, v6, 2, v7
	v_mov_b32_e32 v6, 0x4c00
	v_lshl_add_u32 v3, v3, 1, v6
	v_mul_lo_u32 v6, s33, v52
	s_lshl_b32 s6, s33, 3
	v_add_u32_e32 v8, s6, v6
	v_add_u32_e32 v10, s6, v8
	;; [unrolled: 1-line block ×3, first 2 shown]
	v_mov_b32_e32 v27, 0
	v_lshl_or_b32 v5, v5, 1, v3
	v_lshl_add_u32 v64, v52, 9, v0
	v_ashrrev_i32_e32 v7, 31, v6
	v_ashrrev_i32_e32 v9, 31, v8
	;; [unrolled: 1-line block ×4, first 2 shown]
	s_add_u32 s14, s0, 0xd0
                                        ; implicit-def: $vgpr0
                                        ; implicit-def: $vgpr0
	;; [unrolled: 1-line block ×3, first 2 shown]
	v_ashrrev_i32_e32 v29, 31, v28
	v_add_u32_e32 v55, 0x1200, v54
	v_ashrrev_i32_e32 v31, 31, v30
	v_add_u32_e32 v56, 0x2400, v54
	;; [unrolled: 2-line block ×4, first 2 shown]
	v_lshl_add_u32 v63, v25, 1, v5
	v_add_u32_e32 v65, 0x1000, v64
	v_add_u32_e32 v66, 0x2000, v64
	;; [unrolled: 1-line block ×3, first 2 shown]
	v_lshl_or_b32 v68, v49, 1, v3
	v_lshl_add_u32 v69, v49, 9, v2
	s_addc_u32 s15, s1, 0
	v_mov_b32_e32 v12, 0xfeffffff
	v_lshlrev_b32_e32 v38, 2, v4
	v_mov_b32_e32 v39, v27
	s_mov_b32 s20, 0x3f200000
	s_mov_b32 s21, 0x3fb8aa3b
	;; [unrolled: 1-line block ×4, first 2 shown]
	v_mov_b32_e32 v70, 0x3ca908c9
	v_mbcnt_hi_u32_b32 v37, -1, v1
	s_brev_b32 s40, -2
	v_lshlrev_b64 v[40:41], 2, v[6:7]
	v_lshlrev_b32_e32 v26, 2, v24
	v_lshlrev_b64 v[42:43], 2, v[8:9]
	v_lshlrev_b64 v[44:45], 2, v[10:11]
	;; [unrolled: 1-line block ×3, first 2 shown]
	v_mov_b32_e32 v71, 0x7f800000
	v_mov_b32_e32 v1, v27
	;; [unrolled: 1-line block ×6, first 2 shown]
.LBB69_11:                              ; =>This Inner Loop Header: Depth=1
	s_mul_hi_i32 s7, s28, s29
	s_mul_i32 s6, s28, s29
	s_lshl_b64 s[6:7], s[6:7], 2
	s_add_u32 s6, s34, s6
	s_addc_u32 s7, s35, s7
	v_lshl_add_u64 v[4:5], v[28:29], 2, s[6:7]
	v_lshl_add_u64 v[8:9], v[32:33], 2, s[6:7]
	;; [unrolled: 1-line block ×7, first 2 shown]
	global_load_dwordx4 v[14:17], v[4:5], off
	global_load_dwordx4 v[18:21], v[6:7], off
	v_lshl_add_u64 v[10:11], v[10:11], 0, v[38:39]
	global_load_dwordx4 v[72:75], v[8:9], off
	global_load_dwordx4 v[76:79], v[10:11], off
	v_mov_b32_e32 v13, 0
	s_waitcnt vmcnt(3)
	ds_write_b128 v54, v[14:17]
	s_waitcnt vmcnt(2)
	ds_write_b128 v55, v[18:21]
	;; [unrolled: 2-line block ×4, first 2 shown]
	s_waitcnt lgkmcnt(0)
	s_barrier
	ds_read_b128 v[14:17], v58
	ds_read_b128 v[18:21], v59
	s_waitcnt lgkmcnt(0)
	;;#ASMSTART
	v_dot2_f32_f16 v13, v14, v18, v13
	;;#ASMEND
	s_nop 0
	;;#ASMSTART
	v_dot2_f32_f16 v13, v15, v19, v13
	;;#ASMEND
	s_nop 0
	;;#ASMSTART
	v_dot2_f32_f16 v13, v16, v20, v13
	;;#ASMEND
	s_nop 0
	;;#ASMSTART
	v_dot2_f32_f16 v13, v17, v21, v13
	;;#ASMEND
	ds_read_b128 v[14:17], v58 offset:16
	ds_read_b128 v[18:21], v59 offset:16
	s_waitcnt lgkmcnt(0)
	;;#ASMSTART
	v_dot2_f32_f16 v13, v14, v18, v13
	;;#ASMEND
	s_nop 0
	;;#ASMSTART
	v_dot2_f32_f16 v13, v15, v19, v13
	;;#ASMEND
	s_nop 0
	;;#ASMSTART
	v_dot2_f32_f16 v13, v16, v20, v13
	;;#ASMEND
	s_nop 0
	;;#ASMSTART
	v_dot2_f32_f16 v13, v17, v21, v13
	;;#ASMEND
	ds_read_b128 v[14:17], v58 offset:32
	ds_read_b128 v[18:21], v59 offset:32
	;; [unrolled: 18-line block ×7, first 2 shown]
	s_waitcnt lgkmcnt(0)
	;;#ASMSTART
	v_dot2_f32_f16 v13, v14, v18, v13
	;;#ASMEND
	s_nop 0
	;;#ASMSTART
	v_dot2_f32_f16 v13, v15, v19, v13
	;;#ASMEND
	s_nop 0
	;; [unrolled: 4-line block ×3, first 2 shown]
	;;#ASMSTART
	v_dot2_f32_f16 v13, v17, v21, v13
	;;#ASMEND
	s_barrier
	global_load_dwordx4 v[14:17], v[4:5], off offset:128
	global_load_dwordx4 v[18:21], v[6:7], off offset:128
	;; [unrolled: 1-line block ×4, first 2 shown]
	s_waitcnt vmcnt(3)
	ds_write_b128 v54, v[14:17]
	s_waitcnt vmcnt(2)
	ds_write_b128 v55, v[18:21]
	;; [unrolled: 2-line block ×4, first 2 shown]
	s_waitcnt lgkmcnt(0)
	s_barrier
	ds_read_b128 v[14:17], v58
	ds_read_b128 v[18:21], v59 offset:128
	s_waitcnt lgkmcnt(0)
	;;#ASMSTART
	v_dot2_f32_f16 v13, v14, v18, v13
	;;#ASMEND
	s_nop 0
	;;#ASMSTART
	v_dot2_f32_f16 v13, v15, v19, v13
	;;#ASMEND
	s_nop 0
	;;#ASMSTART
	v_dot2_f32_f16 v13, v16, v20, v13
	;;#ASMEND
	s_nop 0
	;;#ASMSTART
	v_dot2_f32_f16 v13, v17, v21, v13
	;;#ASMEND
	ds_read_b128 v[14:17], v58 offset:16
	ds_read_b128 v[18:21], v59 offset:144
	s_waitcnt lgkmcnt(0)
	;;#ASMSTART
	v_dot2_f32_f16 v13, v14, v18, v13
	;;#ASMEND
	s_nop 0
	;;#ASMSTART
	v_dot2_f32_f16 v13, v15, v19, v13
	;;#ASMEND
	s_nop 0
	;;#ASMSTART
	v_dot2_f32_f16 v13, v16, v20, v13
	;;#ASMEND
	s_nop 0
	;;#ASMSTART
	v_dot2_f32_f16 v13, v17, v21, v13
	;;#ASMEND
	ds_read_b128 v[14:17], v58 offset:32
	;; [unrolled: 18-line block ×7, first 2 shown]
	ds_read_b128 v[18:21], v59 offset:240
	s_waitcnt lgkmcnt(0)
	;;#ASMSTART
	v_dot2_f32_f16 v13, v14, v18, v13
	;;#ASMEND
	s_nop 0
	;;#ASMSTART
	v_dot2_f32_f16 v13, v15, v19, v13
	;;#ASMEND
	s_nop 0
	;; [unrolled: 4-line block ×3, first 2 shown]
	;;#ASMSTART
	v_dot2_f32_f16 v13, v17, v21, v13
	;;#ASMEND
	s_barrier
	global_load_dwordx4 v[14:17], v[4:5], off offset:256
	global_load_dwordx4 v[18:21], v[6:7], off offset:256
	;; [unrolled: 1-line block ×4, first 2 shown]
	s_waitcnt vmcnt(3)
	ds_write_b128 v54, v[14:17]
	s_waitcnt vmcnt(2)
	ds_write_b128 v55, v[18:21]
	;; [unrolled: 2-line block ×4, first 2 shown]
	s_waitcnt lgkmcnt(0)
	s_barrier
	ds_read_b128 v[14:17], v58
	ds_read_b128 v[18:21], v59 offset:256
	s_waitcnt lgkmcnt(0)
	;;#ASMSTART
	v_dot2_f32_f16 v13, v14, v18, v13
	;;#ASMEND
	s_nop 0
	;;#ASMSTART
	v_dot2_f32_f16 v13, v15, v19, v13
	;;#ASMEND
	s_nop 0
	;;#ASMSTART
	v_dot2_f32_f16 v13, v16, v20, v13
	;;#ASMEND
	s_nop 0
	;;#ASMSTART
	v_dot2_f32_f16 v13, v17, v21, v13
	;;#ASMEND
	ds_read_b128 v[14:17], v58 offset:16
	ds_read_b128 v[18:21], v59 offset:272
	s_waitcnt lgkmcnt(0)
	;;#ASMSTART
	v_dot2_f32_f16 v13, v14, v18, v13
	;;#ASMEND
	s_nop 0
	;;#ASMSTART
	v_dot2_f32_f16 v13, v15, v19, v13
	;;#ASMEND
	s_nop 0
	;;#ASMSTART
	v_dot2_f32_f16 v13, v16, v20, v13
	;;#ASMEND
	s_nop 0
	;;#ASMSTART
	v_dot2_f32_f16 v13, v17, v21, v13
	;;#ASMEND
	ds_read_b128 v[14:17], v58 offset:32
	;; [unrolled: 18-line block ×7, first 2 shown]
	ds_read_b128 v[18:21], v59 offset:368
	s_waitcnt lgkmcnt(0)
	;;#ASMSTART
	v_dot2_f32_f16 v13, v14, v18, v13
	;;#ASMEND
	s_nop 0
	;;#ASMSTART
	v_dot2_f32_f16 v13, v15, v19, v13
	;;#ASMEND
	s_nop 0
	;; [unrolled: 4-line block ×3, first 2 shown]
	;;#ASMSTART
	v_dot2_f32_f16 v13, v17, v21, v13
	;;#ASMEND
	s_barrier
	global_load_dwordx4 v[14:17], v[4:5], off offset:384
	global_load_dwordx4 v[18:21], v[6:7], off offset:384
	;; [unrolled: 1-line block ×4, first 2 shown]
	s_waitcnt vmcnt(3)
	ds_write_b128 v54, v[14:17]
	s_waitcnt vmcnt(2)
	ds_write_b128 v55, v[18:21]
	;; [unrolled: 2-line block ×4, first 2 shown]
	s_waitcnt lgkmcnt(0)
	s_barrier
	ds_read_b128 v[4:7], v58
	ds_read_b128 v[8:11], v59 offset:384
	s_waitcnt lgkmcnt(0)
	;;#ASMSTART
	v_dot2_f32_f16 v13, v4, v8, v13
	;;#ASMEND
	s_nop 0
	;;#ASMSTART
	v_dot2_f32_f16 v13, v5, v9, v13
	;;#ASMEND
	v_add_u32_e32 v14, s28, v36
	;;#ASMSTART
	v_dot2_f32_f16 v13, v6, v10, v13
	;;#ASMEND
	v_ashrrev_i32_e32 v15, 31, v14
	;;#ASMSTART
	v_dot2_f32_f16 v13, v7, v11, v13
	;;#ASMEND
	ds_read_b128 v[4:7], v58 offset:16
	ds_read_b128 v[8:11], v59 offset:400
	s_waitcnt lgkmcnt(0)
	;;#ASMSTART
	v_dot2_f32_f16 v13, v4, v8, v13
	;;#ASMEND
	s_nop 0
	;;#ASMSTART
	v_dot2_f32_f16 v13, v5, v9, v13
	;;#ASMEND
	v_lshl_add_u64 v[14:15], v[14:15], 1, s[26:27]
	;;#ASMSTART
	v_dot2_f32_f16 v13, v6, v10, v13
	;;#ASMEND
	s_nop 0
	;;#ASMSTART
	v_dot2_f32_f16 v13, v7, v11, v13
	;;#ASMEND
	ds_read_b128 v[4:7], v58 offset:32
	ds_read_b128 v[8:11], v59 offset:416
	s_waitcnt lgkmcnt(0)
	;;#ASMSTART
	v_dot2_f32_f16 v13, v4, v8, v13
	;;#ASMEND
	s_nop 0
	;;#ASMSTART
	v_dot2_f32_f16 v13, v5, v9, v13
	;;#ASMEND
	s_nop 0
	;;#ASMSTART
	v_dot2_f32_f16 v13, v6, v10, v13
	;;#ASMEND
	s_nop 0
	;;#ASMSTART
	v_dot2_f32_f16 v13, v7, v11, v13
	;;#ASMEND
	ds_read_b128 v[4:7], v58 offset:48
	ds_read_b128 v[8:11], v59 offset:432
	s_waitcnt lgkmcnt(0)
	;;#ASMSTART
	v_dot2_f32_f16 v13, v4, v8, v13
	;;#ASMEND
	s_nop 0
	;;#ASMSTART
	v_dot2_f32_f16 v13, v5, v9, v13
	;;#ASMEND
	s_nop 0
	;; [unrolled: 18-line block ×5, first 2 shown]
	;;#ASMSTART
	v_dot2_f32_f16 v13, v6, v10, v13
	;;#ASMEND
	s_nop 0
	;;#ASMSTART
	v_dot2_f32_f16 v13, v7, v11, v13
	;;#ASMEND
	ds_read_b128 v[4:7], v58 offset:112
	ds_read_b128 v[8:11], v59 offset:496
	s_waitcnt lgkmcnt(0)
	;;#ASMSTART
	v_dot2_f32_f16 v13, v4, v8, v13
	;;#ASMEND
	s_nop 0
	;;#ASMSTART
	v_dot2_f32_f16 v13, v5, v9, v13
	;;#ASMEND
                                        ; implicit-def: $vgpr5
	s_nop 0
	;;#ASMSTART
	v_dot2_f32_f16 v13, v6, v10, v13
	;;#ASMEND
	s_nop 0
	;;#ASMSTART
	v_dot2_f32_f16 v13, v7, v11, v13
	;;#ASMEND
	global_load_ushort v4, v[14:15], off
	v_cmp_nlt_f32_e64 s[6:7], |v13|, s20
	s_and_saveexec_b64 s[8:9], s[6:7]
	s_xor_b64 s[6:7], exec, s[8:9]
	s_cbranch_execz .LBB69_13
; %bb.12:                               ;   in Loop: Header=BB69_11 Depth=1
	v_add_f32_e64 v5, |v13|, |v13|
	v_mul_f32_e32 v6, 0x3fb8aa3b, v5
	v_rndne_f32_e32 v7, v6
	v_sub_f32_e32 v8, v6, v7
	v_fma_f32 v6, v5, s21, -v6
	v_fmac_f32_e32 v6, 0x32a5705f, v5
	v_add_f32_e32 v6, v8, v6
	v_cvt_i32_f32_e32 v7, v7
	v_exp_f32_e32 v6, v6
	v_cmp_ngt_f32_e32 vcc, s38, v5
	v_ldexp_f32 v6, v6, v7
	s_nop 0
	v_cndmask_b32_e32 v6, 0, v6, vcc
	v_cmp_nlt_f32_e32 vcc, s39, v5
	s_nop 1
	v_cndmask_b32_e32 v5, v71, v6, vcc
	v_add_f32_e32 v5, 1.0, v5
	v_rcp_f32_e32 v5, v5
	s_nop 0
	v_fma_f32 v5, v5, -2.0, 1.0
.LBB69_13:                              ;   in Loop: Header=BB69_11 Depth=1
	s_andn2_saveexec_b64 s[6:7], s[6:7]
; %bb.14:                               ;   in Loop: Header=BB69_11 Depth=1
	v_mul_f32_e32 v5, v13, v13
	v_fmamk_f32 v6, v5, 0xbbbac73d, v70
	v_fmaak_f32 v6, v5, v6, 0xbd5c1c4e
	v_fmaak_f32 v6, v5, v6, 0x3e088382
	;; [unrolled: 1-line block ×3, first 2 shown]
	v_mul_f32_e64 v6, |v13|, v6
	v_fma_f32 v5, v5, v6, |v13|
; %bb.15:                               ;   in Loop: Header=BB69_11 Depth=1
	s_or_b64 exec, exec, s[6:7]
	v_and_b32_e32 v6, 0x60, v37
	v_add_u32_e32 v72, 32, v6
	v_xor_b32_e32 v73, 16, v37
	v_bfi_b32 v5, s40, v5, v13
	v_cmp_lt_i32_e32 vcc, v73, v72
	s_waitcnt vmcnt(0)
	v_fma_mix_f32 v4, s31, v5, v4 op_sel_hi:[0,0,1]
	v_add_f32_e32 v5, 0x40051340, v4
	v_cndmask_b32_e32 v6, v37, v73, vcc
	v_max_f32_e32 v7, v12, v12
	v_lshlrev_b32_e32 v6, 2, v6
	v_max_f32_e32 v5, v7, v5
	ds_bpermute_b32 v6, v6, v5
	v_xor_b32_e32 v74, 8, v37
	v_cmp_lt_i32_e32 vcc, v74, v72
	v_xor_b32_e32 v75, 4, v37
	v_xor_b32_e32 v76, 2, v37
	v_cndmask_b32_e32 v7, v37, v74, vcc
	s_waitcnt lgkmcnt(0)
	v_max_f32_e32 v6, v6, v6
	v_lshlrev_b32_e32 v7, 2, v7
	v_max_f32_e32 v5, v5, v6
	ds_bpermute_b32 v6, v7, v5
	v_cmp_lt_i32_e32 vcc, v75, v72
	v_xor_b32_e32 v77, 1, v37
	s_waitcnt lgkmcnt(0)
	v_max_f32_e32 v6, v6, v6
	v_cndmask_b32_e32 v7, v37, v75, vcc
	v_lshlrev_b32_e32 v7, 2, v7
	v_max_f32_e32 v5, v5, v6
	ds_bpermute_b32 v6, v7, v5
	v_cmp_lt_i32_e32 vcc, v76, v72
	s_waitcnt lgkmcnt(0)
	v_max_f32_e32 v6, v6, v6
	v_cndmask_b32_e32 v7, v37, v76, vcc
	v_lshlrev_b32_e32 v7, 2, v7
	v_max_f32_e32 v5, v5, v6
	ds_bpermute_b32 v6, v7, v5
	v_cmp_lt_i32_e32 vcc, v77, v72
	s_waitcnt lgkmcnt(0)
	v_max_f32_e32 v6, v6, v6
	v_cndmask_b32_e32 v7, v37, v77, vcc
	v_lshlrev_b32_e32 v7, 2, v7
	v_max_f32_e32 v5, v5, v6
	ds_bpermute_b32 v6, v7, v5
	s_and_saveexec_b64 s[6:7], s[4:5]
	s_cbranch_execz .LBB69_17
; %bb.16:                               ;   in Loop: Header=BB69_11 Depth=1
	s_waitcnt lgkmcnt(0)
	v_max_f32_e32 v6, v6, v6
	v_max_f32_e32 v5, v5, v5
	;; [unrolled: 1-line block ×3, first 2 shown]
	ds_write_b32 v61, v5
.LBB69_17:                              ;   in Loop: Header=BB69_11 Depth=1
	s_or_b64 exec, exec, s[6:7]
	s_mul_hi_i32 s7, s28, s33
	s_mul_i32 s6, s28, s33
	s_lshl_b64 s[6:7], s[6:7], 2
	s_add_u32 s6, s36, s6
	s_addc_u32 s7, s37, s7
	s_waitcnt lgkmcnt(0)
	v_lshl_add_u64 v[6:7], s[6:7], 0, v[40:41]
	v_lshl_add_u64 v[10:11], v[6:7], 0, v[26:27]
	;; [unrolled: 1-line block ×3, first 2 shown]
	s_barrier
	v_lshl_add_u64 v[18:19], v[6:7], 0, v[26:27]
	global_load_dwordx4 v[6:9], v[10:11], off
	global_load_dwordx4 v[14:17], v[18:19], off
	v_lshl_add_u64 v[10:11], s[6:7], 0, v[44:45]
	v_lshl_add_u64 v[10:11], v[10:11], 0, v[26:27]
	;; [unrolled: 1-line block ×4, first 2 shown]
	global_load_dwordx4 v[18:21], v[10:11], off
	global_load_dwordx4 v[82:85], v[22:23], off
	ds_read_b32 v5, v62
	v_and_b32_e32 v10, 0x7c, v37
	v_add_u32_e32 v10, 4, v10
	v_cmp_lt_i32_e32 vcc, v76, v10
	v_add_u32_e32 v80, 0x800, v69
	v_add_u32_e32 v81, 0x1000, v69
	v_cndmask_b32_e32 v11, v37, v76, vcc
	v_lshlrev_b32_e32 v11, 2, v11
	s_waitcnt lgkmcnt(0)
	ds_bpermute_b32 v11, v11, v5
	v_cmp_lt_i32_e32 vcc, v77, v10
	v_max_f32_e32 v5, v5, v5
	v_add_u32_e32 v86, 0x3800, v69
	v_cndmask_b32_e32 v10, v37, v77, vcc
	s_waitcnt lgkmcnt(0)
	v_max_f32_e32 v11, v11, v11
	v_lshlrev_b32_e32 v10, 2, v10
	v_max_f32_e32 v5, v5, v11
	ds_bpermute_b32 v10, v10, v5
	s_waitcnt lgkmcnt(0)
	v_max_f32_e32 v10, v10, v10
	v_max_f32_e32 v48, v5, v10
	v_sub_f32_e32 v5, v12, v48
	v_sub_f32_e32 v4, v4, v48
	v_mul_f32_e32 v11, 0x3fb8aa3b, v5
	v_mul_f32_e32 v10, 0x3fb8aa3b, v4
	v_fma_f32 v22, v5, s21, -v11
	v_rndne_f32_e32 v23, v11
	v_fma_f32 v12, v4, s21, -v10
	v_rndne_f32_e32 v13, v10
	v_fmac_f32_e32 v22, 0x32a5705f, v5
	v_sub_f32_e32 v11, v11, v23
	v_fmac_f32_e32 v12, 0x32a5705f, v4
	v_sub_f32_e32 v10, v10, v13
	v_add_f32_e32 v11, v11, v22
	v_cvt_i32_f32_e32 v23, v23
	v_add_f32_e32 v10, v10, v12
	v_exp_f32_e32 v11, v11
	v_cvt_i32_f32_e32 v13, v13
	v_exp_f32_e32 v10, v10
	v_cmp_ngt_f32_e64 s[6:7], s38, v5
	v_cmp_nlt_f32_e64 s[10:11], s39, v5
	v_ldexp_f32 v5, v11, v23
	v_cmp_ngt_f32_e32 vcc, s38, v4
	v_cmp_nlt_f32_e64 s[8:9], s39, v4
	v_ldexp_f32 v4, v10, v13
	v_cndmask_b32_e64 v5, 0, v5, s[6:7]
	v_cndmask_b32_e32 v4, 0, v4, vcc
	v_cndmask_b32_e64 v79, v71, v5, s[10:11]
	v_cndmask_b32_e64 v78, v71, v4, s[8:9]
	v_cvt_f16_f32_e32 v4, v79
	v_cvt_f16_f32_e32 v5, v78
	s_or_b32 s6, s28, 32
	s_mul_hi_i32 s7, s6, s33
	v_mul_u32_u24_e32 v10, 0x10001, v4
	s_mul_i32 s6, s6, s33
	ds_write_b16 v63, v5
	v_pk_mul_f16 v11, v2, v10
	v_pk_mul_f16 v12, v3, v10
	s_lshl_b64 s[6:7], s[6:7], 2
	s_add_u32 s6, s36, s6
	s_addc_u32 s7, s37, s7
	v_lshl_add_u64 v[88:89], s[6:7], 0, v[40:41]
	v_lshl_add_u64 v[96:97], v[88:89], 0, v[26:27]
	;; [unrolled: 1-line block ×4, first 2 shown]
	v_fma_f32 v60, v60, v79, v78
	s_waitcnt vmcnt(3)
	ds_write_b128 v64, v[6:9]
	s_waitcnt vmcnt(2)
	ds_write_b128 v65, v[14:17]
	;; [unrolled: 2-line block ×4, first 2 shown]
	s_waitcnt lgkmcnt(0)
	s_barrier
	ds_read2_b64 v[2:5], v69 offset1:32
	ds_read_u16 v13, v68
	ds_read_u16 v14, v68 offset:8
	ds_read_u16 v87, v68 offset:16
	;; [unrolled: 1-line block ×7, first 2 shown]
	ds_read2_b64 v[6:9], v80 offset1:32
	s_waitcnt lgkmcnt(8)
	v_mul_u32_u24_e32 v13, 0x10001, v13
	v_pk_mul_f16 v2, v2, v13
	v_pk_mul_f16 v3, v3, v13
	v_pk_fma_f16 v4, v4, v13, v11
	v_pk_fma_f16 v0, v0, v10, v2
	;; [unrolled: 1-line block ×4, first 2 shown]
	s_waitcnt lgkmcnt(7)
	v_mul_u32_u24_e32 v11, 0x10001, v14
	v_add_u32_e32 v82, 0x1800, v69
	v_add_u32_e32 v85, 0x2000, v69
	;; [unrolled: 1-line block ×4, first 2 shown]
	s_waitcnt lgkmcnt(0)
	v_pk_fma_f16 v113, v6, v11, v0
	ds_read2_b64 v[0:3], v81 offset1:32
	v_pk_fma_f16 v114, v7, v11, v10
	v_pk_fma_f16 v115, v8, v11, v4
	v_pk_fma_f16 v116, v9, v11, v5
	ds_read2_b64 v[4:7], v82 offset1:32
	ds_read2_b64 v[8:11], v85 offset1:32
	;; [unrolled: 1-line block ×5, first 2 shown]
	s_waitcnt lgkmcnt(0)
	s_barrier
	global_load_dwordx4 v[88:91], v[96:97], off
	global_load_dwordx4 v[92:95], v[98:99], off
	v_lshl_add_u64 v[96:97], s[6:7], 0, v[44:45]
	v_lshl_add_u64 v[104:105], v[96:97], 0, v[26:27]
	;; [unrolled: 1-line block ×4, first 2 shown]
	global_load_dwordx4 v[96:99], v[104:105], off
	global_load_dwordx4 v[100:103], v[106:107], off
	v_mul_u32_u24_e32 v87, 0x10001, v87
	v_mul_u32_u24_e32 v104, 0x10001, v108
	v_pk_fma_f16 v2, v2, v87, v115
	v_pk_fma_f16 v3, v3, v87, v116
	v_pk_fma_f16 v0, v0, v87, v113
	v_pk_fma_f16 v1, v1, v87, v114
	v_mul_u32_u24_e32 v105, 0x10001, v109
	v_pk_fma_f16 v2, v6, v104, v2
	v_pk_fma_f16 v3, v7, v104, v3
	v_pk_fma_f16 v0, v4, v104, v0
	v_pk_fma_f16 v1, v5, v104, v1
	;; [unrolled: 5-line block ×5, first 2 shown]
	s_or_b32 s6, s28, 64
	v_pk_fma_f16 v8, v22, v108, v2
	v_pk_fma_f16 v9, v23, v108, v3
	;; [unrolled: 1-line block ×4, first 2 shown]
	s_mul_hi_i32 s7, s6, s33
	s_mul_i32 s6, s6, s33
	s_lshl_b64 s[6:7], s[6:7], 2
	s_add_u32 s6, s36, s6
	s_addc_u32 s7, s37, s7
	s_waitcnt vmcnt(3)
	ds_write_b128 v64, v[88:91]
	s_waitcnt vmcnt(2)
	ds_write_b128 v65, v[92:95]
	;; [unrolled: 2-line block ×4, first 2 shown]
	s_waitcnt lgkmcnt(0)
	s_barrier
	ds_read2_b64 v[0:3], v69 offset1:32
	ds_read_u16 v5, v68 offset:64
	ds_read_u16 v11, v68 offset:72
	;; [unrolled: 1-line block ×8, first 2 shown]
	s_waitcnt lgkmcnt(7)
	v_mul_u32_u24_e32 v12, 0x10001, v5
	v_pk_fma_f16 v0, v0, v12, v4
	ds_read2_b64 v[4:7], v80 offset1:32
	v_lshl_add_u64 v[88:89], s[6:7], 0, v[40:41]
	v_pk_fma_f16 v10, v1, v12, v10
	v_pk_fma_f16 v8, v2, v12, v8
	;; [unrolled: 1-line block ×3, first 2 shown]
	s_waitcnt lgkmcnt(7)
	v_mul_u32_u24_e32 v11, 0x10001, v11
	v_lshl_add_u64 v[96:97], v[88:89], 0, v[26:27]
	v_lshl_add_u64 v[88:89], s[6:7], 0, v[42:43]
	s_waitcnt lgkmcnt(0)
	v_pk_fma_f16 v113, v4, v11, v0
	ds_read2_b64 v[0:3], v81 offset1:32
	v_pk_fma_f16 v114, v5, v11, v10
	v_pk_fma_f16 v115, v6, v11, v8
	;; [unrolled: 1-line block ×3, first 2 shown]
	ds_read2_b64 v[4:7], v82 offset1:32
	ds_read2_b64 v[8:11], v85 offset1:32
	;; [unrolled: 1-line block ×5, first 2 shown]
	s_waitcnt lgkmcnt(0)
	s_barrier
	v_lshl_add_u64 v[98:99], v[88:89], 0, v[26:27]
	global_load_dwordx4 v[88:91], v[96:97], off
	global_load_dwordx4 v[92:95], v[98:99], off
	v_lshl_add_u64 v[96:97], s[6:7], 0, v[44:45]
	v_lshl_add_u64 v[104:105], v[96:97], 0, v[26:27]
	;; [unrolled: 1-line block ×4, first 2 shown]
	global_load_dwordx4 v[96:99], v[104:105], off
	global_load_dwordx4 v[100:103], v[106:107], off
	v_mul_u32_u24_e32 v87, 0x10001, v87
	v_pk_fma_f16 v0, v0, v87, v113
	v_pk_fma_f16 v1, v1, v87, v114
	v_pk_fma_f16 v2, v2, v87, v115
	v_pk_fma_f16 v3, v3, v87, v116
	v_mul_u32_u24_e32 v87, 0x10001, v108
	v_pk_fma_f16 v0, v4, v87, v0
	v_pk_fma_f16 v1, v5, v87, v1
	v_pk_fma_f16 v2, v6, v87, v2
	v_pk_fma_f16 v3, v7, v87, v3
	;; [unrolled: 5-line block ×5, first 2 shown]
	v_mul_u32_u24_e32 v4, 0x10001, v112
	s_or_b32 s6, s28, 0x60
	v_pk_fma_f16 v5, v20, v4, v0
	v_pk_fma_f16 v8, v21, v4, v1
	;; [unrolled: 1-line block ×4, first 2 shown]
	s_waitcnt vmcnt(3)
	ds_write_b128 v64, v[88:91]
	s_waitcnt vmcnt(2)
	ds_write_b128 v65, v[92:95]
	;; [unrolled: 2-line block ×4, first 2 shown]
	s_waitcnt lgkmcnt(0)
	s_barrier
	ds_read2_b64 v[0:3], v69 offset1:32
	ds_read_u16 v4, v68 offset:128
	ds_read_u16 v11, v68 offset:136
	;; [unrolled: 1-line block ×8, first 2 shown]
	s_waitcnt lgkmcnt(7)
	v_mul_u32_u24_e32 v12, 0x10001, v4
	s_mul_hi_i32 s7, s6, s33
	s_mul_i32 s6, s6, s33
	v_pk_fma_f16 v0, v0, v12, v5
	ds_read2_b64 v[4:7], v80 offset1:32
	s_lshl_b64 s[6:7], s[6:7], 2
	s_add_u32 s6, s36, s6
	s_addc_u32 s7, s37, s7
	v_lshl_add_u64 v[88:89], s[6:7], 0, v[40:41]
	v_pk_fma_f16 v1, v1, v12, v8
	v_pk_fma_f16 v2, v2, v12, v9
	;; [unrolled: 1-line block ×3, first 2 shown]
	s_waitcnt lgkmcnt(7)
	v_mul_u32_u24_e32 v8, 0x10001, v11
	v_lshl_add_u64 v[96:97], v[88:89], 0, v[26:27]
	v_lshl_add_u64 v[88:89], s[6:7], 0, v[42:43]
	s_waitcnt lgkmcnt(0)
	v_pk_fma_f16 v113, v4, v8, v0
	ds_read2_b64 v[20:23], v81 offset1:32
	v_pk_fma_f16 v114, v5, v8, v1
	v_pk_fma_f16 v115, v6, v8, v2
	;; [unrolled: 1-line block ×3, first 2 shown]
	ds_read2_b64 v[16:19], v82 offset1:32
	ds_read2_b64 v[12:15], v85 offset1:32
	;; [unrolled: 1-line block ×5, first 2 shown]
	s_waitcnt lgkmcnt(0)
	s_barrier
	v_lshl_add_u64 v[98:99], v[88:89], 0, v[26:27]
	global_load_dwordx4 v[88:91], v[96:97], off
	global_load_dwordx4 v[92:95], v[98:99], off
	v_lshl_add_u64 v[96:97], s[6:7], 0, v[44:45]
	v_lshl_add_u64 v[104:105], v[96:97], 0, v[26:27]
	;; [unrolled: 1-line block ×4, first 2 shown]
	global_load_dwordx4 v[96:99], v[104:105], off
	global_load_dwordx4 v[100:103], v[106:107], off
	v_mul_u32_u24_e32 v87, 0x10001, v87
	v_pk_fma_f16 v20, v20, v87, v113
	v_pk_fma_f16 v21, v21, v87, v114
	v_pk_fma_f16 v22, v22, v87, v115
	v_pk_fma_f16 v23, v23, v87, v116
	v_mul_u32_u24_e32 v87, 0x10001, v108
	v_pk_fma_f16 v16, v16, v87, v20
	v_pk_fma_f16 v17, v17, v87, v21
	v_pk_fma_f16 v18, v18, v87, v22
	v_pk_fma_f16 v19, v19, v87, v23
	;; [unrolled: 5-line block ×6, first 2 shown]
	s_waitcnt vmcnt(3)
	ds_write_b128 v64, v[88:91]
	s_waitcnt vmcnt(2)
	ds_write_b128 v65, v[92:95]
	;; [unrolled: 2-line block ×4, first 2 shown]
	s_waitcnt lgkmcnt(0)
	s_barrier
	ds_read2_b64 v[0:3], v69 offset1:32
	ds_read_u16 v5, v68 offset:192
	ds_read_u16 v11, v68 offset:200
	;; [unrolled: 1-line block ×8, first 2 shown]
	s_waitcnt lgkmcnt(7)
	v_mul_u32_u24_e32 v18, 0x10001, v5
	v_pk_fma_f16 v0, v0, v18, v4
	ds_read2_b64 v[4:7], v80 offset1:32
	s_waitcnt lgkmcnt(7)
	v_mul_u32_u24_e32 v11, 0x10001, v11
	v_pk_fma_f16 v9, v1, v18, v9
	v_pk_fma_f16 v10, v2, v18, v10
	;; [unrolled: 1-line block ×3, first 2 shown]
	s_waitcnt lgkmcnt(0)
	v_pk_fma_f16 v4, v4, v11, v0
	ds_read2_b64 v[0:3], v81 offset1:32
	v_pk_fma_f16 v9, v5, v11, v9
	v_pk_fma_f16 v10, v6, v11, v10
	v_pk_fma_f16 v8, v7, v11, v8
	v_mul_u32_u24_e32 v11, 0x10001, v12
	s_waitcnt lgkmcnt(0)
	v_pk_fma_f16 v0, v0, v11, v4
	ds_read2_b64 v[4:7], v82 offset1:32
	v_pk_fma_f16 v9, v1, v11, v9
	v_pk_fma_f16 v10, v2, v11, v10
	v_pk_fma_f16 v8, v3, v11, v8
	v_mul_u32_u24_e32 v11, 0x10001, v13
	;; [unrolled: 7-line block ×5, first 2 shown]
	s_waitcnt lgkmcnt(0)
	v_pk_fma_f16 v4, v0, v8, v4
	v_pk_fma_f16 v5, v1, v8, v5
	;; [unrolled: 1-line block ×4, first 2 shown]
	ds_read2_b64 v[0:3], v86 offset1:32
	s_waitcnt lgkmcnt(0)
	s_barrier
	s_load_dword s6, s[14:15], 0x4
	v_mul_u32_u24_e32 v8, 0x10001, v17
	v_pk_fma_f16 v0, v0, v8, v4
	v_pk_fma_f16 v1, v1, v8, v5
	;; [unrolled: 1-line block ×3, first 2 shown]
	s_waitcnt lgkmcnt(0)
	s_lshl_b32 s6, s6, 7
	s_add_i32 s28, s6, s28
	s_cmp_ge_i32 s28, s24
	v_pk_fma_f16 v3, v3, v8, v7
	s_cbranch_scc1 .LBB69_19
; %bb.18:                               ;   in Loop: Header=BB69_11 Depth=1
	v_mov_b32_e32 v12, v48
	s_branch .LBB69_11
.LBB69_19:
	v_mov_b32_e32 v4, v49
.LBB69_20:
	v_cmp_lt_i32_e32 vcc, v73, v72
	v_cmp_ne_u32_e64 s[4:5], 0, v4
	s_nop 0
	v_cndmask_b32_e32 v5, v37, v73, vcc
	v_lshlrev_b32_e32 v5, 2, v5
	ds_bpermute_b32 v5, v5, v60
	v_cmp_lt_i32_e32 vcc, v74, v72
	s_waitcnt lgkmcnt(0)
	v_add_f32_e32 v5, v60, v5
	v_cndmask_b32_e32 v6, v37, v74, vcc
	v_lshlrev_b32_e32 v6, 2, v6
	ds_bpermute_b32 v6, v6, v5
	v_cmp_lt_i32_e32 vcc, v75, v72
	s_waitcnt lgkmcnt(0)
	v_add_f32_e32 v5, v5, v6
	;; [unrolled: 6-line block ×4, first 2 shown]
	v_cndmask_b32_e32 v7, v37, v77, vcc
	v_lshlrev_b32_e32 v7, 2, v7
	ds_bpermute_b32 v6, v7, v5
	v_cmp_eq_u32_e32 vcc, 0, v4
	s_waitcnt lgkmcnt(0)
	v_add_f32_e32 v49, v5, v6
	s_and_saveexec_b64 s[6:7], s[4:5]
	s_xor_b64 s[6:7], exec, s[6:7]
	s_cbranch_execnz .LBB69_24
; %bb.21:
	s_andn2_saveexec_b64 s[4:5], s[6:7]
	s_cbranch_execnz .LBB69_27
.LBB69_22:
	s_or_b64 exec, exec, s[4:5]
	s_and_saveexec_b64 s[4:5], vcc
	s_cbranch_execnz .LBB69_28
.LBB69_23:
	s_endpgm
.LBB69_24:
	v_lshlrev_b32_e32 v4, 4, v25
	v_lshl_add_u32 v4, v52, 9, v4
	v_cmp_eq_u32_e64 s[4:5], 0, v25
	ds_write_b128 v4, v[0:3]
	s_and_saveexec_b64 s[8:9], s[4:5]
; %bb.25:
	ds_write_b32 v53, v49 offset:18432
; %bb.26:
	s_or_b64 exec, exec, s[8:9]
                                        ; implicit-def: $vgpr52
                                        ; implicit-def: $vgpr53
	s_andn2_saveexec_b64 s[4:5], s[6:7]
	s_cbranch_execz .LBB69_22
.LBB69_27:
	v_lshlrev_b32_e32 v4, 9, v52
	v_lshl_add_u32 v14, v25, 4, v4
	s_waitcnt lgkmcnt(0)
	s_barrier
	ds_read_b128 v[4:7], v14 offset:512
	ds_read_b128 v[8:11], v14 offset:1024
	s_waitcnt lgkmcnt(1)
	v_pk_add_f16 v4, v4, v0
	v_add_u32_e32 v0, 0x4804, v53
	ds_read2_b32 v[12:13], v0 offset1:1
	v_pk_add_f16 v5, v5, v1
	v_pk_add_f16 v6, v6, v2
	;; [unrolled: 1-line block ×3, first 2 shown]
	s_waitcnt lgkmcnt(1)
	v_pk_add_f16 v5, v9, v5
	ds_read_b32 v9, v53 offset:18444
	ds_read_b128 v[0:3], v14 offset:1536
	s_waitcnt lgkmcnt(2)
	v_add_f32_e32 v12, v49, v12
	v_pk_add_f16 v4, v8, v4
	v_pk_add_f16 v6, v10, v6
	;; [unrolled: 1-line block ×3, first 2 shown]
	v_add_f32_e32 v8, v12, v13
	s_waitcnt lgkmcnt(0)
	v_pk_add_f16 v0, v0, v4
	v_pk_add_f16 v1, v1, v5
	;; [unrolled: 1-line block ×4, first 2 shown]
	v_add_f32_e32 v49, v8, v9
	s_or_b64 exec, exec, s[4:5]
	s_and_saveexec_b64 s[4:5], vcc
	s_cbranch_execz .LBB69_23
.LBB69_28:
	s_cmp_eq_u64 s[12:13], 0
	s_cselect_b64 s[4:5], -1, 0
	s_cmp_lg_u32 s3, 0
	s_cselect_b64 s[6:7], -1, 0
	s_or_b64 s[4:5], s[6:7], s[4:5]
	v_add_u32_e32 v4, s25, v51
	s_and_b64 vcc, exec, s[4:5]
	s_cbranch_vccnz .LBB69_30
; %bb.29:
	v_ashrrev_i32_e32 v5, 31, v4
	v_lshl_add_u64 v[6:7], v[4:5], 2, s[12:13]
	global_load_dword v5, v[6:7], off
	v_max_f32_e32 v6, v48, v48
	s_mov_b32 s4, 0x3fb8aa3b
	s_mov_b32 s5, 0xc2ce8ed0
	s_waitcnt vmcnt(0)
	v_max_f32_e32 v7, v5, v5
	v_max_f32_e32 v6, v6, v7
	v_sub_f32_e32 v7, v48, v6
	v_sub_f32_e32 v5, v5, v6
	v_mul_f32_e32 v8, 0x3fb8aa3b, v7
	v_mul_f32_e32 v9, 0x3fb8aa3b, v5
	v_fma_f32 v10, v7, s4, -v8
	v_rndne_f32_e32 v11, v8
	v_fma_f32 v12, v5, s4, -v9
	v_rndne_f32_e32 v13, v9
	v_fmac_f32_e32 v10, 0x32a5705f, v7
	v_sub_f32_e32 v8, v8, v11
	v_fmac_f32_e32 v12, 0x32a5705f, v5
	v_sub_f32_e32 v9, v9, v13
	v_add_f32_e32 v8, v8, v10
	v_cvt_i32_f32_e32 v11, v11
	v_add_f32_e32 v9, v9, v12
	v_exp_f32_e32 v8, v8
	v_cvt_i32_f32_e32 v13, v13
	v_exp_f32_e32 v9, v9
	v_cmp_ngt_f32_e32 vcc, s5, v7
	v_ldexp_f32 v8, v8, v11
	s_mov_b32 s4, 0x42b17218
	v_ldexp_f32 v9, v9, v13
	v_cndmask_b32_e32 v8, 0, v8, vcc
	v_cmp_ngt_f32_e32 vcc, s5, v5
	v_mov_b32_e32 v10, 0x7f800000
	s_nop 0
	v_cndmask_b32_e32 v9, 0, v9, vcc
	v_cmp_nlt_f32_e32 vcc, s4, v7
	s_nop 1
	v_cndmask_b32_e32 v8, v10, v8, vcc
	v_cvt_f16_f32_e32 v11, v8
	v_cmp_nlt_f32_e32 vcc, s4, v5
	v_mul_u32_u24_e32 v5, 0x10001, v11
	s_nop 0
	v_cndmask_b32_e32 v7, v10, v9, vcc
	v_fmac_f32_e32 v7, v49, v8
	v_pk_mul_f16 v0, v0, v5
	v_pk_mul_f16 v1, v1, v5
	;; [unrolled: 1-line block ×4, first 2 shown]
	v_mov_b64_e32 v[48:49], v[6:7]
	s_branch .LBB69_31
.LBB69_30:
	v_mov_b32_e32 v7, v49
.LBB69_31:
	s_load_dword s6, s[0:1], 0xd4
	v_div_scale_f32 v5, s[0:1], v7, v7, 1.0
	v_rcp_f32_e32 v6, v5
	s_mul_i32 s4, s30, s22
	s_waitcnt lgkmcnt(0)
	s_cmp_lg_u32 s6, 1
	s_cselect_b64 s[0:1], -1, 0
	v_fma_f32 v8, -v5, v6, 1.0
	v_fmac_f32_e32 v6, v8, v6
	v_div_scale_f32 v8, vcc, 1.0, v7, 1.0
	v_mul_f32_e32 v9, v8, v6
	v_fma_f32 v10, -v5, v9, v8
	v_fmac_f32_e32 v9, v10, v6
	v_fma_f32 v5, -v5, v9, v8
	v_div_fmas_f32 v5, v5, v6, v9
	v_div_fixup_f32 v5, v5, v7, 1.0
	s_add_i32 s4, s4, s2
	v_cndmask_b32_e64 v10, v5, 1.0, s[0:1]
	v_add_u32_e32 v5, s4, v50
	v_mad_u64_u32 v[4:5], s[4:5], v5, s23, v[4:5]
	v_cvt_f32_f16_sdwa v7, v0 dst_sel:DWORD dst_unused:UNUSED_PAD src0_sel:WORD_1
	v_cvt_f32_f16_e32 v6, v0
	v_cvt_f32_f16_sdwa v9, v1 dst_sel:DWORD dst_unused:UNUSED_PAD src0_sel:WORD_1
	v_cvt_f32_f16_e32 v8, v1
	v_mul_lo_u32 v4, s6, v4
	v_add_u32_e32 v4, s3, v4
	v_lshl_add_u32 v12, v4, 8, v24
	v_mov_b32_e32 v13, 0
	v_lshl_add_u64 v[0:1], v[12:13], 2, s[16:17]
	v_pk_mul_f32 v[6:7], v[10:11], v[6:7] op_sel_hi:[0,1]
	v_pk_mul_f32 v[8:9], v[10:11], v[8:9] op_sel_hi:[0,1]
	global_store_dwordx4 v[0:1], v[6:9], off
	v_cvt_f32_f16_sdwa v1, v2 dst_sel:DWORD dst_unused:UNUSED_PAD src0_sel:WORD_1
	v_cvt_f32_f16_e32 v0, v2
	v_cvt_f32_f16_sdwa v7, v3 dst_sel:DWORD dst_unused:UNUSED_PAD src0_sel:WORD_1
	v_cvt_f32_f16_e32 v6, v3
	v_cmp_eq_u32_e32 vcc, 0, v25
	v_add_u32_e32 v12, 0x80, v12
	v_lshl_add_u64 v[8:9], v[12:13], 2, s[16:17]
	v_pk_mul_f32 v[0:1], v[10:11], v[0:1] op_sel_hi:[0,1]
	v_pk_mul_f32 v[2:3], v[10:11], v[6:7] op_sel_hi:[0,1]
	s_and_b64 s[0:1], vcc, s[0:1]
	global_store_dwordx4 v[8:9], v[0:3], off
	s_and_b64 exec, exec, s[0:1]
	s_cbranch_execz .LBB69_23
; %bb.32:
	v_mov_b32_e32 v0, s18
	v_mov_b32_e32 v1, s19
	v_ashrrev_i32_e32 v5, 31, v4
	v_lshl_add_u64 v[0:1], v[4:5], 3, v[0:1]
	global_store_dwordx2 v[0:1], v[48:49], off
	s_endpgm
	.section	.rodata,"a",@progbits
	.p2align	6, 0x0
	.amdhsa_kernel _ZL15flash_attn_tileILi256ELi256ELi1ELi2ELb1EEvPKcS1_S1_S1_S1_PKiPfP15HIP_vector_typeIfLj2EEffffjfiS5_IjLj3EEiiiiiiiiiiiliiliiiiil
		.amdhsa_group_segment_fixed_size 20000
		.amdhsa_private_segment_fixed_size 0
		.amdhsa_kernarg_size 464
		.amdhsa_user_sgpr_count 2
		.amdhsa_user_sgpr_dispatch_ptr 0
		.amdhsa_user_sgpr_queue_ptr 0
		.amdhsa_user_sgpr_kernarg_segment_ptr 1
		.amdhsa_user_sgpr_dispatch_id 0
		.amdhsa_user_sgpr_kernarg_preload_length 0
		.amdhsa_user_sgpr_kernarg_preload_offset 0
		.amdhsa_user_sgpr_private_segment_size 0
		.amdhsa_uses_dynamic_stack 0
		.amdhsa_enable_private_segment 0
		.amdhsa_system_sgpr_workgroup_id_x 1
		.amdhsa_system_sgpr_workgroup_id_y 1
		.amdhsa_system_sgpr_workgroup_id_z 1
		.amdhsa_system_sgpr_workgroup_info 0
		.amdhsa_system_vgpr_workitem_id 1
		.amdhsa_next_free_vgpr 117
		.amdhsa_next_free_sgpr 45
		.amdhsa_accum_offset 120
		.amdhsa_reserve_vcc 1
		.amdhsa_float_round_mode_32 0
		.amdhsa_float_round_mode_16_64 0
		.amdhsa_float_denorm_mode_32 3
		.amdhsa_float_denorm_mode_16_64 3
		.amdhsa_dx10_clamp 1
		.amdhsa_ieee_mode 1
		.amdhsa_fp16_overflow 0
		.amdhsa_tg_split 0
		.amdhsa_exception_fp_ieee_invalid_op 0
		.amdhsa_exception_fp_denorm_src 0
		.amdhsa_exception_fp_ieee_div_zero 0
		.amdhsa_exception_fp_ieee_overflow 0
		.amdhsa_exception_fp_ieee_underflow 0
		.amdhsa_exception_fp_ieee_inexact 0
		.amdhsa_exception_int_div_zero 0
	.end_amdhsa_kernel
	.section	.text._ZL15flash_attn_tileILi256ELi256ELi1ELi2ELb1EEvPKcS1_S1_S1_S1_PKiPfP15HIP_vector_typeIfLj2EEffffjfiS5_IjLj3EEiiiiiiiiiiiliiliiiiil,"axG",@progbits,_ZL15flash_attn_tileILi256ELi256ELi1ELi2ELb1EEvPKcS1_S1_S1_S1_PKiPfP15HIP_vector_typeIfLj2EEffffjfiS5_IjLj3EEiiiiiiiiiiiliiliiiiil,comdat
.Lfunc_end69:
	.size	_ZL15flash_attn_tileILi256ELi256ELi1ELi2ELb1EEvPKcS1_S1_S1_S1_PKiPfP15HIP_vector_typeIfLj2EEffffjfiS5_IjLj3EEiiiiiiiiiiiliiliiiiil, .Lfunc_end69-_ZL15flash_attn_tileILi256ELi256ELi1ELi2ELb1EEvPKcS1_S1_S1_S1_PKiPfP15HIP_vector_typeIfLj2EEffffjfiS5_IjLj3EEiiiiiiiiiiiliiliiiiil
                                        ; -- End function
	.set _ZL15flash_attn_tileILi256ELi256ELi1ELi2ELb1EEvPKcS1_S1_S1_S1_PKiPfP15HIP_vector_typeIfLj2EEffffjfiS5_IjLj3EEiiiiiiiiiiiliiliiiiil.num_vgpr, 117
	.set _ZL15flash_attn_tileILi256ELi256ELi1ELi2ELb1EEvPKcS1_S1_S1_S1_PKiPfP15HIP_vector_typeIfLj2EEffffjfiS5_IjLj3EEiiiiiiiiiiiliiliiiiil.num_agpr, 0
	.set _ZL15flash_attn_tileILi256ELi256ELi1ELi2ELb1EEvPKcS1_S1_S1_S1_PKiPfP15HIP_vector_typeIfLj2EEffffjfiS5_IjLj3EEiiiiiiiiiiiliiliiiiil.numbered_sgpr, 45
	.set _ZL15flash_attn_tileILi256ELi256ELi1ELi2ELb1EEvPKcS1_S1_S1_S1_PKiPfP15HIP_vector_typeIfLj2EEffffjfiS5_IjLj3EEiiiiiiiiiiiliiliiiiil.num_named_barrier, 0
	.set _ZL15flash_attn_tileILi256ELi256ELi1ELi2ELb1EEvPKcS1_S1_S1_S1_PKiPfP15HIP_vector_typeIfLj2EEffffjfiS5_IjLj3EEiiiiiiiiiiiliiliiiiil.private_seg_size, 0
	.set _ZL15flash_attn_tileILi256ELi256ELi1ELi2ELb1EEvPKcS1_S1_S1_S1_PKiPfP15HIP_vector_typeIfLj2EEffffjfiS5_IjLj3EEiiiiiiiiiiiliiliiiiil.uses_vcc, 1
	.set _ZL15flash_attn_tileILi256ELi256ELi1ELi2ELb1EEvPKcS1_S1_S1_S1_PKiPfP15HIP_vector_typeIfLj2EEffffjfiS5_IjLj3EEiiiiiiiiiiiliiliiiiil.uses_flat_scratch, 0
	.set _ZL15flash_attn_tileILi256ELi256ELi1ELi2ELb1EEvPKcS1_S1_S1_S1_PKiPfP15HIP_vector_typeIfLj2EEffffjfiS5_IjLj3EEiiiiiiiiiiiliiliiiiil.has_dyn_sized_stack, 0
	.set _ZL15flash_attn_tileILi256ELi256ELi1ELi2ELb1EEvPKcS1_S1_S1_S1_PKiPfP15HIP_vector_typeIfLj2EEffffjfiS5_IjLj3EEiiiiiiiiiiiliiliiiiil.has_recursion, 0
	.set _ZL15flash_attn_tileILi256ELi256ELi1ELi2ELb1EEvPKcS1_S1_S1_S1_PKiPfP15HIP_vector_typeIfLj2EEffffjfiS5_IjLj3EEiiiiiiiiiiiliiliiiiil.has_indirect_call, 0
	.section	.AMDGPU.csdata,"",@progbits
; Kernel info:
; codeLenInByte = 9852
; TotalNumSgprs: 51
; NumVgprs: 117
; NumAgprs: 0
; TotalNumVgprs: 117
; ScratchSize: 0
; MemoryBound: 0
; FloatMode: 240
; IeeeMode: 1
; LDSByteSize: 20000 bytes/workgroup (compile time only)
; SGPRBlocks: 6
; VGPRBlocks: 14
; NumSGPRsForWavesPerEU: 51
; NumVGPRsForWavesPerEU: 117
; AccumOffset: 120
; Occupancy: 4
; WaveLimiterHint : 1
; COMPUTE_PGM_RSRC2:SCRATCH_EN: 0
; COMPUTE_PGM_RSRC2:USER_SGPR: 2
; COMPUTE_PGM_RSRC2:TRAP_HANDLER: 0
; COMPUTE_PGM_RSRC2:TGID_X_EN: 1
; COMPUTE_PGM_RSRC2:TGID_Y_EN: 1
; COMPUTE_PGM_RSRC2:TGID_Z_EN: 1
; COMPUTE_PGM_RSRC2:TIDIG_COMP_CNT: 1
; COMPUTE_PGM_RSRC3_GFX90A:ACCUM_OFFSET: 29
; COMPUTE_PGM_RSRC3_GFX90A:TG_SPLIT: 0
	.section	.text._ZL15flash_attn_tileILi256ELi256ELi32ELi1ELb1EEvPKcS1_S1_S1_S1_PKiPfP15HIP_vector_typeIfLj2EEffffjfiS5_IjLj3EEiiiiiiiiiiiliiliiiiil,"axG",@progbits,_ZL15flash_attn_tileILi256ELi256ELi32ELi1ELb1EEvPKcS1_S1_S1_S1_PKiPfP15HIP_vector_typeIfLj2EEffffjfiS5_IjLj3EEiiiiiiiiiiiliiliiiiil,comdat
	.globl	_ZL15flash_attn_tileILi256ELi256ELi32ELi1ELb1EEvPKcS1_S1_S1_S1_PKiPfP15HIP_vector_typeIfLj2EEffffjfiS5_IjLj3EEiiiiiiiiiiiliiliiiiil ; -- Begin function _ZL15flash_attn_tileILi256ELi256ELi32ELi1ELb1EEvPKcS1_S1_S1_S1_PKiPfP15HIP_vector_typeIfLj2EEffffjfiS5_IjLj3EEiiiiiiiiiiiliiliiiiil
	.p2align	8
	.type	_ZL15flash_attn_tileILi256ELi256ELi32ELi1ELb1EEvPKcS1_S1_S1_S1_PKiPfP15HIP_vector_typeIfLj2EEffffjfiS5_IjLj3EEiiiiiiiiiiiliiliiiiil,@function
_ZL15flash_attn_tileILi256ELi256ELi32ELi1ELb1EEvPKcS1_S1_S1_S1_PKiPfP15HIP_vector_typeIfLj2EEffffjfiS5_IjLj3EEiiiiiiiiiiiliiliiiiil: ; @_ZL15flash_attn_tileILi256ELi256ELi32ELi1ELb1EEvPKcS1_S1_S1_S1_PKiPfP15HIP_vector_typeIfLj2EEffffjfiS5_IjLj3EEiiiiiiiiiiiliiliiiiil
; %bb.0:
	s_load_dwordx4 s[24:27], s[0:1], 0x5c
	s_load_dwordx2 s[38:39], s[0:1], 0x80
	s_load_dwordx2 s[40:41], s[0:1], 0xb8
	s_mov_b64 s[36:37], 0
	s_waitcnt lgkmcnt(0)
	v_cvt_f32_u32_e32 v1, s27
	s_sub_i32 s5, 0, s27
	v_rcp_iflag_f32_e32 v1, v1
	s_nop 0
	v_mul_f32_e32 v1, 0x4f7ffffe, v1
	v_cvt_u32_f32_e32 v1, v1
	s_nop 0
	v_readfirstlane_b32 s6, v1
	s_mul_i32 s5, s5, s6
	s_mul_hi_u32 s5, s6, s5
	s_add_i32 s6, s6, s5
	s_mul_hi_u32 s5, s4, s6
	s_mul_i32 s6, s5, s27
	s_sub_i32 s6, s4, s6
	s_add_i32 s7, s5, 1
	s_sub_i32 s8, s6, s27
	s_cmp_ge_u32 s6, s27
	s_cselect_b32 s5, s7, s5
	s_cselect_b32 s6, s8, s6
	s_add_i32 s7, s5, 1
	s_cmp_ge_u32 s6, s27
	s_cselect_b32 s33, s7, s5
	s_abs_i32 s5, s39
	v_cvt_f32_u32_e32 v1, s5
	s_mul_i32 s8, s33, s27
	s_sub_i32 s9, 0, s5
	s_sub_i32 s34, s4, s8
	v_rcp_iflag_f32_e32 v1, v1
	s_abs_i32 s7, s27
	s_xor_b32 s6, s27, s39
	s_ashr_i32 s6, s6, 31
	v_mul_f32_e32 v1, 0x4f7ffffe, v1
	v_cvt_u32_f32_e32 v1, v1
	s_nop 0
	v_readfirstlane_b32 s4, v1
	s_mul_i32 s9, s9, s4
	s_mul_hi_u32 s8, s4, s9
	s_add_i32 s4, s4, s8
	s_mul_hi_u32 s4, s7, s4
	s_mul_i32 s8, s4, s5
	s_sub_i32 s7, s7, s8
	s_add_i32 s9, s4, 1
	s_sub_i32 s8, s7, s5
	s_cmp_ge_u32 s7, s5
	s_cselect_b32 s4, s9, s4
	s_cselect_b32 s7, s8, s7
	s_add_i32 s8, s4, 1
	s_cmp_ge_u32 s7, s5
	s_cselect_b32 s4, s8, s4
	s_xor_b32 s4, s4, s6
	s_sub_i32 s43, s4, s6
	s_abs_i32 s39, s43
	v_cvt_f32_u32_e32 v1, s39
	s_load_dwordx16 s[8:23], s[0:1], 0x0
	s_sub_i32 s4, 0, s39
	s_abs_i32 s42, s34
	v_rcp_iflag_f32_e32 v1, v1
	s_nop 0
	v_mul_f32_e32 v1, 0x4f7ffffe, v1
	v_cvt_u32_f32_e32 v1, v1
	s_nop 0
	v_readfirstlane_b32 s5, v1
	s_mul_i32 s4, s4, s5
	s_mul_hi_u32 s4, s5, s4
	s_add_i32 s4, s5, s4
	s_waitcnt lgkmcnt(0)
	s_cmp_eq_u64 s[14:15], 0
	s_cbranch_scc1 .LBB70_2
; %bb.1:
	s_abs_i32 s5, s40
	v_cvt_f32_u32_e32 v1, s5
	s_sub_i32 s30, 0, s5
	s_abs_i32 s29, s33
	s_ashr_i32 s28, s33, 31
	v_rcp_iflag_f32_e32 v1, v1
	s_load_dwordx2 s[6:7], s[0:1], 0xc8
	v_mul_f32_e32 v1, 0x4f7ffffe, v1
	v_cvt_u32_f32_e32 v1, v1
	s_nop 0
	v_readfirstlane_b32 s31, v1
	s_mul_i32 s30, s30, s31
	s_mul_hi_u32 s30, s31, s30
	s_add_i32 s31, s31, s30
	s_mul_hi_u32 s30, s29, s31
	s_mul_i32 s30, s30, s5
	s_sub_i32 s29, s29, s30
	s_sub_i32 s30, s29, s5
	s_cmp_ge_u32 s29, s5
	s_cselect_b32 s29, s30, s29
	s_sub_i32 s30, s29, s5
	s_cmp_ge_u32 s29, s5
	s_cselect_b32 s5, s30, s29
	s_xor_b32 s5, s5, s28
	s_sub_i32 s5, s5, s28
	s_ashr_i32 s28, s5, 31
	s_waitcnt lgkmcnt(0)
	s_mul_hi_u32 s29, s6, s5
	s_mul_i32 s28, s6, s28
	s_mul_i32 s7, s7, s5
	s_add_i32 s28, s29, s28
	s_add_i32 s28, s28, s7
	s_mul_i32 s5, s6, s5
	s_add_u32 s36, s14, s5
	s_addc_u32 s37, s15, s28
.LBB70_2:
	s_load_dwordx4 s[28:31], s[0:1], 0x40
	s_load_dwordx2 s[14:15], s[0:1], 0x50
	s_mul_hi_u32 s40, s42, s4
	v_mov_b32_e32 v40, 1.0
	s_waitcnt lgkmcnt(0)
	v_cmp_le_f32_e64 s[4:5], s29, 0
	s_and_b64 vcc, exec, s[4:5]
	s_cbranch_vccnz .LBB70_4
; %bb.3:
	v_mov_b32_e32 v1, s14
	v_sub_co_u32_e32 v1, vcc, s34, v1
	v_mov_b32_e32 v2, s31
	v_mov_b32_e32 v3, s30
	s_add_i32 s4, s34, 1
	v_lshlrev_b32_e32 v1, 1, v1
	v_cndmask_b32_e32 v2, v2, v3, vcc
	v_or_b32_e32 v1, 1, v1
	v_mov_b32_e32 v3, s4
	v_cndmask_b32_e32 v1, v1, v3, vcc
	v_cvt_f32_i32_e32 v1, v1
	v_cmp_neq_f32_e32 vcc, 1.0, v2
	s_mov_b32 s4, 0x3f2aaaab
	s_movk_i32 s6, 0x204
	v_cndmask_b32_e32 v1, 1.0, v1, vcc
	v_cmp_neq_f32_e32 vcc, 0, v1
	s_mov_b32 s5, 0x42b17218
	s_mov_b32 s7, 0x3fb8aa3b
	v_cndmask_b32_e32 v18, 1.0, v2, vcc
	v_frexp_mant_f32_e64 v2, |v18|
	v_cmp_gt_f32_e32 vcc, s4, v2
	s_mov_b32 s4, 0x3f317218
	s_brev_b32 s14, -2
	v_cndmask_b32_e64 v3, 1.0, 2.0, vcc
	v_mul_f32_e32 v2, v2, v3
	v_add_f32_e32 v5, 1.0, v2
	v_rcp_f32_e32 v10, v5
	v_add_f32_e32 v3, -1.0, v5
	v_sub_f32_e32 v7, v2, v3
	v_add_f32_e32 v3, -1.0, v2
	v_mul_f32_e32 v11, v3, v10
	v_mul_f32_e32 v4, v5, v11
	v_fma_f32 v6, v11, v5, -v4
	v_fmac_f32_e32 v6, v11, v7
	v_add_f32_e32 v2, v4, v6
	v_sub_f32_e32 v5, v3, v2
	v_pk_add_f32 v[8:9], v[2:3], v[4:5] neg_lo:[0,1] neg_hi:[0,1]
	v_mov_b32_e32 v7, v2
	v_pk_add_f32 v[2:3], v[8:9], v[6:7] neg_lo:[0,1] neg_hi:[0,1]
	v_mov_b32_e32 v6, 0x3e91f4c4
	v_add_f32_e32 v2, v2, v3
	v_add_f32_e32 v2, v5, v2
	v_mul_f32_e32 v3, v10, v2
	v_add_f32_e32 v2, v11, v3
	v_sub_f32_e32 v4, v2, v11
	v_sub_f32_e32 v12, v3, v4
	v_mul_f32_e32 v3, v2, v2
	v_fma_f32 v5, v2, v2, -v3
	v_add_f32_e32 v4, v12, v12
	v_fmac_f32_e32 v5, v2, v4
	v_add_f32_e32 v4, v3, v5
	v_fmac_f32_e32 v6, 0x3e76c4e1, v4
	v_fmaak_f32 v6, v4, v6, 0x3ecccdef
	v_sub_f32_e32 v3, v4, v3
	v_sub_f32_e32 v13, v5, v3
	v_mul_f32_e32 v3, v4, v6
	v_fma_f32 v5, v4, v6, -v3
	v_fmac_f32_e32 v5, v13, v6
	v_add_f32_e32 v6, v3, v5
	v_add_f32_e32 v7, 0x3f2aaaaa, v6
	v_sub_f32_e32 v3, v6, v3
	v_sub_f32_e32 v3, v5, v3
	v_add_f32_e32 v5, 0xbf2aaaaa, v7
	v_add_f32_e32 v3, 0x31739010, v3
	v_sub_f32_e32 v5, v6, v5
	v_pk_mul_f32 v[8:9], v[2:3], v[4:5]
	v_pk_add_f32 v[10:11], v[2:3], v[4:5]
	v_fma_f32 v6, v4, v2, -v8
	v_fmac_f32_e32 v6, v4, v12
	v_mov_b32_e32 v9, v11
	v_fmac_f32_e32 v6, v13, v2
	v_pk_add_f32 v[4:5], v[8:9], v[6:7]
	v_ldexp_f32 v14, v12, 1
	v_sub_f32_e32 v3, v4, v8
	v_sub_f32_e32 v3, v6, v3
	;; [unrolled: 1-line block ×3, first 2 shown]
	v_add_f32_e32 v9, v11, v6
	v_pk_mul_f32 v[6:7], v[4:5], v[4:5] op_sel:[0,1] op_sel_hi:[1,0]
	v_cvt_f64_f32_e64 v[10:11], |v18|
	v_frexp_exp_i32_f64_e32 v7, v[10:11]
	v_subbrev_co_u32_e32 v7, vcc, 0, v7, vcc
	v_cvt_f32_i32_e32 v7, v7
	v_fma_f32 v8, v4, v5, -v6
	v_fmac_f32_e32 v8, v4, v9
	v_fmac_f32_e32 v8, v3, v5
	v_mul_f32_e32 v4, 0x3f317218, v7
	v_fma_f32 v3, v7, s4, -v4
	v_fmamk_f32 v10, v7, 0xb102e308, v3
	v_ldexp_f32 v11, v2, 1
	v_add_f32_e32 v5, v6, v8
	v_pk_add_f32 v[2:3], v[4:5], v[10:11]
	v_mov_b32_e32 v12, v5
	v_mov_b32_e32 v13, v3
	;; [unrolled: 1-line block ×3, first 2 shown]
	v_pk_add_f32 v[6:7], v[12:13], v[6:7] neg_lo:[0,1] neg_hi:[0,1]
	v_mov_b32_e32 v9, v5
	v_pk_add_f32 v[6:7], v[8:9], v[6:7] neg_lo:[0,1] neg_hi:[0,1]
	v_mov_b32_e32 v11, v2
	v_add_f32_e32 v5, v14, v6
	v_add_f32_e32 v5, v5, v7
	v_pk_add_f32 v[6:7], v[2:3], v[4:5] neg_lo:[0,1] neg_hi:[0,1]
	v_pk_add_f32 v[8:9], v[2:3], v[4:5]
	v_mov_b32_e32 v16, v3
	v_mov_b32_e32 v7, v9
	v_pk_add_f32 v[12:13], v[10:11], v[6:7] neg_lo:[0,1] neg_hi:[0,1]
	v_pk_add_f32 v[6:7], v[10:11], v[6:7]
	v_mov_b32_e32 v4, v5
	v_pk_add_f32 v[10:11], v[6:7], v[2:3] op_sel:[1,0] op_sel_hi:[0,1] neg_lo:[0,1] neg_hi:[0,1]
	v_pk_add_f32 v[14:15], v[8:9], v[10:11] op_sel_hi:[1,0] neg_lo:[0,1] neg_hi:[0,1]
	v_mov_b32_e32 v8, v9
	v_mov_b32_e32 v9, v7
	;; [unrolled: 1-line block ×3, first 2 shown]
	v_pk_add_f32 v[8:9], v[8:9], v[16:17] neg_lo:[0,1] neg_hi:[0,1]
	v_mov_b32_e32 v5, v2
	v_pk_add_f32 v[2:3], v[4:5], v[8:9] neg_lo:[0,1] neg_hi:[0,1]
	v_mov_b32_e32 v14, v12
	v_pk_add_f32 v[4:5], v[14:15], v[2:3]
	v_mov_b32_e32 v13, v7
	v_pk_add_f32 v[8:9], v[4:5], v[4:5] op_sel:[0,1] op_sel_hi:[1,0]
	s_mov_b32 s4, 0x7f800000
	v_pk_add_f32 v[6:7], v[6:7], v[8:9] op_sel:[1,0] op_sel_hi:[0,1]
	v_mov_b32_e32 v5, v6
	v_pk_add_f32 v[10:11], v[4:5], v[12:13] neg_lo:[0,1] neg_hi:[0,1]
	v_mov_b32_e32 v3, v8
	v_sub_f32_e32 v4, v4, v10
	v_pk_add_f32 v[2:3], v[2:3], v[10:11] neg_lo:[0,1] neg_hi:[0,1]
	v_sub_f32_e32 v4, v12, v4
	v_add_f32_e32 v2, v2, v4
	v_add_f32_e32 v2, v2, v3
	;; [unrolled: 1-line block ×3, first 2 shown]
	v_sub_f32_e32 v4, v3, v6
	v_sub_f32_e32 v2, v2, v4
	v_mul_f32_e32 v4, v1, v3
	v_fma_f32 v3, v1, v3, -v4
	v_fmac_f32_e32 v3, v1, v2
	v_add_f32_e32 v2, v4, v3
	v_cmp_class_f32_e64 vcc, v4, s6
	v_sub_f32_e32 v5, v2, v4
	v_sub_f32_e32 v3, v3, v5
	v_cndmask_b32_e32 v2, v2, v4, vcc
	v_mov_b32_e32 v4, 0x37000000
	v_cmp_eq_f32_e32 vcc, s5, v2
	v_cmp_class_f32_e64 s[30:31], v18, s6
	s_nop 0
	v_cndmask_b32_e32 v4, 0, v4, vcc
	v_sub_f32_e32 v5, v2, v4
	v_mul_f32_e32 v6, 0x3fb8aa3b, v5
	v_fma_f32 v7, v5, s7, -v6
	v_rndne_f32_e32 v8, v6
	v_fmamk_f32 v7, v5, 0x32a5705f, v7
	v_sub_f32_e32 v6, v6, v8
	v_add_f32_e32 v6, v6, v7
	v_exp_f32_e32 v6, v6
	v_cvt_i32_f32_e32 v7, v8
	v_cmp_neq_f32_e64 vcc, |v2|, s4
	s_mov_b32 s4, 0xc2ce8ed0
	s_nop 0
	v_cndmask_b32_e32 v2, 0, v3, vcc
	v_ldexp_f32 v3, v6, v7
	v_cmp_ngt_f32_e32 vcc, s4, v5
	v_add_f32_e32 v2, v4, v2
	v_mov_b32_e32 v4, 0x7f800000
	v_cndmask_b32_e32 v3, 0, v3, vcc
	v_cmp_nlt_f32_e32 vcc, s5, v5
	v_mov_b32_e32 v5, 0x7fc00000
	s_nop 0
	v_cndmask_b32_e32 v3, v4, v3, vcc
	v_fma_f32 v2, v3, v2, v3
	v_cmp_class_f32_e64 vcc, v3, s6
	v_cmp_gt_f32_e64 s[6:7], 0, v1
	s_nop 0
	v_cndmask_b32_e32 v2, v2, v3, vcc
	v_trunc_f32_e32 v3, v1
	v_cmp_eq_f32_e32 vcc, v3, v1
	v_mul_f32_e32 v3, 0.5, v1
	v_trunc_f32_e32 v6, v3
	v_cmp_neq_f32_e64 s[4:5], v6, v3
	s_and_b64 s[4:5], vcc, s[4:5]
	s_nop 0
	v_cndmask_b32_e64 v3, 1.0, v18, s[4:5]
	v_bfi_b32 v2, s14, v2, v3
	v_cndmask_b32_e32 v3, v5, v2, vcc
	v_cmp_gt_f32_e32 vcc, 0, v18
	s_nop 1
	v_cndmask_b32_e32 v2, v2, v3, vcc
	v_cmp_eq_f32_e32 vcc, 0, v18
	s_xor_b64 s[6:7], s[6:7], vcc
	v_cndmask_b32_e64 v1, v4, 0, s[6:7]
	v_cndmask_b32_e64 v3, 0, v18, s[4:5]
	v_bfi_b32 v1, s14, v1, v3
	s_or_b64 vcc, vcc, s[30:31]
	v_cndmask_b32_e32 v1, v2, v1, vcc
	v_cmp_o_f32_e32 vcc, v18, v18
	s_nop 1
	v_cndmask_b32_e32 v40, v5, v1, vcc
.LBB70_4:
	s_load_dwordx4 s[44:47], s[0:1], 0x70
	v_bfe_u32 v38, v0, 10, 10
	s_lshl_b32 s14, s2, 5
	v_lshlrev_b32_e32 v35, 2, v38
	s_ashr_i32 s35, s34, 31
	s_waitcnt lgkmcnt(0)
	s_mul_i32 s4, s33, s46
	s_ashr_i32 s6, s43, 31
	s_ashr_i32 s7, s4, 31
	v_add_u32_e32 v37, s14, v35
	s_mul_i32 s5, s34, s45
	s_add_u32 s4, s8, s4
	v_and_b32_e32 v36, 0x3ff, v0
	v_mul_hi_u32 v0, v37, s24
	s_addc_u32 s7, s9, s7
	s_ashr_i32 s9, s5, 31
	v_add_u32_e32 v0, v37, v0
	s_add_u32 s8, s4, s5
	v_lshrrev_b32_e32 v0, s25, v0
	s_addc_u32 s9, s7, s9
	s_ashr_i32 s45, s44, 31
	v_mul_lo_u32 v0, v0, s26
	s_lshr_b64 s[4:5], s[44:45], 2
	v_mov_b32_e32 v15, 0
	v_lshlrev_b32_e32 v14, 4, v36
	v_sub_u32_e32 v53, v37, v0
	v_lshl_add_u64 v[12:13], s[8:9], 0, v[14:15]
	v_mad_u64_u32 v[0:1], s[8:9], s4, v53, 0
	v_mov_b32_e32 v2, v1
	s_lshr_b32 s7, s45, 2
	v_mad_u64_u32 v[2:3], s[8:9], s7, v53, v[2:3]
	v_mov_b32_e32 v1, v2
	v_or_b32_e32 v33, 1, v35
	v_lshl_add_u64 v[8:9], v[0:1], 2, v[12:13]
	v_add_u32_e32 v34, s14, v33
	global_load_dwordx4 v[0:3], v[8:9], off
	global_load_dwordx4 v[4:7], v[8:9], off offset:512
	v_mul_hi_u32 v8, v34, s24
	v_add_u32_e32 v8, v34, v8
	v_lshrrev_b32_e32 v8, s25, v8
	v_mul_lo_u32 v8, v8, s26
	v_sub_u32_e32 v11, v34, v8
	v_mad_u64_u32 v[8:9], s[8:9], s4, v11, 0
	v_mov_b32_e32 v10, v9
	v_or_b32_e32 v31, 2, v35
	v_mad_u64_u32 v[10:11], s[8:9], s7, v11, v[10:11]
	v_add_u32_e32 v32, s14, v31
	v_mov_b32_e32 v9, v10
	v_mul_hi_u32 v14, v32, s24
	v_lshl_add_u64 v[20:21], v[8:9], 2, v[12:13]
	v_add_u32_e32 v14, v32, v14
	global_load_dwordx4 v[8:11], v[20:21], off
	global_load_dwordx4 v[16:19], v[20:21], off offset:512
	v_lshrrev_b32_e32 v14, s25, v14
	v_mul_lo_u32 v14, v14, s26
	v_sub_u32_e32 v22, v32, v14
	v_mad_u64_u32 v[20:21], s[8:9], s4, v22, 0
	v_mov_b32_e32 v14, v21
	v_mad_u64_u32 v[22:23], s[8:9], s7, v22, v[14:15]
	v_or_b32_e32 v28, 3, v35
	v_mov_b32_e32 v21, v22
	v_add_u32_e32 v30, s14, v28
	v_lshl_add_u64 v[24:25], v[20:21], 2, v[12:13]
	v_mul_hi_u32 v14, v30, s24
	global_load_dwordx4 v[20:23], v[24:25], off
	v_add_u32_e32 v14, v30, v14
	v_lshrrev_b32_e32 v14, s25, v14
	v_mul_lo_u32 v14, v14, s26
	v_sub_u32_e32 v29, v30, v14
	global_load_dwordx4 v[24:27], v[24:25], off offset:512
	v_mad_u64_u32 v[42:43], s[4:5], s4, v29, 0
	v_mov_b32_e32 v14, v43
	v_mad_u64_u32 v[44:45], s[4:5], s7, v29, v[14:15]
	v_mov_b32_e32 v43, v44
	v_lshl_add_u64 v[12:13], v[42:43], 2, v[12:13]
	global_load_dwordx4 v[42:45], v[12:13], off
	global_load_dwordx4 v[46:49], v[12:13], off offset:512
	v_lshlrev_b32_e32 v39, 3, v36
	v_lshlrev_b32_e32 v55, 11, v38
	v_add_u32_e32 v14, v39, v55
	v_lshlrev_b32_e32 v29, 2, v36
	s_cmp_eq_u64 s[18:19], 0
	s_waitcnt vmcnt(7)
	v_fma_mixlo_f16 v0, s28, v0, 0
	v_fma_mixlo_f16 v1, s28, v1, 0
	;; [unrolled: 1-line block ×4, first 2 shown]
	s_waitcnt vmcnt(6)
	v_fma_mixlo_f16 v4, s28, v4, 0
	v_fma_mixlo_f16 v5, s28, v5, 0
	v_lshlrev_b32_e32 v1, 16, v1
	v_and_b32_e32 v0, 0xffff, v0
	v_lshlrev_b32_e32 v3, 16, v3
	v_and_b32_e32 v2, 0xffff, v2
	v_or_b32_e32 v0, v1, v0
	v_or3_b32 v1, v3, v2, 0
	v_lshlrev_b32_e32 v2, 16, v5
	v_and_b32_e32 v3, 0xffff, v4
	v_or_b32_e32 v2, v2, v3
	v_fma_mixlo_f16 v3, s28, v6, 0
	v_fma_mixlo_f16 v4, s28, v7, 0
	v_lshlrev_b32_e32 v4, 16, v4
	v_and_b32_e32 v3, 0xffff, v3
	v_or3_b32 v0, 0, 0, v0
	v_or3_b32 v3, v4, v3, 0
	v_or3_b32 v2, 0, 0, v2
	ds_write2_b64 v14, v[0:1], v[2:3] offset1:32
	s_waitcnt vmcnt(5)
	v_fma_mixlo_f16 v0, s28, v8, 0
	v_fma_mixlo_f16 v1, s28, v9, 0
	v_lshlrev_b32_e32 v1, 16, v1
	v_and_b32_e32 v0, 0xffff, v0
	v_or_b32_e32 v0, v1, v0
	v_fma_mixlo_f16 v1, s28, v10, 0
	v_fma_mixlo_f16 v2, s28, v11, 0
	v_lshlrev_b32_e32 v2, 16, v2
	v_and_b32_e32 v1, 0xffff, v1
	v_or3_b32 v1, v2, v1, 0
	s_waitcnt vmcnt(4)
	v_fma_mixlo_f16 v2, s28, v16, 0
	v_fma_mixlo_f16 v3, s28, v17, 0
	v_lshlrev_b32_e32 v3, 16, v3
	v_and_b32_e32 v2, 0xffff, v2
	v_or_b32_e32 v2, v3, v2
	v_fma_mixlo_f16 v3, s28, v18, 0
	v_fma_mixlo_f16 v5, s28, v19, 0
	v_lshlrev_b32_e32 v5, 16, v5
	v_and_b32_e32 v3, 0xffff, v3
	v_lshl_add_u32 v4, v33, 9, v39
	v_or3_b32 v0, 0, 0, v0
	v_or3_b32 v3, v5, v3, 0
	v_or3_b32 v2, 0, 0, v2
	ds_write2_b64 v4, v[0:1], v[2:3] offset1:32
	s_waitcnt vmcnt(3)
	v_fma_mixlo_f16 v0, s28, v20, 0
	v_fma_mixlo_f16 v1, s28, v21, 0
	v_lshlrev_b32_e32 v1, 16, v1
	v_and_b32_e32 v0, 0xffff, v0
	v_or_b32_e32 v0, v1, v0
	v_fma_mixlo_f16 v1, s28, v22, 0
	v_fma_mixlo_f16 v2, s28, v23, 0
	v_lshlrev_b32_e32 v2, 16, v2
	v_and_b32_e32 v1, 0xffff, v1
	v_or3_b32 v1, v2, v1, 0
	s_waitcnt vmcnt(2)
	v_fma_mixlo_f16 v2, s28, v24, 0
	v_fma_mixlo_f16 v3, s28, v25, 0
	v_lshlrev_b32_e32 v3, 16, v3
	v_and_b32_e32 v2, 0xffff, v2
	v_or_b32_e32 v2, v3, v2
	v_fma_mixlo_f16 v3, s28, v26, 0
	v_fma_mixlo_f16 v5, s28, v27, 0
	v_lshlrev_b32_e32 v5, 16, v5
	v_and_b32_e32 v3, 0xffff, v3
	v_lshl_add_u32 v4, v31, 9, v39
	;; [unrolled: 26-line block ×3, first 2 shown]
	v_or3_b32 v0, 0, 0, v0
	v_or3_b32 v3, v5, v3, 0
	;; [unrolled: 1-line block ×3, first 2 shown]
	ds_write2_b64 v4, v[0:1], v[2:3] offset1:32
	s_waitcnt lgkmcnt(0)
	s_barrier
	s_cbranch_scc1 .LBB70_6
; %bb.5:
	s_load_dword s4, s[0:1], 0xd0
	s_mov_b32 s5, 0
	s_waitcnt lgkmcnt(0)
	s_mul_i32 s4, s4, s33
	s_add_i32 s4, s4, s2
	s_lshl_b64 s[4:5], s[4:5], 2
	s_add_u32 s4, s18, s4
	s_addc_u32 s5, s19, s5
	s_load_dword s38, s[4:5], 0x0
.LBB70_6:
	s_nop 0
	s_load_dwordx2 s[4:5], s[0:1], 0x8c
	s_load_dwordx4 s[44:47], s[0:1], 0x98
	s_load_dwordx2 s[8:9], s[0:1], 0xa8
	s_ashr_i32 s19, s41, 1
	v_lshrrev_b32_e32 v5, 4, v36
	s_waitcnt lgkmcnt(0)
	s_ashr_i32 s28, s4, 2
	s_ashr_i32 s4, s33, 31
	s_mul_hi_u32 s7, s44, s33
	s_mul_i32 s18, s44, s4
	s_add_i32 s7, s7, s18
	s_mul_i32 s18, s45, s33
	s_ashr_i32 s2, s46, 2
	s_add_i32 s7, s7, s18
	s_mul_i32 s18, s44, s33
	s_add_u32 s10, s10, s18
	s_addc_u32 s7, s11, s7
	s_mul_i32 s11, s40, s39
	s_sub_i32 s11, s42, s11
	s_xor_b32 s6, s35, s6
	s_add_i32 s18, s40, 1
	s_sub_i32 s29, s11, s39
	s_cmp_ge_u32 s11, s39
	s_cselect_b32 s18, s18, s40
	s_cselect_b32 s11, s29, s11
	s_add_i32 s29, s18, 1
	s_cmp_ge_u32 s11, s39
	s_cselect_b32 s11, s29, s18
	s_xor_b32 s11, s11, s6
	s_sub_i32 s6, s11, s6
	s_mul_i32 s5, s6, s5
	s_ashr_i32 s11, s5, 31
	s_add_u32 s29, s10, s5
	s_mul_hi_u32 s5, s8, s33
	s_mul_i32 s4, s8, s4
	s_addc_u32 s30, s7, s11
	s_add_i32 s4, s5, s4
	s_mul_i32 s5, s9, s33
	s_add_i32 s4, s4, s5
	s_mul_i32 s5, s8, s33
	s_add_u32 s5, s12, s5
	s_mul_i32 s6, s6, s47
	s_addc_u32 s4, s13, s4
	s_ashr_i32 s7, s6, 31
	s_add_u32 s12, s5, s6
	s_addc_u32 s13, s4, s7
	s_lshl_b32 s18, s3, 5
	s_sub_i32 s31, s38, 32
	s_cmp_ge_i32 s18, s31
	v_and_b32_e32 v4, 60, v29
	v_lshlrev_b32_e32 v18, 2, v29
	v_mul_lo_u32 v20, s2, v38
	v_mbcnt_lo_u32_b32 v59, -1, 0
	s_cbranch_scc1 .LBB70_38
; %bb.7:
	v_lshl_add_u32 v0, v38, 1, v5
	v_lshlrev_b32_e32 v1, 2, v4
	s_movk_i32 s4, 0x110
	v_mad_u32_u24 v1, v0, s4, v1
	v_mul_lo_u32 v6, s28, v0
	v_mov_b32_e32 v0, 0x4000
	v_mad_u32_u24 v26, v36, s4, v0
	v_or_b32_e32 v0, 1, v37
	v_add_u32_e32 v24, 0x4000, v1
	v_add_u32_e32 v25, 0x5100, v1
	v_mul_hi_u32 v1, s24, v0
	v_add_u32_e32 v1, v0, v1
	v_lshrrev_b32_e32 v1, s25, v1
	v_mul_lo_u32 v1, v1, s26
	v_sub_u32_e32 v0, v0, v1
	v_mul_lo_u32 v60, v0, s19
	v_or_b32_e32 v0, 2, v37
	v_mul_hi_u32 v1, s24, v0
	v_add_u32_e32 v1, v0, v1
	v_lshrrev_b32_e32 v1, s25, v1
	v_mul_lo_u32 v1, v1, s26
	v_sub_u32_e32 v0, v0, v1
	v_mul_lo_u32 v61, v0, s19
	v_or_b32_e32 v0, 3, v37
	v_mul_hi_u32 v1, s24, v0
	v_add_u32_e32 v1, v0, v1
	v_lshrrev_b32_e32 v1, s25, v1
	v_mul_lo_u32 v1, v1, s26
	v_sub_u32_e32 v0, v0, v1
	v_mul_lo_u32 v62, v0, s19
	v_mov_b32_e32 v0, 0x6200
	v_lshl_add_u32 v63, v38, 8, v0
	v_lshl_add_u32 v0, v38, 9, v18
	s_cmp_lg_u64 s[36:37], 0
	v_add_u32_e32 v64, 0x4000, v0
	v_add_u32_e32 v65, 0x5000, v0
	v_lshl_add_u32 v0, s2, 3, v20
	v_mov_b32_e32 v19, 0
	v_lshl_add_u32 v8, s28, 4, v6
	s_cselect_b64 s[6:7], -1, 0
	v_ashrrev_i32_e32 v21, 31, v20
	v_ashrrev_i32_e32 v1, 31, v0
	s_add_u32 s8, s0, 0xd0
	v_ashrrev_i32_e32 v7, 31, v6
	v_ashrrev_i32_e32 v9, 31, v8
	v_mul_lo_u32 v27, v53, s19
	s_addc_u32 s9, s1, 0
	v_mov_b32_e32 v71, 0xfeffffff
	v_lshlrev_b32_e32 v10, 2, v4
	v_mov_b32_e32 v11, v19
	s_mov_b32 s39, 0x3f200000
	s_mov_b32 s40, 0x3fb8aa3b
	;; [unrolled: 1-line block ×4, first 2 shown]
	v_mov_b32_e32 v66, 0x3ca908c9
	s_brev_b32 s43, -2
	s_mov_b32 s44, 0x10001
	v_lshlrev_b64 v[12:13], 2, v[20:21]
	v_lshlrev_b64 v[22:23], 2, v[0:1]
	v_mov_b32_e32 v21, 0x7f800000
	v_mbcnt_hi_u32_b32 v67, -1, v59
	v_mov_b32_e32 v44, v19
	v_mov_b32_e32 v41, v19
	;; [unrolled: 1-line block ×23, first 2 shown]
                                        ; implicit-def: $vgpr2
                                        ; implicit-def: $vgpr2
	;; [unrolled: 1-line block ×3, first 2 shown]
.LBB70_8:                               ; =>This Inner Loop Header: Depth=1
	s_mul_hi_i32 s5, s18, s28
	s_mul_i32 s4, s18, s28
	s_lshl_b64 s[4:5], s[4:5], 2
	s_add_u32 s4, s29, s4
	s_addc_u32 s5, s30, s5
	v_lshl_add_u64 v[0:1], v[6:7], 2, s[4:5]
	v_lshl_add_u64 v[0:1], v[0:1], 0, v[10:11]
	;; [unrolled: 1-line block ×4, first 2 shown]
	global_load_dwordx4 v[76:79], v[0:1], off
	global_load_dwordx4 v[80:83], v[2:3], off
	v_mov_b32_e32 v75, 0
	v_mov_b32_e32 v74, 0
	;; [unrolled: 1-line block ×4, first 2 shown]
	s_waitcnt vmcnt(1)
	ds_write_b128 v24, v[76:79]
	s_waitcnt vmcnt(0)
	ds_write_b128 v25, v[80:83]
	s_waitcnt lgkmcnt(0)
	s_barrier
	ds_read_b128 v[76:79], v26
	ds_read_b128 v[80:83], v55
	ds_read_b128 v[84:87], v55 offset:512
	ds_read_b128 v[88:91], v55 offset:1024
	;; [unrolled: 1-line block ×3, first 2 shown]
	s_waitcnt lgkmcnt(3)
	;;#ASMSTART
	v_dot2_f32_f16 v75, v76, v80, v75
	;;#ASMEND
	s_nop 0
	;;#ASMSTART
	v_dot2_f32_f16 v75, v77, v81, v75
	;;#ASMEND
	s_nop 0
	;;#ASMSTART
	v_dot2_f32_f16 v75, v78, v82, v75
	;;#ASMEND
	s_nop 0
	;;#ASMSTART
	v_dot2_f32_f16 v75, v79, v83, v75
	;;#ASMEND
	s_waitcnt lgkmcnt(2)
	;;#ASMSTART
	v_dot2_f32_f16 v74, v76, v84, v74
	;;#ASMEND
	s_nop 0
	;;#ASMSTART
	v_dot2_f32_f16 v74, v77, v85, v74
	;;#ASMEND
	s_nop 0
	;;#ASMSTART
	v_dot2_f32_f16 v74, v78, v86, v74
	;;#ASMEND
	s_nop 0
	;;#ASMSTART
	v_dot2_f32_f16 v74, v79, v87, v74
	;;#ASMEND
	s_waitcnt lgkmcnt(1)
	;;#ASMSTART
	v_dot2_f32_f16 v73, v76, v88, v73
	;;#ASMEND
	s_nop 0
	;;#ASMSTART
	v_dot2_f32_f16 v73, v77, v89, v73
	;;#ASMEND
	s_nop 0
	;;#ASMSTART
	v_dot2_f32_f16 v73, v78, v90, v73
	;;#ASMEND
	s_nop 0
	;;#ASMSTART
	v_dot2_f32_f16 v73, v79, v91, v73
	;;#ASMEND
	s_waitcnt lgkmcnt(0)
	;;#ASMSTART
	v_dot2_f32_f16 v72, v76, v92, v72
	;;#ASMEND
	s_nop 0
	;;#ASMSTART
	v_dot2_f32_f16 v72, v77, v93, v72
	;;#ASMEND
	s_nop 0
	;;#ASMSTART
	v_dot2_f32_f16 v72, v78, v94, v72
	;;#ASMEND
	s_nop 0
	;;#ASMSTART
	v_dot2_f32_f16 v72, v79, v95, v72
	;;#ASMEND
	ds_read_b128 v[76:79], v26 offset:16
	ds_read_b128 v[80:83], v55 offset:16
	;; [unrolled: 1-line block ×5, first 2 shown]
	s_waitcnt lgkmcnt(3)
	;;#ASMSTART
	v_dot2_f32_f16 v75, v76, v80, v75
	;;#ASMEND
	s_nop 0
	;;#ASMSTART
	v_dot2_f32_f16 v75, v77, v81, v75
	;;#ASMEND
	s_nop 0
	;;#ASMSTART
	v_dot2_f32_f16 v75, v78, v82, v75
	;;#ASMEND
	s_nop 0
	;;#ASMSTART
	v_dot2_f32_f16 v75, v79, v83, v75
	;;#ASMEND
	s_waitcnt lgkmcnt(2)
	;;#ASMSTART
	v_dot2_f32_f16 v74, v76, v84, v74
	;;#ASMEND
	s_nop 0
	;;#ASMSTART
	v_dot2_f32_f16 v74, v77, v85, v74
	;;#ASMEND
	s_nop 0
	;;#ASMSTART
	v_dot2_f32_f16 v74, v78, v86, v74
	;;#ASMEND
	s_nop 0
	;;#ASMSTART
	v_dot2_f32_f16 v74, v79, v87, v74
	;;#ASMEND
	;; [unrolled: 16-line block ×4, first 2 shown]
	ds_read_b128 v[76:79], v26 offset:32
	ds_read_b128 v[80:83], v55 offset:32
	;; [unrolled: 1-line block ×5, first 2 shown]
	s_waitcnt lgkmcnt(3)
	;;#ASMSTART
	v_dot2_f32_f16 v75, v76, v80, v75
	;;#ASMEND
	s_nop 0
	;;#ASMSTART
	v_dot2_f32_f16 v75, v77, v81, v75
	;;#ASMEND
	s_nop 0
	;;#ASMSTART
	v_dot2_f32_f16 v75, v78, v82, v75
	;;#ASMEND
	s_nop 0
	;;#ASMSTART
	v_dot2_f32_f16 v75, v79, v83, v75
	;;#ASMEND
	s_waitcnt lgkmcnt(2)
	;;#ASMSTART
	v_dot2_f32_f16 v74, v76, v84, v74
	;;#ASMEND
	s_nop 0
	;;#ASMSTART
	v_dot2_f32_f16 v74, v77, v85, v74
	;;#ASMEND
	s_nop 0
	;;#ASMSTART
	v_dot2_f32_f16 v74, v78, v86, v74
	;;#ASMEND
	s_nop 0
	;;#ASMSTART
	v_dot2_f32_f16 v74, v79, v87, v74
	;;#ASMEND
	s_waitcnt lgkmcnt(1)
	;;#ASMSTART
	v_dot2_f32_f16 v73, v76, v88, v73
	;;#ASMEND
	s_nop 0
	;;#ASMSTART
	v_dot2_f32_f16 v73, v77, v89, v73
	;;#ASMEND
	s_nop 0
	;;#ASMSTART
	v_dot2_f32_f16 v73, v78, v90, v73
	;;#ASMEND
	s_nop 0
	;;#ASMSTART
	v_dot2_f32_f16 v73, v79, v91, v73
	;;#ASMEND
	s_waitcnt lgkmcnt(0)
	;;#ASMSTART
	v_dot2_f32_f16 v72, v76, v92, v72
	;;#ASMEND
	s_nop 0
	;;#ASMSTART
	v_dot2_f32_f16 v72, v77, v93, v72
	;;#ASMEND
	s_nop 0
	;;#ASMSTART
	v_dot2_f32_f16 v72, v78, v94, v72
	;;#ASMEND
	s_nop 0
	;;#ASMSTART
	v_dot2_f32_f16 v72, v79, v95, v72
	;;#ASMEND
	ds_read_b128 v[76:79], v26 offset:48
	ds_read_b128 v[80:83], v55 offset:48
	ds_read_b128 v[84:87], v55 offset:560
	ds_read_b128 v[88:91], v55 offset:1072
	ds_read_b128 v[92:95], v55 offset:1584
	s_waitcnt lgkmcnt(3)
	;;#ASMSTART
	v_dot2_f32_f16 v75, v76, v80, v75
	;;#ASMEND
	s_nop 0
	;;#ASMSTART
	v_dot2_f32_f16 v75, v77, v81, v75
	;;#ASMEND
	s_nop 0
	;;#ASMSTART
	v_dot2_f32_f16 v75, v78, v82, v75
	;;#ASMEND
	s_nop 0
	;;#ASMSTART
	v_dot2_f32_f16 v75, v79, v83, v75
	;;#ASMEND
	s_waitcnt lgkmcnt(2)
	;;#ASMSTART
	v_dot2_f32_f16 v74, v76, v84, v74
	;;#ASMEND
	s_nop 0
	;;#ASMSTART
	v_dot2_f32_f16 v74, v77, v85, v74
	;;#ASMEND
	s_nop 0
	;;#ASMSTART
	v_dot2_f32_f16 v74, v78, v86, v74
	;;#ASMEND
	s_nop 0
	;;#ASMSTART
	v_dot2_f32_f16 v74, v79, v87, v74
	;;#ASMEND
	;; [unrolled: 16-line block ×4, first 2 shown]
	ds_read_b128 v[76:79], v26 offset:64
	ds_read_b128 v[80:83], v55 offset:64
	;; [unrolled: 1-line block ×5, first 2 shown]
	s_waitcnt lgkmcnt(3)
	;;#ASMSTART
	v_dot2_f32_f16 v75, v76, v80, v75
	;;#ASMEND
	s_nop 0
	;;#ASMSTART
	v_dot2_f32_f16 v75, v77, v81, v75
	;;#ASMEND
	s_nop 0
	;;#ASMSTART
	v_dot2_f32_f16 v75, v78, v82, v75
	;;#ASMEND
	s_nop 0
	;;#ASMSTART
	v_dot2_f32_f16 v75, v79, v83, v75
	;;#ASMEND
	s_waitcnt lgkmcnt(2)
	;;#ASMSTART
	v_dot2_f32_f16 v74, v76, v84, v74
	;;#ASMEND
	s_nop 0
	;;#ASMSTART
	v_dot2_f32_f16 v74, v77, v85, v74
	;;#ASMEND
	s_nop 0
	;;#ASMSTART
	v_dot2_f32_f16 v74, v78, v86, v74
	;;#ASMEND
	s_nop 0
	;;#ASMSTART
	v_dot2_f32_f16 v74, v79, v87, v74
	;;#ASMEND
	;; [unrolled: 16-line block ×4, first 2 shown]
	ds_read_b128 v[76:79], v26 offset:80
	ds_read_b128 v[80:83], v55 offset:80
	ds_read_b128 v[84:87], v55 offset:592
	ds_read_b128 v[88:91], v55 offset:1104
	ds_read_b128 v[92:95], v55 offset:1616
	s_waitcnt lgkmcnt(3)
	;;#ASMSTART
	v_dot2_f32_f16 v75, v76, v80, v75
	;;#ASMEND
	s_nop 0
	;;#ASMSTART
	v_dot2_f32_f16 v75, v77, v81, v75
	;;#ASMEND
	s_nop 0
	;;#ASMSTART
	v_dot2_f32_f16 v75, v78, v82, v75
	;;#ASMEND
	s_nop 0
	;;#ASMSTART
	v_dot2_f32_f16 v75, v79, v83, v75
	;;#ASMEND
	s_waitcnt lgkmcnt(2)
	;;#ASMSTART
	v_dot2_f32_f16 v74, v76, v84, v74
	;;#ASMEND
	s_nop 0
	;;#ASMSTART
	v_dot2_f32_f16 v74, v77, v85, v74
	;;#ASMEND
	s_nop 0
	;;#ASMSTART
	v_dot2_f32_f16 v74, v78, v86, v74
	;;#ASMEND
	s_nop 0
	;;#ASMSTART
	v_dot2_f32_f16 v74, v79, v87, v74
	;;#ASMEND
	;; [unrolled: 16-line block ×4, first 2 shown]
	ds_read_b128 v[76:79], v26 offset:96
	ds_read_b128 v[80:83], v55 offset:96
	;; [unrolled: 1-line block ×5, first 2 shown]
	s_waitcnt lgkmcnt(3)
	;;#ASMSTART
	v_dot2_f32_f16 v75, v76, v80, v75
	;;#ASMEND
	s_nop 0
	;;#ASMSTART
	v_dot2_f32_f16 v75, v77, v81, v75
	;;#ASMEND
	s_nop 0
	;;#ASMSTART
	v_dot2_f32_f16 v75, v78, v82, v75
	;;#ASMEND
	s_nop 0
	;;#ASMSTART
	v_dot2_f32_f16 v75, v79, v83, v75
	;;#ASMEND
	s_waitcnt lgkmcnt(2)
	;;#ASMSTART
	v_dot2_f32_f16 v74, v76, v84, v74
	;;#ASMEND
	s_nop 0
	;;#ASMSTART
	v_dot2_f32_f16 v74, v77, v85, v74
	;;#ASMEND
	s_nop 0
	;;#ASMSTART
	v_dot2_f32_f16 v74, v78, v86, v74
	;;#ASMEND
	s_nop 0
	;;#ASMSTART
	v_dot2_f32_f16 v74, v79, v87, v74
	;;#ASMEND
	;; [unrolled: 16-line block ×4, first 2 shown]
	ds_read_b128 v[76:79], v26 offset:112
	ds_read_b128 v[80:83], v55 offset:112
	;; [unrolled: 1-line block ×5, first 2 shown]
	s_waitcnt lgkmcnt(3)
	;;#ASMSTART
	v_dot2_f32_f16 v75, v76, v80, v75
	;;#ASMEND
	s_nop 0
	;;#ASMSTART
	v_dot2_f32_f16 v75, v77, v81, v75
	;;#ASMEND
	s_nop 0
	;;#ASMSTART
	v_dot2_f32_f16 v75, v78, v82, v75
	;;#ASMEND
	s_nop 0
	;;#ASMSTART
	v_dot2_f32_f16 v75, v79, v83, v75
	;;#ASMEND
	s_waitcnt lgkmcnt(2)
	;;#ASMSTART
	v_dot2_f32_f16 v74, v76, v84, v74
	;;#ASMEND
	s_nop 0
	;;#ASMSTART
	v_dot2_f32_f16 v74, v77, v85, v74
	;;#ASMEND
	s_nop 0
	;;#ASMSTART
	v_dot2_f32_f16 v74, v78, v86, v74
	;;#ASMEND
	s_nop 0
	;;#ASMSTART
	v_dot2_f32_f16 v74, v79, v87, v74
	;;#ASMEND
	;; [unrolled: 16-line block ×4, first 2 shown]
	ds_read_b128 v[76:79], v26 offset:128
	ds_read_b128 v[80:83], v55 offset:128
	;; [unrolled: 1-line block ×5, first 2 shown]
	s_waitcnt lgkmcnt(3)
	;;#ASMSTART
	v_dot2_f32_f16 v75, v76, v80, v75
	;;#ASMEND
	s_nop 0
	;;#ASMSTART
	v_dot2_f32_f16 v75, v77, v81, v75
	;;#ASMEND
	s_nop 0
	;;#ASMSTART
	v_dot2_f32_f16 v75, v78, v82, v75
	;;#ASMEND
	s_nop 0
	;;#ASMSTART
	v_dot2_f32_f16 v75, v79, v83, v75
	;;#ASMEND
	s_waitcnt lgkmcnt(2)
	;;#ASMSTART
	v_dot2_f32_f16 v74, v76, v84, v74
	;;#ASMEND
	s_nop 0
	;;#ASMSTART
	v_dot2_f32_f16 v74, v77, v85, v74
	;;#ASMEND
	s_nop 0
	;;#ASMSTART
	v_dot2_f32_f16 v74, v78, v86, v74
	;;#ASMEND
	s_nop 0
	;;#ASMSTART
	v_dot2_f32_f16 v74, v79, v87, v74
	;;#ASMEND
	;; [unrolled: 16-line block ×4, first 2 shown]
	ds_read_b128 v[76:79], v26 offset:144
	ds_read_b128 v[80:83], v55 offset:144
	;; [unrolled: 1-line block ×5, first 2 shown]
	s_waitcnt lgkmcnt(3)
	;;#ASMSTART
	v_dot2_f32_f16 v75, v76, v80, v75
	;;#ASMEND
	s_nop 0
	;;#ASMSTART
	v_dot2_f32_f16 v75, v77, v81, v75
	;;#ASMEND
	s_nop 0
	;;#ASMSTART
	v_dot2_f32_f16 v75, v78, v82, v75
	;;#ASMEND
	s_nop 0
	;;#ASMSTART
	v_dot2_f32_f16 v75, v79, v83, v75
	;;#ASMEND
	s_waitcnt lgkmcnt(2)
	;;#ASMSTART
	v_dot2_f32_f16 v74, v76, v84, v74
	;;#ASMEND
	s_nop 0
	;;#ASMSTART
	v_dot2_f32_f16 v74, v77, v85, v74
	;;#ASMEND
	s_nop 0
	;;#ASMSTART
	v_dot2_f32_f16 v74, v78, v86, v74
	;;#ASMEND
	s_nop 0
	;;#ASMSTART
	v_dot2_f32_f16 v74, v79, v87, v74
	;;#ASMEND
	;; [unrolled: 16-line block ×4, first 2 shown]
	ds_read_b128 v[76:79], v26 offset:160
	ds_read_b128 v[80:83], v55 offset:160
	;; [unrolled: 1-line block ×5, first 2 shown]
	s_waitcnt lgkmcnt(3)
	;;#ASMSTART
	v_dot2_f32_f16 v75, v76, v80, v75
	;;#ASMEND
	s_nop 0
	;;#ASMSTART
	v_dot2_f32_f16 v75, v77, v81, v75
	;;#ASMEND
	s_nop 0
	;;#ASMSTART
	v_dot2_f32_f16 v75, v78, v82, v75
	;;#ASMEND
	s_nop 0
	;;#ASMSTART
	v_dot2_f32_f16 v75, v79, v83, v75
	;;#ASMEND
	s_waitcnt lgkmcnt(2)
	;;#ASMSTART
	v_dot2_f32_f16 v74, v76, v84, v74
	;;#ASMEND
	s_nop 0
	;;#ASMSTART
	v_dot2_f32_f16 v74, v77, v85, v74
	;;#ASMEND
	s_nop 0
	;;#ASMSTART
	v_dot2_f32_f16 v74, v78, v86, v74
	;;#ASMEND
	s_nop 0
	;;#ASMSTART
	v_dot2_f32_f16 v74, v79, v87, v74
	;;#ASMEND
	;; [unrolled: 16-line block ×4, first 2 shown]
	ds_read_b128 v[76:79], v26 offset:176
	ds_read_b128 v[80:83], v55 offset:176
	;; [unrolled: 1-line block ×5, first 2 shown]
	s_waitcnt lgkmcnt(3)
	;;#ASMSTART
	v_dot2_f32_f16 v75, v76, v80, v75
	;;#ASMEND
	s_nop 0
	;;#ASMSTART
	v_dot2_f32_f16 v75, v77, v81, v75
	;;#ASMEND
	s_nop 0
	;;#ASMSTART
	v_dot2_f32_f16 v75, v78, v82, v75
	;;#ASMEND
	s_nop 0
	;;#ASMSTART
	v_dot2_f32_f16 v75, v79, v83, v75
	;;#ASMEND
	s_waitcnt lgkmcnt(2)
	;;#ASMSTART
	v_dot2_f32_f16 v74, v76, v84, v74
	;;#ASMEND
	s_nop 0
	;;#ASMSTART
	v_dot2_f32_f16 v74, v77, v85, v74
	;;#ASMEND
	s_nop 0
	;;#ASMSTART
	v_dot2_f32_f16 v74, v78, v86, v74
	;;#ASMEND
	s_nop 0
	;;#ASMSTART
	v_dot2_f32_f16 v74, v79, v87, v74
	;;#ASMEND
	s_waitcnt lgkmcnt(1)
	;;#ASMSTART
	v_dot2_f32_f16 v73, v76, v88, v73
	;;#ASMEND
	s_nop 0
	;;#ASMSTART
	v_dot2_f32_f16 v73, v77, v89, v73
	;;#ASMEND
	s_nop 0
	;;#ASMSTART
	v_dot2_f32_f16 v73, v78, v90, v73
	;;#ASMEND
	s_nop 0
	;;#ASMSTART
	v_dot2_f32_f16 v73, v79, v91, v73
	;;#ASMEND
	s_waitcnt lgkmcnt(0)
	;;#ASMSTART
	v_dot2_f32_f16 v72, v76, v92, v72
	;;#ASMEND
	s_nop 0
	;;#ASMSTART
	v_dot2_f32_f16 v72, v77, v93, v72
	;;#ASMEND
	s_nop 0
	;;#ASMSTART
	v_dot2_f32_f16 v72, v78, v94, v72
	;;#ASMEND
	s_nop 0
	;;#ASMSTART
	v_dot2_f32_f16 v72, v79, v95, v72
	;;#ASMEND
	ds_read_b128 v[76:79], v26 offset:192
	ds_read_b128 v[80:83], v55 offset:192
	ds_read_b128 v[84:87], v55 offset:704
	ds_read_b128 v[88:91], v55 offset:1216
	ds_read_b128 v[92:95], v55 offset:1728
	s_waitcnt lgkmcnt(3)
	;;#ASMSTART
	v_dot2_f32_f16 v75, v76, v80, v75
	;;#ASMEND
	s_nop 0
	;;#ASMSTART
	v_dot2_f32_f16 v75, v77, v81, v75
	;;#ASMEND
	s_nop 0
	;;#ASMSTART
	v_dot2_f32_f16 v75, v78, v82, v75
	;;#ASMEND
	s_nop 0
	;;#ASMSTART
	v_dot2_f32_f16 v75, v79, v83, v75
	;;#ASMEND
	s_waitcnt lgkmcnt(2)
	;;#ASMSTART
	v_dot2_f32_f16 v74, v76, v84, v74
	;;#ASMEND
	s_nop 0
	;;#ASMSTART
	v_dot2_f32_f16 v74, v77, v85, v74
	;;#ASMEND
	s_nop 0
	;;#ASMSTART
	v_dot2_f32_f16 v74, v78, v86, v74
	;;#ASMEND
	s_nop 0
	;;#ASMSTART
	v_dot2_f32_f16 v74, v79, v87, v74
	;;#ASMEND
	;; [unrolled: 16-line block ×4, first 2 shown]
	ds_read_b128 v[76:79], v26 offset:208
	ds_read_b128 v[80:83], v55 offset:208
	;; [unrolled: 1-line block ×5, first 2 shown]
	s_waitcnt lgkmcnt(3)
	;;#ASMSTART
	v_dot2_f32_f16 v75, v76, v80, v75
	;;#ASMEND
	s_nop 0
	;;#ASMSTART
	v_dot2_f32_f16 v75, v77, v81, v75
	;;#ASMEND
	s_nop 0
	;;#ASMSTART
	v_dot2_f32_f16 v75, v78, v82, v75
	;;#ASMEND
	s_nop 0
	;;#ASMSTART
	v_dot2_f32_f16 v75, v79, v83, v75
	;;#ASMEND
	s_waitcnt lgkmcnt(2)
	;;#ASMSTART
	v_dot2_f32_f16 v74, v76, v84, v74
	;;#ASMEND
	s_nop 0
	;;#ASMSTART
	v_dot2_f32_f16 v74, v77, v85, v74
	;;#ASMEND
	s_nop 0
	;;#ASMSTART
	v_dot2_f32_f16 v74, v78, v86, v74
	;;#ASMEND
	s_nop 0
	;;#ASMSTART
	v_dot2_f32_f16 v74, v79, v87, v74
	;;#ASMEND
	;; [unrolled: 16-line block ×4, first 2 shown]
	ds_read_b128 v[76:79], v26 offset:224
	ds_read_b128 v[80:83], v55 offset:224
	;; [unrolled: 1-line block ×5, first 2 shown]
	s_waitcnt lgkmcnt(3)
	;;#ASMSTART
	v_dot2_f32_f16 v75, v76, v80, v75
	;;#ASMEND
	s_nop 0
	;;#ASMSTART
	v_dot2_f32_f16 v75, v77, v81, v75
	;;#ASMEND
	s_nop 0
	;;#ASMSTART
	v_dot2_f32_f16 v75, v78, v82, v75
	;;#ASMEND
	s_nop 0
	;;#ASMSTART
	v_dot2_f32_f16 v75, v79, v83, v75
	;;#ASMEND
	s_waitcnt lgkmcnt(2)
	;;#ASMSTART
	v_dot2_f32_f16 v74, v76, v84, v74
	;;#ASMEND
	s_nop 0
	;;#ASMSTART
	v_dot2_f32_f16 v74, v77, v85, v74
	;;#ASMEND
	s_nop 0
	;;#ASMSTART
	v_dot2_f32_f16 v74, v78, v86, v74
	;;#ASMEND
	s_nop 0
	;;#ASMSTART
	v_dot2_f32_f16 v74, v79, v87, v74
	;;#ASMEND
	;; [unrolled: 16-line block ×4, first 2 shown]
	ds_read_b128 v[76:79], v26 offset:240
	ds_read_b128 v[80:83], v55 offset:240
	;; [unrolled: 1-line block ×5, first 2 shown]
	s_waitcnt lgkmcnt(3)
	;;#ASMSTART
	v_dot2_f32_f16 v75, v76, v80, v75
	;;#ASMEND
	s_nop 0
	;;#ASMSTART
	v_dot2_f32_f16 v75, v77, v81, v75
	;;#ASMEND
	s_nop 0
	;;#ASMSTART
	v_dot2_f32_f16 v75, v78, v82, v75
	;;#ASMEND
	s_nop 0
	;;#ASMSTART
	v_dot2_f32_f16 v75, v79, v83, v75
	;;#ASMEND
	s_waitcnt lgkmcnt(2)
	;;#ASMSTART
	v_dot2_f32_f16 v74, v76, v84, v74
	;;#ASMEND
	s_nop 0
	;;#ASMSTART
	v_dot2_f32_f16 v74, v77, v85, v74
	;;#ASMEND
	s_nop 0
	;;#ASMSTART
	v_dot2_f32_f16 v74, v78, v86, v74
	;;#ASMEND
	s_nop 0
	;;#ASMSTART
	v_dot2_f32_f16 v74, v79, v87, v74
	;;#ASMEND
	;; [unrolled: 16-line block ×4, first 2 shown]
	s_barrier
	global_load_dwordx4 v[76:79], v[0:1], off offset:256
	global_load_dwordx4 v[80:83], v[2:3], off offset:256
	s_waitcnt vmcnt(1)
	ds_write_b128 v24, v[76:79]
	s_waitcnt vmcnt(0)
	ds_write_b128 v25, v[80:83]
	s_waitcnt lgkmcnt(0)
	s_barrier
	ds_read_b128 v[0:3], v26
	ds_read_b128 v[76:79], v55 offset:256
	ds_read_b128 v[80:83], v55 offset:768
	;; [unrolled: 1-line block ×4, first 2 shown]
	s_waitcnt lgkmcnt(3)
	;;#ASMSTART
	v_dot2_f32_f16 v75, v0, v76, v75
	;;#ASMEND
	s_nop 0
	;;#ASMSTART
	v_dot2_f32_f16 v75, v1, v77, v75
	;;#ASMEND
	s_nop 0
	;;#ASMSTART
	v_dot2_f32_f16 v75, v2, v78, v75
	;;#ASMEND
	s_nop 0
	;;#ASMSTART
	v_dot2_f32_f16 v75, v3, v79, v75
	;;#ASMEND
	s_waitcnt lgkmcnt(2)
	;;#ASMSTART
	v_dot2_f32_f16 v74, v0, v80, v74
	;;#ASMEND
	s_nop 0
	;;#ASMSTART
	v_dot2_f32_f16 v74, v1, v81, v74
	;;#ASMEND
	s_nop 0
	;;#ASMSTART
	v_dot2_f32_f16 v74, v2, v82, v74
	;;#ASMEND
	s_nop 0
	;;#ASMSTART
	v_dot2_f32_f16 v74, v3, v83, v74
	;;#ASMEND
	;; [unrolled: 16-line block ×4, first 2 shown]
	ds_read_b128 v[0:3], v26 offset:16
	ds_read_b128 v[76:79], v55 offset:272
	;; [unrolled: 1-line block ×5, first 2 shown]
	s_waitcnt lgkmcnt(3)
	;;#ASMSTART
	v_dot2_f32_f16 v75, v0, v76, v75
	;;#ASMEND
	s_nop 0
	;;#ASMSTART
	v_dot2_f32_f16 v75, v1, v77, v75
	;;#ASMEND
	s_nop 0
	;;#ASMSTART
	v_dot2_f32_f16 v75, v2, v78, v75
	;;#ASMEND
	s_nop 0
	;;#ASMSTART
	v_dot2_f32_f16 v75, v3, v79, v75
	;;#ASMEND
	s_waitcnt lgkmcnt(2)
	;;#ASMSTART
	v_dot2_f32_f16 v74, v0, v80, v74
	;;#ASMEND
	s_nop 0
	;;#ASMSTART
	v_dot2_f32_f16 v74, v1, v81, v74
	;;#ASMEND
	s_nop 0
	;;#ASMSTART
	v_dot2_f32_f16 v74, v2, v82, v74
	;;#ASMEND
	s_nop 0
	;;#ASMSTART
	v_dot2_f32_f16 v74, v3, v83, v74
	;;#ASMEND
	;; [unrolled: 16-line block ×4, first 2 shown]
	ds_read_b128 v[0:3], v26 offset:32
	ds_read_b128 v[76:79], v55 offset:288
	;; [unrolled: 1-line block ×5, first 2 shown]
	s_waitcnt lgkmcnt(3)
	;;#ASMSTART
	v_dot2_f32_f16 v75, v0, v76, v75
	;;#ASMEND
	s_nop 0
	;;#ASMSTART
	v_dot2_f32_f16 v75, v1, v77, v75
	;;#ASMEND
	s_nop 0
	;;#ASMSTART
	v_dot2_f32_f16 v75, v2, v78, v75
	;;#ASMEND
	s_nop 0
	;;#ASMSTART
	v_dot2_f32_f16 v75, v3, v79, v75
	;;#ASMEND
	s_waitcnt lgkmcnt(2)
	;;#ASMSTART
	v_dot2_f32_f16 v74, v0, v80, v74
	;;#ASMEND
	s_nop 0
	;;#ASMSTART
	v_dot2_f32_f16 v74, v1, v81, v74
	;;#ASMEND
	s_nop 0
	;;#ASMSTART
	v_dot2_f32_f16 v74, v2, v82, v74
	;;#ASMEND
	s_nop 0
	;;#ASMSTART
	v_dot2_f32_f16 v74, v3, v83, v74
	;;#ASMEND
	;; [unrolled: 16-line block ×4, first 2 shown]
	ds_read_b128 v[0:3], v26 offset:48
	ds_read_b128 v[76:79], v55 offset:304
	;; [unrolled: 1-line block ×5, first 2 shown]
	s_waitcnt lgkmcnt(3)
	;;#ASMSTART
	v_dot2_f32_f16 v75, v0, v76, v75
	;;#ASMEND
	s_nop 0
	;;#ASMSTART
	v_dot2_f32_f16 v75, v1, v77, v75
	;;#ASMEND
	s_nop 0
	;;#ASMSTART
	v_dot2_f32_f16 v75, v2, v78, v75
	;;#ASMEND
	s_nop 0
	;;#ASMSTART
	v_dot2_f32_f16 v75, v3, v79, v75
	;;#ASMEND
	s_waitcnt lgkmcnt(2)
	;;#ASMSTART
	v_dot2_f32_f16 v74, v0, v80, v74
	;;#ASMEND
	s_nop 0
	;;#ASMSTART
	v_dot2_f32_f16 v74, v1, v81, v74
	;;#ASMEND
	s_nop 0
	;;#ASMSTART
	v_dot2_f32_f16 v74, v2, v82, v74
	;;#ASMEND
	s_nop 0
	;;#ASMSTART
	v_dot2_f32_f16 v74, v3, v83, v74
	;;#ASMEND
	;; [unrolled: 16-line block ×4, first 2 shown]
	ds_read_b128 v[0:3], v26 offset:64
	ds_read_b128 v[76:79], v55 offset:320
	;; [unrolled: 1-line block ×5, first 2 shown]
	s_waitcnt lgkmcnt(3)
	;;#ASMSTART
	v_dot2_f32_f16 v75, v0, v76, v75
	;;#ASMEND
	s_nop 0
	;;#ASMSTART
	v_dot2_f32_f16 v75, v1, v77, v75
	;;#ASMEND
	s_nop 0
	;;#ASMSTART
	v_dot2_f32_f16 v75, v2, v78, v75
	;;#ASMEND
	s_nop 0
	;;#ASMSTART
	v_dot2_f32_f16 v75, v3, v79, v75
	;;#ASMEND
	s_waitcnt lgkmcnt(2)
	;;#ASMSTART
	v_dot2_f32_f16 v74, v0, v80, v74
	;;#ASMEND
	s_nop 0
	;;#ASMSTART
	v_dot2_f32_f16 v74, v1, v81, v74
	;;#ASMEND
	s_nop 0
	;;#ASMSTART
	v_dot2_f32_f16 v74, v2, v82, v74
	;;#ASMEND
	s_nop 0
	;;#ASMSTART
	v_dot2_f32_f16 v74, v3, v83, v74
	;;#ASMEND
	;; [unrolled: 16-line block ×4, first 2 shown]
	ds_read_b128 v[0:3], v26 offset:80
	ds_read_b128 v[76:79], v55 offset:336
	;; [unrolled: 1-line block ×5, first 2 shown]
	s_waitcnt lgkmcnt(3)
	;;#ASMSTART
	v_dot2_f32_f16 v75, v0, v76, v75
	;;#ASMEND
	s_nop 0
	;;#ASMSTART
	v_dot2_f32_f16 v75, v1, v77, v75
	;;#ASMEND
	s_nop 0
	;;#ASMSTART
	v_dot2_f32_f16 v75, v2, v78, v75
	;;#ASMEND
	s_nop 0
	;;#ASMSTART
	v_dot2_f32_f16 v75, v3, v79, v75
	;;#ASMEND
	s_waitcnt lgkmcnt(2)
	;;#ASMSTART
	v_dot2_f32_f16 v74, v0, v80, v74
	;;#ASMEND
	s_nop 0
	;;#ASMSTART
	v_dot2_f32_f16 v74, v1, v81, v74
	;;#ASMEND
	s_nop 0
	;;#ASMSTART
	v_dot2_f32_f16 v74, v2, v82, v74
	;;#ASMEND
	s_nop 0
	;;#ASMSTART
	v_dot2_f32_f16 v74, v3, v83, v74
	;;#ASMEND
	;; [unrolled: 16-line block ×4, first 2 shown]
	ds_read_b128 v[0:3], v26 offset:96
	ds_read_b128 v[76:79], v55 offset:352
	;; [unrolled: 1-line block ×5, first 2 shown]
	s_waitcnt lgkmcnt(3)
	;;#ASMSTART
	v_dot2_f32_f16 v75, v0, v76, v75
	;;#ASMEND
	s_nop 0
	;;#ASMSTART
	v_dot2_f32_f16 v75, v1, v77, v75
	;;#ASMEND
	s_nop 0
	;;#ASMSTART
	v_dot2_f32_f16 v75, v2, v78, v75
	;;#ASMEND
	s_nop 0
	;;#ASMSTART
	v_dot2_f32_f16 v75, v3, v79, v75
	;;#ASMEND
	s_waitcnt lgkmcnt(2)
	;;#ASMSTART
	v_dot2_f32_f16 v74, v0, v80, v74
	;;#ASMEND
	s_nop 0
	;;#ASMSTART
	v_dot2_f32_f16 v74, v1, v81, v74
	;;#ASMEND
	s_nop 0
	;;#ASMSTART
	v_dot2_f32_f16 v74, v2, v82, v74
	;;#ASMEND
	s_nop 0
	;;#ASMSTART
	v_dot2_f32_f16 v74, v3, v83, v74
	;;#ASMEND
	s_waitcnt lgkmcnt(1)
	;;#ASMSTART
	v_dot2_f32_f16 v73, v0, v84, v73
	;;#ASMEND
	s_nop 0
	;;#ASMSTART
	v_dot2_f32_f16 v73, v1, v85, v73
	;;#ASMEND
	s_nop 0
	;;#ASMSTART
	v_dot2_f32_f16 v73, v2, v86, v73
	;;#ASMEND
	s_nop 0
	;;#ASMSTART
	v_dot2_f32_f16 v73, v3, v87, v73
	;;#ASMEND
	s_waitcnt lgkmcnt(0)
	;;#ASMSTART
	v_dot2_f32_f16 v72, v0, v88, v72
	;;#ASMEND
	s_nop 0
	;;#ASMSTART
	v_dot2_f32_f16 v72, v1, v89, v72
	;;#ASMEND
	s_nop 0
	;;#ASMSTART
	v_dot2_f32_f16 v72, v2, v90, v72
	;;#ASMEND
	s_nop 0
	;;#ASMSTART
	v_dot2_f32_f16 v72, v3, v91, v72
	;;#ASMEND
	ds_read_b128 v[0:3], v26 offset:112
	ds_read_b128 v[76:79], v55 offset:368
	;; [unrolled: 1-line block ×5, first 2 shown]
	s_waitcnt lgkmcnt(3)
	;;#ASMSTART
	v_dot2_f32_f16 v75, v0, v76, v75
	;;#ASMEND
	s_nop 0
	;;#ASMSTART
	v_dot2_f32_f16 v75, v1, v77, v75
	;;#ASMEND
	s_nop 0
	;;#ASMSTART
	v_dot2_f32_f16 v75, v2, v78, v75
	;;#ASMEND
	s_nop 0
	;;#ASMSTART
	v_dot2_f32_f16 v75, v3, v79, v75
	;;#ASMEND
	s_waitcnt lgkmcnt(2)
	;;#ASMSTART
	v_dot2_f32_f16 v74, v0, v80, v74
	;;#ASMEND
	s_nop 0
	;;#ASMSTART
	v_dot2_f32_f16 v74, v1, v81, v74
	;;#ASMEND
	s_nop 0
	;;#ASMSTART
	v_dot2_f32_f16 v74, v2, v82, v74
	;;#ASMEND
	s_nop 0
	;;#ASMSTART
	v_dot2_f32_f16 v74, v3, v83, v74
	;;#ASMEND
	;; [unrolled: 16-line block ×4, first 2 shown]
	ds_read_b128 v[0:3], v26 offset:128
	ds_read_b128 v[76:79], v55 offset:384
	;; [unrolled: 1-line block ×5, first 2 shown]
	s_waitcnt lgkmcnt(3)
	;;#ASMSTART
	v_dot2_f32_f16 v75, v0, v76, v75
	;;#ASMEND
	s_nop 0
	;;#ASMSTART
	v_dot2_f32_f16 v75, v1, v77, v75
	;;#ASMEND
	s_nop 0
	;;#ASMSTART
	v_dot2_f32_f16 v75, v2, v78, v75
	;;#ASMEND
	s_nop 0
	;;#ASMSTART
	v_dot2_f32_f16 v75, v3, v79, v75
	;;#ASMEND
	s_waitcnt lgkmcnt(2)
	;;#ASMSTART
	v_dot2_f32_f16 v74, v0, v80, v74
	;;#ASMEND
	s_nop 0
	;;#ASMSTART
	v_dot2_f32_f16 v74, v1, v81, v74
	;;#ASMEND
	s_nop 0
	;;#ASMSTART
	v_dot2_f32_f16 v74, v2, v82, v74
	;;#ASMEND
	s_nop 0
	;;#ASMSTART
	v_dot2_f32_f16 v74, v3, v83, v74
	;;#ASMEND
	;; [unrolled: 16-line block ×4, first 2 shown]
	ds_read_b128 v[0:3], v26 offset:144
	ds_read_b128 v[76:79], v55 offset:400
	;; [unrolled: 1-line block ×5, first 2 shown]
	s_waitcnt lgkmcnt(3)
	;;#ASMSTART
	v_dot2_f32_f16 v75, v0, v76, v75
	;;#ASMEND
	s_nop 0
	;;#ASMSTART
	v_dot2_f32_f16 v75, v1, v77, v75
	;;#ASMEND
	s_nop 0
	;;#ASMSTART
	v_dot2_f32_f16 v75, v2, v78, v75
	;;#ASMEND
	s_nop 0
	;;#ASMSTART
	v_dot2_f32_f16 v75, v3, v79, v75
	;;#ASMEND
	s_waitcnt lgkmcnt(2)
	;;#ASMSTART
	v_dot2_f32_f16 v74, v0, v80, v74
	;;#ASMEND
	s_nop 0
	;;#ASMSTART
	v_dot2_f32_f16 v74, v1, v81, v74
	;;#ASMEND
	s_nop 0
	;;#ASMSTART
	v_dot2_f32_f16 v74, v2, v82, v74
	;;#ASMEND
	s_nop 0
	;;#ASMSTART
	v_dot2_f32_f16 v74, v3, v83, v74
	;;#ASMEND
	s_waitcnt lgkmcnt(1)
	;;#ASMSTART
	v_dot2_f32_f16 v73, v0, v84, v73
	;;#ASMEND
	s_nop 0
	;;#ASMSTART
	v_dot2_f32_f16 v73, v1, v85, v73
	;;#ASMEND
	s_nop 0
	;;#ASMSTART
	v_dot2_f32_f16 v73, v2, v86, v73
	;;#ASMEND
	s_nop 0
	;;#ASMSTART
	v_dot2_f32_f16 v73, v3, v87, v73
	;;#ASMEND
	s_waitcnt lgkmcnt(0)
	;;#ASMSTART
	v_dot2_f32_f16 v72, v0, v88, v72
	;;#ASMEND
	s_nop 0
	;;#ASMSTART
	v_dot2_f32_f16 v72, v1, v89, v72
	;;#ASMEND
	s_nop 0
	;;#ASMSTART
	v_dot2_f32_f16 v72, v2, v90, v72
	;;#ASMEND
	s_nop 0
	;;#ASMSTART
	v_dot2_f32_f16 v72, v3, v91, v72
	;;#ASMEND
	ds_read_b128 v[0:3], v26 offset:160
	ds_read_b128 v[76:79], v55 offset:416
	;; [unrolled: 1-line block ×5, first 2 shown]
	s_waitcnt lgkmcnt(3)
	;;#ASMSTART
	v_dot2_f32_f16 v75, v0, v76, v75
	;;#ASMEND
	s_nop 0
	;;#ASMSTART
	v_dot2_f32_f16 v75, v1, v77, v75
	;;#ASMEND
	s_nop 0
	;;#ASMSTART
	v_dot2_f32_f16 v75, v2, v78, v75
	;;#ASMEND
	s_nop 0
	;;#ASMSTART
	v_dot2_f32_f16 v75, v3, v79, v75
	;;#ASMEND
	s_waitcnt lgkmcnt(2)
	;;#ASMSTART
	v_dot2_f32_f16 v74, v0, v80, v74
	;;#ASMEND
	s_nop 0
	;;#ASMSTART
	v_dot2_f32_f16 v74, v1, v81, v74
	;;#ASMEND
	s_nop 0
	;;#ASMSTART
	v_dot2_f32_f16 v74, v2, v82, v74
	;;#ASMEND
	s_nop 0
	;;#ASMSTART
	v_dot2_f32_f16 v74, v3, v83, v74
	;;#ASMEND
	s_waitcnt lgkmcnt(1)
	;;#ASMSTART
	v_dot2_f32_f16 v73, v0, v84, v73
	;;#ASMEND
	s_nop 0
	;;#ASMSTART
	v_dot2_f32_f16 v73, v1, v85, v73
	;;#ASMEND
	s_nop 0
	;;#ASMSTART
	v_dot2_f32_f16 v73, v2, v86, v73
	;;#ASMEND
	s_nop 0
	;;#ASMSTART
	v_dot2_f32_f16 v73, v3, v87, v73
	;;#ASMEND
	s_waitcnt lgkmcnt(0)
	;;#ASMSTART
	v_dot2_f32_f16 v72, v0, v88, v72
	;;#ASMEND
	s_nop 0
	;;#ASMSTART
	v_dot2_f32_f16 v72, v1, v89, v72
	;;#ASMEND
	s_nop 0
	;;#ASMSTART
	v_dot2_f32_f16 v72, v2, v90, v72
	;;#ASMEND
	s_nop 0
	;;#ASMSTART
	v_dot2_f32_f16 v72, v3, v91, v72
	;;#ASMEND
	ds_read_b128 v[0:3], v26 offset:176
	ds_read_b128 v[76:79], v55 offset:432
	;; [unrolled: 1-line block ×5, first 2 shown]
	s_waitcnt lgkmcnt(3)
	;;#ASMSTART
	v_dot2_f32_f16 v75, v0, v76, v75
	;;#ASMEND
	s_nop 0
	;;#ASMSTART
	v_dot2_f32_f16 v75, v1, v77, v75
	;;#ASMEND
	s_nop 0
	;;#ASMSTART
	v_dot2_f32_f16 v75, v2, v78, v75
	;;#ASMEND
	s_nop 0
	;;#ASMSTART
	v_dot2_f32_f16 v75, v3, v79, v75
	;;#ASMEND
	s_waitcnt lgkmcnt(2)
	;;#ASMSTART
	v_dot2_f32_f16 v74, v0, v80, v74
	;;#ASMEND
	s_nop 0
	;;#ASMSTART
	v_dot2_f32_f16 v74, v1, v81, v74
	;;#ASMEND
	s_nop 0
	;;#ASMSTART
	v_dot2_f32_f16 v74, v2, v82, v74
	;;#ASMEND
	s_nop 0
	;;#ASMSTART
	v_dot2_f32_f16 v74, v3, v83, v74
	;;#ASMEND
	;; [unrolled: 16-line block ×4, first 2 shown]
	ds_read_b128 v[0:3], v26 offset:192
	ds_read_b128 v[76:79], v55 offset:448
	;; [unrolled: 1-line block ×5, first 2 shown]
	s_waitcnt lgkmcnt(3)
	;;#ASMSTART
	v_dot2_f32_f16 v75, v0, v76, v75
	;;#ASMEND
	s_nop 0
	;;#ASMSTART
	v_dot2_f32_f16 v75, v1, v77, v75
	;;#ASMEND
	s_nop 0
	;;#ASMSTART
	v_dot2_f32_f16 v75, v2, v78, v75
	;;#ASMEND
	s_nop 0
	;;#ASMSTART
	v_dot2_f32_f16 v75, v3, v79, v75
	;;#ASMEND
	s_waitcnt lgkmcnt(2)
	;;#ASMSTART
	v_dot2_f32_f16 v74, v0, v80, v74
	;;#ASMEND
	s_nop 0
	;;#ASMSTART
	v_dot2_f32_f16 v74, v1, v81, v74
	;;#ASMEND
	s_nop 0
	;;#ASMSTART
	v_dot2_f32_f16 v74, v2, v82, v74
	;;#ASMEND
	s_nop 0
	;;#ASMSTART
	v_dot2_f32_f16 v74, v3, v83, v74
	;;#ASMEND
	;; [unrolled: 16-line block ×4, first 2 shown]
	ds_read_b128 v[0:3], v26 offset:208
	ds_read_b128 v[76:79], v55 offset:464
	;; [unrolled: 1-line block ×5, first 2 shown]
	s_waitcnt lgkmcnt(3)
	;;#ASMSTART
	v_dot2_f32_f16 v75, v0, v76, v75
	;;#ASMEND
	s_nop 0
	;;#ASMSTART
	v_dot2_f32_f16 v75, v1, v77, v75
	;;#ASMEND
	s_nop 0
	;;#ASMSTART
	v_dot2_f32_f16 v75, v2, v78, v75
	;;#ASMEND
	s_nop 0
	;;#ASMSTART
	v_dot2_f32_f16 v75, v3, v79, v75
	;;#ASMEND
	s_waitcnt lgkmcnt(2)
	;;#ASMSTART
	v_dot2_f32_f16 v74, v0, v80, v74
	;;#ASMEND
	s_nop 0
	;;#ASMSTART
	v_dot2_f32_f16 v74, v1, v81, v74
	;;#ASMEND
	s_nop 0
	;;#ASMSTART
	v_dot2_f32_f16 v74, v2, v82, v74
	;;#ASMEND
	s_nop 0
	;;#ASMSTART
	v_dot2_f32_f16 v74, v3, v83, v74
	;;#ASMEND
	;; [unrolled: 16-line block ×4, first 2 shown]
	ds_read_b128 v[0:3], v26 offset:224
	ds_read_b128 v[76:79], v55 offset:480
	;; [unrolled: 1-line block ×5, first 2 shown]
	s_waitcnt lgkmcnt(3)
	;;#ASMSTART
	v_dot2_f32_f16 v75, v0, v76, v75
	;;#ASMEND
	s_nop 0
	;;#ASMSTART
	v_dot2_f32_f16 v75, v1, v77, v75
	;;#ASMEND
	s_nop 0
	;;#ASMSTART
	v_dot2_f32_f16 v75, v2, v78, v75
	;;#ASMEND
	s_nop 0
	;;#ASMSTART
	v_dot2_f32_f16 v75, v3, v79, v75
	;;#ASMEND
	s_waitcnt lgkmcnt(2)
	;;#ASMSTART
	v_dot2_f32_f16 v74, v0, v80, v74
	;;#ASMEND
	s_nop 0
	;;#ASMSTART
	v_dot2_f32_f16 v74, v1, v81, v74
	;;#ASMEND
	s_nop 0
	;;#ASMSTART
	v_dot2_f32_f16 v74, v2, v82, v74
	;;#ASMEND
	s_nop 0
	;;#ASMSTART
	v_dot2_f32_f16 v74, v3, v83, v74
	;;#ASMEND
	;; [unrolled: 16-line block ×4, first 2 shown]
	ds_read_b128 v[0:3], v26 offset:240
	ds_read_b128 v[76:79], v55 offset:496
	;; [unrolled: 1-line block ×5, first 2 shown]
	s_waitcnt lgkmcnt(3)
	;;#ASMSTART
	v_dot2_f32_f16 v75, v0, v76, v75
	;;#ASMEND
	s_nop 0
	;;#ASMSTART
	v_dot2_f32_f16 v75, v1, v77, v75
	;;#ASMEND
	s_nop 0
	;; [unrolled: 4-line block ×3, first 2 shown]
	;;#ASMSTART
	v_dot2_f32_f16 v75, v3, v79, v75
	;;#ASMEND
	s_waitcnt lgkmcnt(2)
	;;#ASMSTART
	v_dot2_f32_f16 v74, v0, v80, v74
	;;#ASMEND
	s_nop 0
	;;#ASMSTART
	v_dot2_f32_f16 v74, v1, v81, v74
	;;#ASMEND
	v_cmp_nlt_f32_e64 s[4:5], |v75|, s39
	;;#ASMSTART
	v_dot2_f32_f16 v74, v2, v82, v74
	;;#ASMEND
	s_nop 0
	;;#ASMSTART
	v_dot2_f32_f16 v74, v3, v83, v74
	;;#ASMEND
	s_waitcnt lgkmcnt(1)
	;;#ASMSTART
	v_dot2_f32_f16 v73, v0, v84, v73
	;;#ASMEND
	s_nop 0
	;;#ASMSTART
	v_dot2_f32_f16 v73, v1, v85, v73
	;;#ASMEND
	s_nop 0
	;; [unrolled: 4-line block ×3, first 2 shown]
	;;#ASMSTART
	v_dot2_f32_f16 v73, v3, v87, v73
	;;#ASMEND
	s_waitcnt lgkmcnt(0)
	;;#ASMSTART
	v_dot2_f32_f16 v72, v0, v88, v72
	;;#ASMEND
                                        ; implicit-def: $vgpr0
	s_nop 0
	;;#ASMSTART
	v_dot2_f32_f16 v72, v1, v89, v72
	;;#ASMEND
	s_nop 0
	;;#ASMSTART
	v_dot2_f32_f16 v72, v2, v90, v72
	;;#ASMEND
	;; [unrolled: 4-line block ×3, first 2 shown]
	s_and_saveexec_b64 s[10:11], s[4:5]
	s_xor_b64 s[4:5], exec, s[10:11]
	s_cbranch_execz .LBB70_10
; %bb.9:                                ;   in Loop: Header=BB70_8 Depth=1
	v_add_f32_e64 v0, |v75|, |v75|
	v_mul_f32_e32 v1, 0x3fb8aa3b, v0
	v_rndne_f32_e32 v2, v1
	v_sub_f32_e32 v3, v1, v2
	v_fma_f32 v1, v0, s40, -v1
	v_fmac_f32_e32 v1, 0x32a5705f, v0
	v_add_f32_e32 v1, v3, v1
	v_cvt_i32_f32_e32 v2, v2
	v_exp_f32_e32 v1, v1
	v_cmp_ngt_f32_e32 vcc, s41, v0
	v_ldexp_f32 v1, v1, v2
	s_nop 0
	v_cndmask_b32_e32 v1, 0, v1, vcc
	v_cmp_nlt_f32_e32 vcc, s42, v0
	s_nop 1
	v_cndmask_b32_e32 v0, v21, v1, vcc
	v_add_f32_e32 v0, 1.0, v0
	v_rcp_f32_e32 v0, v0
	s_nop 0
	v_fma_f32 v0, v0, -2.0, 1.0
.LBB70_10:                              ;   in Loop: Header=BB70_8 Depth=1
	s_andn2_saveexec_b64 s[4:5], s[4:5]
; %bb.11:                               ;   in Loop: Header=BB70_8 Depth=1
	v_mul_f32_e32 v0, v75, v75
	v_fmamk_f32 v1, v0, 0xbbbac73d, v66
	v_fmaak_f32 v1, v0, v1, 0xbd5c1c4e
	v_fmaak_f32 v1, v0, v1, 0x3e088382
	;; [unrolled: 1-line block ×3, first 2 shown]
	v_mul_f32_e64 v1, |v75|, v1
	v_fma_f32 v0, v0, v1, |v75|
; %bb.12:                               ;   in Loop: Header=BB70_8 Depth=1
	s_or_b64 exec, exec, s[4:5]
	v_cndmask_b32_e64 v1, 0, 1, s[6:7]
	v_cmp_ne_u32_e64 s[4:5], 1, v1
	s_andn2_b64 vcc, exec, s[6:7]
	v_add_u32_e32 v1, s18, v36
	s_cbranch_vccnz .LBB70_14
; %bb.13:                               ;   in Loop: Header=BB70_8 Depth=1
	v_add_u32_e32 v2, v1, v27
	v_ashrrev_i32_e32 v3, 31, v2
	v_lshl_add_u64 v[2:3], v[2:3], 1, s[36:37]
	global_load_ushort v2, v[2:3], off
	s_waitcnt vmcnt(0)
	v_cvt_f32_f16_e32 v2, v2
	v_mul_f32_e32 v76, v40, v2
	s_branch .LBB70_15
.LBB70_14:                              ;   in Loop: Header=BB70_8 Depth=1
	v_mov_b32_e32 v76, 0
.LBB70_15:                              ;   in Loop: Header=BB70_8 Depth=1
	v_bfi_b32 v2, s43, v0, v75
	v_and_b32_e32 v0, 0x60, v67
	v_add_u32_e32 v3, 32, v0
	v_xor_b32_e32 v0, 16, v67
	v_cmp_lt_i32_e32 vcc, v0, v3
	v_fmac_f32_e32 v76, s15, v2
	v_add_f32_e32 v2, 0x40051340, v76
	v_cndmask_b32_e32 v0, v67, v0, vcc
	v_max_f32_e32 v75, v71, v71
	v_lshlrev_b32_e32 v0, 2, v0
	v_max_f32_e32 v2, v75, v2
	ds_bpermute_b32 v75, v0, v2
	v_xor_b32_e32 v77, 8, v67
	v_cmp_lt_i32_e32 vcc, v77, v3
	v_xor_b32_e32 v80, 1, v67
	v_cmp_nlt_f32_e64 s[10:11], |v74|, s39
	v_cndmask_b32_e32 v77, v67, v77, vcc
	s_waitcnt lgkmcnt(0)
	v_max_f32_e32 v75, v75, v75
	v_lshlrev_b32_e32 v78, 2, v77
	v_max_f32_e32 v75, v2, v75
	ds_bpermute_b32 v77, v78, v75
	v_xor_b32_e32 v2, 4, v67
	v_cmp_lt_i32_e32 vcc, v2, v3
                                        ; implicit-def: $vgpr81
	s_waitcnt lgkmcnt(0)
	v_max_f32_e32 v77, v77, v77
	v_cndmask_b32_e32 v2, v67, v2, vcc
	v_lshlrev_b32_e32 v2, 2, v2
	v_max_f32_e32 v77, v75, v77
	ds_bpermute_b32 v79, v2, v77
	v_xor_b32_e32 v75, 2, v67
	v_cmp_lt_i32_e32 vcc, v75, v3
	s_waitcnt lgkmcnt(0)
	v_max_f32_e32 v79, v79, v79
	v_cndmask_b32_e32 v75, v67, v75, vcc
	v_lshlrev_b32_e32 v75, 2, v75
	v_max_f32_e32 v77, v77, v79
	ds_bpermute_b32 v79, v75, v77
	v_cmp_lt_i32_e32 vcc, v80, v3
	s_waitcnt lgkmcnt(0)
	v_max_f32_e32 v79, v79, v79
	v_cndmask_b32_e32 v3, v67, v80, vcc
	v_lshlrev_b32_e32 v3, 2, v3
	v_max_f32_e32 v79, v77, v79
	ds_bpermute_b32 v80, v3, v79
	s_and_saveexec_b64 s[46:47], s[10:11]
	s_xor_b64 s[10:11], exec, s[46:47]
	s_cbranch_execnz .LBB70_19
; %bb.16:                               ;   in Loop: Header=BB70_8 Depth=1
	s_andn2_saveexec_b64 s[10:11], s[10:11]
	s_cbranch_execnz .LBB70_20
.LBB70_17:                              ;   in Loop: Header=BB70_8 Depth=1
	s_or_b64 exec, exec, s[10:11]
	s_and_b64 vcc, exec, s[4:5]
	s_cbranch_vccnz .LBB70_21
.LBB70_18:                              ;   in Loop: Header=BB70_8 Depth=1
	v_add_u32_e32 v82, v1, v60
	v_ashrrev_i32_e32 v83, 31, v82
	v_lshl_add_u64 v[82:83], v[82:83], 1, s[36:37]
	global_load_ushort v77, v[82:83], off
	s_waitcnt vmcnt(0)
	v_cvt_f32_f16_e32 v77, v77
	v_mul_f32_e32 v77, v40, v77
	s_branch .LBB70_22
.LBB70_19:                              ;   in Loop: Header=BB70_8 Depth=1
	v_add_f32_e64 v77, |v74|, |v74|
	v_mul_f32_e32 v81, 0x3fb8aa3b, v77
	v_rndne_f32_e32 v82, v81
	v_sub_f32_e32 v83, v81, v82
	v_fma_f32 v81, v77, s40, -v81
	v_fmac_f32_e32 v81, 0x32a5705f, v77
	v_add_f32_e32 v81, v83, v81
	v_cvt_i32_f32_e32 v82, v82
	v_exp_f32_e32 v81, v81
	v_cmp_ngt_f32_e32 vcc, s41, v77
	v_ldexp_f32 v81, v81, v82
	s_nop 0
	v_cndmask_b32_e32 v81, 0, v81, vcc
	v_cmp_nlt_f32_e32 vcc, s42, v77
	s_nop 1
	v_cndmask_b32_e32 v77, v21, v81, vcc
	v_add_f32_e32 v77, 1.0, v77
	v_rcp_f32_e32 v77, v77
	s_nop 0
	v_fma_f32 v81, v77, -2.0, 1.0
	s_andn2_saveexec_b64 s[10:11], s[10:11]
	s_cbranch_execz .LBB70_17
.LBB70_20:                              ;   in Loop: Header=BB70_8 Depth=1
	v_mul_f32_e32 v77, v74, v74
	v_fmamk_f32 v81, v77, 0xbbbac73d, v66
	v_fmaak_f32 v81, v77, v81, 0xbd5c1c4e
	v_fmaak_f32 v81, v77, v81, 0x3e088382
	;; [unrolled: 1-line block ×3, first 2 shown]
	v_mul_f32_e64 v81, |v74|, v81
	v_fma_f32 v81, v77, v81, |v74|
	s_or_b64 exec, exec, s[10:11]
	s_and_b64 vcc, exec, s[4:5]
	s_cbranch_vccz .LBB70_18
.LBB70_21:                              ;   in Loop: Header=BB70_8 Depth=1
	v_mov_b32_e32 v77, 0
.LBB70_22:                              ;   in Loop: Header=BB70_8 Depth=1
	v_bfi_b32 v74, s43, v81, v74
	v_fmac_f32_e32 v77, s15, v74
	v_add_f32_e32 v74, 0x40051340, v77
	v_max_f32_e32 v81, v70, v70
	v_max_f32_e32 v74, v81, v74
	ds_bpermute_b32 v81, v0, v74
	v_cmp_nlt_f32_e64 s[10:11], |v73|, s39
                                        ; implicit-def: $vgpr83
	s_waitcnt lgkmcnt(0)
	v_max_f32_e32 v81, v81, v81
	v_max_f32_e32 v74, v74, v81
	ds_bpermute_b32 v81, v78, v74
	s_waitcnt lgkmcnt(0)
	v_max_f32_e32 v81, v81, v81
	v_max_f32_e32 v74, v74, v81
	ds_bpermute_b32 v81, v2, v74
	;; [unrolled: 4-line block ×4, first 2 shown]
	s_and_saveexec_b64 s[46:47], s[10:11]
	s_xor_b64 s[10:11], exec, s[46:47]
	s_cbranch_execnz .LBB70_26
; %bb.23:                               ;   in Loop: Header=BB70_8 Depth=1
	s_andn2_saveexec_b64 s[10:11], s[10:11]
	s_cbranch_execnz .LBB70_27
.LBB70_24:                              ;   in Loop: Header=BB70_8 Depth=1
	s_or_b64 exec, exec, s[10:11]
	s_and_b64 vcc, exec, s[4:5]
	s_cbranch_vccnz .LBB70_28
.LBB70_25:                              ;   in Loop: Header=BB70_8 Depth=1
	v_add_u32_e32 v84, v1, v61
	v_ashrrev_i32_e32 v85, 31, v84
	v_lshl_add_u64 v[84:85], v[84:85], 1, s[36:37]
	global_load_ushort v74, v[84:85], off
	s_waitcnt vmcnt(0)
	v_cvt_f32_f16_e32 v74, v74
	v_mul_f32_e32 v74, v40, v74
	s_branch .LBB70_29
.LBB70_26:                              ;   in Loop: Header=BB70_8 Depth=1
	v_add_f32_e64 v74, |v73|, |v73|
	v_mul_f32_e32 v83, 0x3fb8aa3b, v74
	v_rndne_f32_e32 v84, v83
	v_sub_f32_e32 v85, v83, v84
	v_fma_f32 v83, v74, s40, -v83
	v_fmac_f32_e32 v83, 0x32a5705f, v74
	v_add_f32_e32 v83, v85, v83
	v_cvt_i32_f32_e32 v84, v84
	v_exp_f32_e32 v83, v83
	v_cmp_ngt_f32_e32 vcc, s41, v74
	v_ldexp_f32 v83, v83, v84
	s_nop 0
	v_cndmask_b32_e32 v83, 0, v83, vcc
	v_cmp_nlt_f32_e32 vcc, s42, v74
	s_nop 1
	v_cndmask_b32_e32 v74, v21, v83, vcc
	v_add_f32_e32 v74, 1.0, v74
	v_rcp_f32_e32 v74, v74
	s_nop 0
	v_fma_f32 v83, v74, -2.0, 1.0
	s_andn2_saveexec_b64 s[10:11], s[10:11]
	s_cbranch_execz .LBB70_24
.LBB70_27:                              ;   in Loop: Header=BB70_8 Depth=1
	v_mul_f32_e32 v74, v73, v73
	v_fmamk_f32 v83, v74, 0xbbbac73d, v66
	v_fmaak_f32 v83, v74, v83, 0xbd5c1c4e
	v_fmaak_f32 v83, v74, v83, 0x3e088382
	;; [unrolled: 1-line block ×3, first 2 shown]
	v_mul_f32_e64 v83, |v73|, v83
	v_fma_f32 v83, v74, v83, |v73|
	s_or_b64 exec, exec, s[10:11]
	s_and_b64 vcc, exec, s[4:5]
	s_cbranch_vccz .LBB70_25
.LBB70_28:                              ;   in Loop: Header=BB70_8 Depth=1
	v_mov_b32_e32 v74, 0
.LBB70_29:                              ;   in Loop: Header=BB70_8 Depth=1
	v_bfi_b32 v73, s43, v83, v73
	v_fmac_f32_e32 v74, s15, v73
	v_add_f32_e32 v73, 0x40051340, v74
	v_max_f32_e32 v83, v69, v69
	v_max_f32_e32 v73, v83, v73
	ds_bpermute_b32 v83, v0, v73
	v_cmp_nlt_f32_e64 s[10:11], |v72|, s39
                                        ; implicit-def: $vgpr85
	s_waitcnt lgkmcnt(0)
	v_max_f32_e32 v83, v83, v83
	v_max_f32_e32 v73, v73, v83
	ds_bpermute_b32 v83, v78, v73
	s_waitcnt lgkmcnt(0)
	v_max_f32_e32 v83, v83, v83
	v_max_f32_e32 v73, v73, v83
	ds_bpermute_b32 v83, v2, v73
	;; [unrolled: 4-line block ×4, first 2 shown]
	s_and_saveexec_b64 s[46:47], s[10:11]
	s_xor_b64 s[10:11], exec, s[46:47]
	s_cbranch_execnz .LBB70_33
; %bb.30:                               ;   in Loop: Header=BB70_8 Depth=1
	s_andn2_saveexec_b64 s[10:11], s[10:11]
	s_cbranch_execnz .LBB70_34
.LBB70_31:                              ;   in Loop: Header=BB70_8 Depth=1
	s_or_b64 exec, exec, s[10:11]
	s_and_b64 vcc, exec, s[4:5]
	s_cbranch_vccnz .LBB70_35
.LBB70_32:                              ;   in Loop: Header=BB70_8 Depth=1
	v_add_u32_e32 v86, v1, v62
	v_ashrrev_i32_e32 v87, 31, v86
	v_lshl_add_u64 v[86:87], v[86:87], 1, s[36:37]
	global_load_ushort v1, v[86:87], off
	s_waitcnt vmcnt(0)
	v_cvt_f32_f16_e32 v1, v1
	v_mul_f32_e32 v73, v40, v1
	s_branch .LBB70_36
.LBB70_33:                              ;   in Loop: Header=BB70_8 Depth=1
	v_add_f32_e64 v73, |v72|, |v72|
	v_mul_f32_e32 v85, 0x3fb8aa3b, v73
	v_rndne_f32_e32 v86, v85
	v_sub_f32_e32 v87, v85, v86
	v_fma_f32 v85, v73, s40, -v85
	v_fmac_f32_e32 v85, 0x32a5705f, v73
	v_add_f32_e32 v85, v87, v85
	v_cvt_i32_f32_e32 v86, v86
	v_exp_f32_e32 v85, v85
	v_cmp_ngt_f32_e32 vcc, s41, v73
	v_ldexp_f32 v85, v85, v86
	s_nop 0
	v_cndmask_b32_e32 v85, 0, v85, vcc
	v_cmp_nlt_f32_e32 vcc, s42, v73
	s_nop 1
	v_cndmask_b32_e32 v73, v21, v85, vcc
	v_add_f32_e32 v73, 1.0, v73
	v_rcp_f32_e32 v73, v73
	s_nop 0
	v_fma_f32 v85, v73, -2.0, 1.0
	s_andn2_saveexec_b64 s[10:11], s[10:11]
	s_cbranch_execz .LBB70_31
.LBB70_34:                              ;   in Loop: Header=BB70_8 Depth=1
	v_mul_f32_e32 v73, v72, v72
	v_fmamk_f32 v85, v73, 0xbbbac73d, v66
	v_fmaak_f32 v85, v73, v85, 0xbd5c1c4e
	v_fmaak_f32 v85, v73, v85, 0x3e088382
	;; [unrolled: 1-line block ×3, first 2 shown]
	v_mul_f32_e64 v85, |v72|, v85
	v_fma_f32 v85, v73, v85, |v72|
	s_or_b64 exec, exec, s[10:11]
	s_and_b64 vcc, exec, s[4:5]
	s_cbranch_vccz .LBB70_32
.LBB70_35:                              ;   in Loop: Header=BB70_8 Depth=1
	v_mov_b32_e32 v73, 0
.LBB70_36:                              ;   in Loop: Header=BB70_8 Depth=1
	v_bfi_b32 v1, s43, v85, v72
	v_fmac_f32_e32 v73, s15, v1
	v_add_f32_e32 v1, 0x40051340, v73
	v_max_f32_e32 v72, v68, v68
	v_max_f32_e32 v1, v72, v1
	ds_bpermute_b32 v0, v0, v1
	s_waitcnt lgkmcnt(1)
	v_max_f32_e32 v72, v84, v84
	v_max_f32_e32 v83, v83, v83
	v_max_f32_e32 v80, v80, v80
	v_max_f32_e32 v79, v79, v79
	s_waitcnt lgkmcnt(0)
	v_max_f32_e32 v0, v0, v0
	v_max_f32_e32 v0, v1, v0
	ds_bpermute_b32 v1, v78, v0
	v_max_f32_e32 v78, v81, v81
	v_max_f32_e32 v82, v82, v82
	s_mul_hi_i32 s5, s18, s2
	s_mul_i32 s4, s18, s2
	s_waitcnt lgkmcnt(0)
	v_max_f32_e32 v1, v1, v1
	v_max_f32_e32 v81, v0, v1
	ds_bpermute_b32 v84, v2, v81
	v_max_f32_e32 v2, v83, v72
	v_max_f32_e32 v0, v79, v80
	v_sub_f32_e32 v71, v71, v0
	v_max_f32_e32 v1, v78, v82
	s_waitcnt lgkmcnt(0)
	v_max_f32_e32 v72, v84, v84
	v_max_f32_e32 v72, v81, v72
	ds_bpermute_b32 v75, v75, v72
	v_mul_f32_e32 v78, 0x3fb8aa3b, v71
	v_fma_f32 v79, v71, s40, -v78
	v_rndne_f32_e32 v80, v78
	v_fmac_f32_e32 v79, 0x32a5705f, v71
	s_waitcnt lgkmcnt(0)
	v_max_f32_e32 v75, v75, v75
	v_max_f32_e32 v72, v72, v75
	ds_bpermute_b32 v3, v3, v72
	v_sub_f32_e32 v75, v78, v80
	v_add_f32_e32 v75, v75, v79
	v_cvt_i32_f32_e32 v78, v80
	v_exp_f32_e32 v75, v75
	s_waitcnt lgkmcnt(0)
	v_max_f32_e32 v3, v3, v3
	v_max_f32_e32 v3, v72, v3
	v_cmp_ngt_f32_e32 vcc, s41, v71
	v_ldexp_f32 v72, v75, v78
	v_sub_f32_e32 v75, v76, v0
	v_mul_f32_e32 v76, 0x3fb8aa3b, v75
	v_fma_f32 v78, v75, s40, -v76
	v_rndne_f32_e32 v79, v76
	v_fmac_f32_e32 v78, 0x32a5705f, v75
	v_sub_f32_e32 v76, v76, v79
	v_add_f32_e32 v76, v76, v78
	v_exp_f32_e32 v76, v76
	v_cvt_i32_f32_e32 v78, v79
	v_cndmask_b32_e32 v72, 0, v72, vcc
	v_cmp_nlt_f32_e32 vcc, s42, v71
	v_sub_f32_e32 v70, v70, v1
	v_ldexp_f32 v71, v76, v78
	v_cndmask_b32_e32 v84, v21, v72, vcc
	v_cvt_f16_f32_e32 v72, v84
	v_cmp_ngt_f32_e32 vcc, s41, v75
	s_lshl_b64 s[4:5], s[4:5], 2
	s_add_u32 s4, s12, s4
	v_cndmask_b32_e32 v71, 0, v71, vcc
	v_cmp_nlt_f32_e32 vcc, s42, v75
	v_mul_u32_u24_e32 v88, 0x10001, v72
	v_pk_mul_f16 v89, v56, v88
	v_cndmask_b32_e32 v86, v21, v71, vcc
	v_mul_f32_e32 v71, 0x3fb8aa3b, v70
	v_fma_f32 v72, v70, s40, -v71
	v_rndne_f32_e32 v75, v71
	v_fmac_f32_e32 v72, 0x32a5705f, v70
	v_sub_f32_e32 v71, v71, v75
	v_add_f32_e32 v71, v71, v72
	v_exp_f32_e32 v71, v71
	v_cvt_i32_f32_e32 v72, v75
	v_pk_mul_f16 v90, v57, v88
	v_cmp_ngt_f32_e32 vcc, s41, v70
	s_addc_u32 s5, s13, s5
	v_ldexp_f32 v56, v71, v72
	v_sub_f32_e32 v72, v77, v1
	v_mul_f32_e32 v57, 0x3fb8aa3b, v72
	v_fma_f32 v71, v72, s40, -v57
	v_rndne_f32_e32 v75, v57
	v_fmac_f32_e32 v71, 0x32a5705f, v72
	v_sub_f32_e32 v57, v57, v75
	v_add_f32_e32 v57, v57, v71
	v_exp_f32_e32 v57, v57
	v_cvt_i32_f32_e32 v71, v75
	v_cndmask_b32_e32 v56, 0, v56, vcc
	v_cmp_nlt_f32_e32 vcc, s42, v70
	s_barrier
	s_nop 0
	v_cndmask_b32_e32 v85, v21, v56, vcc
	v_ldexp_f32 v56, v57, v71
	v_cmp_ngt_f32_e32 vcc, s41, v72
	v_lshl_add_u64 v[70:71], s[4:5], 0, v[22:23]
	s_nop 0
	v_cndmask_b32_e32 v75, 0, v56, vcc
	v_lshl_add_u64 v[56:57], s[4:5], 0, v[12:13]
	v_lshl_add_u64 v[56:57], v[56:57], 0, v[18:19]
	v_lshl_add_u64 v[70:71], v[70:71], 0, v[18:19]
	global_load_dwordx4 v[76:79], v[56:57], off
	global_load_dwordx4 v[80:83], v[70:71], off
	v_sub_f32_e32 v56, v69, v2
	v_mul_f32_e32 v57, 0x3fb8aa3b, v56
	v_fma_f32 v69, v56, s40, -v57
	v_rndne_f32_e32 v70, v57
	v_fmac_f32_e32 v69, 0x32a5705f, v56
	v_sub_f32_e32 v57, v57, v70
	v_add_f32_e32 v57, v57, v69
	v_exp_f32_e32 v57, v57
	v_cvt_i32_f32_e32 v69, v70
	v_cmp_nlt_f32_e32 vcc, s42, v72
	v_cvt_f16_f32_e32 v91, v85
	v_pk_mul_f16 v58, v58, v88
	v_ldexp_f32 v57, v57, v69
	v_sub_f32_e32 v69, v74, v2
	v_mul_f32_e32 v70, 0x3fb8aa3b, v69
	v_fma_f32 v71, v69, s40, -v70
	v_rndne_f32_e32 v72, v70
	v_fmac_f32_e32 v71, 0x32a5705f, v69
	v_sub_f32_e32 v70, v70, v72
	v_add_f32_e32 v70, v70, v71
	v_exp_f32_e32 v70, v70
	v_cvt_i32_f32_e32 v71, v72
	v_cndmask_b32_e32 v87, v21, v75, vcc
	v_cmp_ngt_f32_e32 vcc, s41, v56
	v_pk_fma_f32 v[16:17], v[16:17], v[84:85], v[86:87]
	v_mul_u32_u24_e32 v91, 0x10001, v91
	v_cndmask_b32_e32 v57, 0, v57, vcc
	v_cmp_nlt_f32_e32 vcc, s42, v56
	v_pk_mul_f16 v54, v54, v91
	v_pk_mul_f16 v51, v51, v91
	v_cndmask_b32_e32 v56, v21, v57, vcc
	v_ldexp_f32 v57, v70, v71
	v_cvt_f16_f32_e32 v71, v56
	v_cmp_ngt_f32_e32 vcc, s41, v69
	v_pk_mul_f16 v52, v52, v91
	s_or_b32 s4, s18, 16
	v_cndmask_b32_e32 v57, 0, v57, vcc
	v_cmp_nlt_f32_e32 vcc, s42, v69
	v_mul_u32_u24_e32 v92, 0x10001, v71
	v_pk_mul_f16 v48, v48, v92
	v_cndmask_b32_e32 v70, v21, v57, vcc
	v_sub_f32_e32 v57, v68, v3
	v_mul_f32_e32 v68, 0x3fb8aa3b, v57
	v_fma_f32 v69, v57, s40, -v68
	v_rndne_f32_e32 v71, v68
	v_fmac_f32_e32 v69, 0x32a5705f, v57
	v_sub_f32_e32 v68, v68, v71
	v_add_f32_e32 v68, v68, v69
	v_exp_f32_e32 v68, v68
	v_cvt_i32_f32_e32 v69, v71
	v_cmp_ngt_f32_e32 vcc, s41, v57
	v_pk_mul_f16 v46, v46, v92
	v_pk_mul_f16 v47, v47, v92
	v_ldexp_f32 v68, v68, v69
	v_sub_f32_e32 v69, v73, v3
	v_mul_f32_e32 v71, 0x3fb8aa3b, v69
	v_fma_f32 v72, v69, s40, -v71
	v_rndne_f32_e32 v73, v71
	v_fmac_f32_e32 v72, 0x32a5705f, v69
	v_sub_f32_e32 v71, v71, v73
	v_add_f32_e32 v71, v71, v72
	v_exp_f32_e32 v71, v71
	v_cvt_i32_f32_e32 v72, v73
	v_cndmask_b32_e32 v68, 0, v68, vcc
	v_cmp_nlt_f32_e32 vcc, s42, v57
	s_mul_hi_i32 s5, s4, s2
	s_mul_i32 s4, s4, s2
	v_cndmask_b32_e32 v57, v21, v68, vcc
	v_ldexp_f32 v68, v71, v72
	v_cvt_f16_f32_e32 v72, v57
	v_cmp_ngt_f32_e32 vcc, s41, v69
	s_lshl_b64 s[4:5], s[4:5], 2
	s_add_u32 s4, s12, s4
	v_cndmask_b32_e32 v68, 0, v68, vcc
	v_cmp_nlt_f32_e32 vcc, s42, v69
	s_addc_u32 s5, s13, s5
	s_nop 0
	v_cndmask_b32_e32 v71, v21, v68, vcc
	v_pk_fma_f32 v[14:15], v[14:15], v[56:57], v[70:71]
	v_mul_u32_u24_e32 v56, 0x10001, v72
	v_pk_mul_f16 v57, v43, v56
	v_pk_mul_f16 v93, v42, v56
	;; [unrolled: 1-line block ×4, first 2 shown]
	v_add_u32_e32 v56, v63, v39
	v_cvt_pk_f16_f32 v43, v70, v71
	v_cvt_pk_f16_f32 v42, v86, v87
	ds_write_b64 v56, v[42:43]
	s_waitcnt vmcnt(1)
	ds_write_b128 v64, v[76:79]
	s_waitcnt vmcnt(0)
	ds_write_b128 v65, v[80:83]
	s_waitcnt lgkmcnt(0)
	s_barrier
	v_add_u32_e32 v43, 0x4000, v39
	ds_read_b128 v[68:71], v63
	ds_read2_b64 v[72:75], v43 offset1:32
	ds_read_b128 v[76:79], v63 offset:16
	ds_read_b128 v[80:83], v63 offset:32
	ds_read_b128 v[84:87], v63 offset:48
	s_waitcnt lgkmcnt(4)
	v_mul_u32_u24_sdwa v42, v68, s44 dst_sel:DWORD dst_unused:UNUSED_PAD src0_sel:WORD_0 src1_sel:DWORD
	v_mul_u32_u24_sdwa v56, v68, s44 dst_sel:DWORD dst_unused:UNUSED_PAD src0_sel:WORD_1 src1_sel:DWORD
	s_waitcnt lgkmcnt(3)
	v_pk_mul_f16 v94, v72, v42
	v_mul_u32_u24_sdwa v68, v69, s44 dst_sel:DWORD dst_unused:UNUSED_PAD src0_sel:WORD_0 src1_sel:DWORD
	v_pk_fma_f16 v50, v50, v88, v94
	v_pk_mul_f16 v88, v72, v56
	v_mul_u32_u24_sdwa v69, v69, s44 dst_sel:DWORD dst_unused:UNUSED_PAD src0_sel:WORD_1 src1_sel:DWORD
	v_pk_fma_f16 v49, v49, v91, v88
	v_pk_mul_f16 v88, v72, v68
	v_pk_fma_f16 v57, v72, v69, v57
	v_pk_fma_f16 v88, v45, v92, v88
	;; [unrolled: 1-line block ×12, first 2 shown]
	ds_read2_b64 v[44:47], v43 offset0:64 offset1:96
	v_pk_fma_f16 v41, v74, v69, v41
	v_pk_fma_f16 v42, v75, v42, v90
	v_mul_u32_u24_sdwa v69, v70, s44 dst_sel:DWORD dst_unused:UNUSED_PAD src0_sel:WORD_0 src1_sel:DWORD
	v_mul_u32_u24_sdwa v70, v70, s44 dst_sel:DWORD dst_unused:UNUSED_PAD src0_sel:WORD_1 src1_sel:DWORD
	v_mul_u32_u24_sdwa v74, v71, s44 dst_sel:DWORD dst_unused:UNUSED_PAD src0_sel:WORD_0 src1_sel:DWORD
	v_mul_u32_u24_sdwa v71, v71, s44 dst_sel:DWORD dst_unused:UNUSED_PAD src0_sel:WORD_1 src1_sel:DWORD
	s_waitcnt lgkmcnt(0)
	v_pk_fma_f16 v50, v44, v69, v50
	v_pk_fma_f16 v49, v44, v70, v49
	v_pk_fma_f16 v75, v44, v74, v88
	v_pk_fma_f16 v57, v44, v71, v57
	v_pk_fma_f16 v58, v45, v69, v58
	v_pk_fma_f16 v54, v45, v70, v54
	v_pk_fma_f16 v48, v45, v74, v48
	v_pk_fma_f16 v72, v45, v71, v72
	v_pk_fma_f16 v73, v46, v69, v73
	v_pk_fma_f16 v51, v46, v70, v51
	v_pk_fma_f16 v88, v46, v74, v89
	v_pk_fma_f16 v41, v46, v71, v41
	v_pk_fma_f16 v42, v47, v69, v42
	v_pk_fma_f16 v52, v47, v70, v52
	v_pk_fma_f16 v56, v47, v74, v56
	v_pk_fma_f16 v68, v47, v71, v68
	ds_read2_b64 v[44:47], v43 offset0:128 offset1:160
	v_mul_u32_u24_sdwa v69, v76, s44 dst_sel:DWORD dst_unused:UNUSED_PAD src0_sel:WORD_0 src1_sel:DWORD
	v_mul_u32_u24_sdwa v70, v76, s44 dst_sel:DWORD dst_unused:UNUSED_PAD src0_sel:WORD_1 src1_sel:DWORD
	v_mul_u32_u24_sdwa v71, v77, s44 dst_sel:DWORD dst_unused:UNUSED_PAD src0_sel:WORD_0 src1_sel:DWORD
	v_mul_u32_u24_sdwa v74, v77, s44 dst_sel:DWORD dst_unused:UNUSED_PAD src0_sel:WORD_1 src1_sel:DWORD
	s_waitcnt lgkmcnt(0)
	v_pk_fma_f16 v50, v44, v69, v50
	v_pk_fma_f16 v49, v44, v70, v49
	;; [unrolled: 1-line block ×16, first 2 shown]
	ds_read2_b64 v[44:47], v43 offset0:192 offset1:224
	v_mul_u32_u24_sdwa v69, v78, s44 dst_sel:DWORD dst_unused:UNUSED_PAD src0_sel:WORD_0 src1_sel:DWORD
	v_mul_u32_u24_sdwa v70, v78, s44 dst_sel:DWORD dst_unused:UNUSED_PAD src0_sel:WORD_1 src1_sel:DWORD
	v_mul_u32_u24_sdwa v71, v79, s44 dst_sel:DWORD dst_unused:UNUSED_PAD src0_sel:WORD_0 src1_sel:DWORD
	v_mul_u32_u24_sdwa v74, v79, s44 dst_sel:DWORD dst_unused:UNUSED_PAD src0_sel:WORD_1 src1_sel:DWORD
	s_waitcnt lgkmcnt(0)
	v_pk_fma_f16 v50, v44, v69, v50
	v_pk_fma_f16 v77, v44, v70, v49
	;; [unrolled: 1-line block ×4, first 2 shown]
	v_add_u32_e32 v44, 0x4800, v39
	v_pk_fma_f16 v58, v45, v69, v58
	v_pk_fma_f16 v54, v45, v70, v54
	v_pk_fma_f16 v78, v45, v71, v48
	v_pk_fma_f16 v45, v45, v74, v72
	v_pk_fma_f16 v72, v46, v69, v73
	v_pk_fma_f16 v51, v46, v70, v51
	v_pk_fma_f16 v73, v46, v71, v76
	v_pk_fma_f16 v41, v46, v74, v41
	v_pk_fma_f16 v42, v47, v69, v42
	v_pk_fma_f16 v52, v47, v70, v52
	v_pk_fma_f16 v56, v47, v71, v56
	v_pk_fma_f16 v68, v47, v74, v68
	ds_read2_b64 v[46:49], v44 offset1:32
	v_mul_u32_u24_sdwa v69, v80, s44 dst_sel:DWORD dst_unused:UNUSED_PAD src0_sel:WORD_0 src1_sel:DWORD
	v_mul_u32_u24_sdwa v70, v80, s44 dst_sel:DWORD dst_unused:UNUSED_PAD src0_sel:WORD_1 src1_sel:DWORD
	v_mul_u32_u24_sdwa v71, v81, s44 dst_sel:DWORD dst_unused:UNUSED_PAD src0_sel:WORD_0 src1_sel:DWORD
	v_mul_u32_u24_sdwa v74, v81, s44 dst_sel:DWORD dst_unused:UNUSED_PAD src0_sel:WORD_1 src1_sel:DWORD
	s_waitcnt lgkmcnt(0)
	v_pk_fma_f16 v50, v46, v69, v50
	v_pk_fma_f16 v76, v46, v70, v77
	v_pk_fma_f16 v75, v46, v71, v75
	v_pk_fma_f16 v57, v46, v74, v57
	v_pk_fma_f16 v58, v47, v69, v58
	v_pk_fma_f16 v54, v47, v70, v54
	v_pk_fma_f16 v77, v47, v71, v78
	v_pk_fma_f16 v45, v47, v74, v45
	v_pk_fma_f16 v72, v48, v69, v72
	v_pk_fma_f16 v51, v48, v70, v51
	v_pk_fma_f16 v73, v48, v71, v73
	v_pk_fma_f16 v41, v48, v74, v41
	v_pk_fma_f16 v42, v49, v69, v42
	v_pk_fma_f16 v52, v49, v70, v52
	v_pk_fma_f16 v56, v49, v71, v56
	v_pk_fma_f16 v68, v49, v74, v68
	ds_read2_b64 v[46:49], v44 offset0:64 offset1:96
	v_mul_u32_u24_sdwa v69, v82, s44 dst_sel:DWORD dst_unused:UNUSED_PAD src0_sel:WORD_0 src1_sel:DWORD
	v_mul_u32_u24_sdwa v70, v82, s44 dst_sel:DWORD dst_unused:UNUSED_PAD src0_sel:WORD_1 src1_sel:DWORD
	v_mul_u32_u24_sdwa v71, v83, s44 dst_sel:DWORD dst_unused:UNUSED_PAD src0_sel:WORD_0 src1_sel:DWORD
	v_mul_u32_u24_sdwa v74, v83, s44 dst_sel:DWORD dst_unused:UNUSED_PAD src0_sel:WORD_1 src1_sel:DWORD
	s_waitcnt lgkmcnt(0)
	v_pk_fma_f16 v50, v46, v69, v50
	v_pk_fma_f16 v76, v46, v70, v76
	v_pk_fma_f16 v75, v46, v71, v75
	v_pk_fma_f16 v57, v46, v74, v57
	v_pk_fma_f16 v58, v47, v69, v58
	v_pk_fma_f16 v54, v47, v70, v54
	v_pk_fma_f16 v77, v47, v71, v77
	v_pk_fma_f16 v45, v47, v74, v45
	v_pk_fma_f16 v72, v48, v69, v72
	v_pk_fma_f16 v51, v48, v70, v51
	v_pk_fma_f16 v73, v48, v71, v73
	v_pk_fma_f16 v41, v48, v74, v41
	v_pk_fma_f16 v42, v49, v69, v42
	v_pk_fma_f16 v52, v49, v70, v52
	v_pk_fma_f16 v56, v49, v71, v56
	v_pk_fma_f16 v68, v49, v74, v68
	ds_read2_b64 v[46:49], v44 offset0:128 offset1:160
	;; [unrolled: 22-line block ×3, first 2 shown]
	v_mul_u32_u24_sdwa v68, v86, s44 dst_sel:DWORD dst_unused:UNUSED_PAD src0_sel:WORD_0 src1_sel:DWORD
	v_mul_u32_u24_sdwa v69, v86, s44 dst_sel:DWORD dst_unused:UNUSED_PAD src0_sel:WORD_1 src1_sel:DWORD
	v_mul_u32_u24_sdwa v70, v87, s44 dst_sel:DWORD dst_unused:UNUSED_PAD src0_sel:WORD_0 src1_sel:DWORD
	v_mul_u32_u24_sdwa v78, v87, s44 dst_sel:DWORD dst_unused:UNUSED_PAD src0_sel:WORD_1 src1_sel:DWORD
	s_waitcnt lgkmcnt(0)
	v_pk_fma_f16 v50, v46, v68, v50
	v_pk_fma_f16 v76, v46, v69, v76
	;; [unrolled: 1-line block ×12, first 2 shown]
	ds_read_b128 v[68:71], v63 offset:64
	v_pk_fma_f16 v82, v48, v78, v41
	v_add_u32_e32 v41, 0x5000, v39
	v_pk_fma_f16 v57, v46, v78, v57
	v_pk_fma_f16 v45, v47, v78, v45
	;; [unrolled: 1-line block ×3, first 2 shown]
	ds_read2_b64 v[46:49], v41 offset1:32
	ds_read_b128 v[72:75], v63 offset:80
	s_waitcnt lgkmcnt(2)
	v_mul_u32_u24_sdwa v83, v68, s44 dst_sel:DWORD dst_unused:UNUSED_PAD src0_sel:WORD_0 src1_sel:DWORD
	v_mul_u32_u24_sdwa v68, v68, s44 dst_sel:DWORD dst_unused:UNUSED_PAD src0_sel:WORD_1 src1_sel:DWORD
	v_mul_u32_u24_sdwa v84, v69, s44 dst_sel:DWORD dst_unused:UNUSED_PAD src0_sel:WORD_0 src1_sel:DWORD
	v_mul_u32_u24_sdwa v69, v69, s44 dst_sel:DWORD dst_unused:UNUSED_PAD src0_sel:WORD_1 src1_sel:DWORD
	s_waitcnt lgkmcnt(1)
	v_pk_fma_f16 v50, v46, v83, v50
	v_pk_fma_f16 v76, v46, v68, v76
	v_pk_fma_f16 v79, v46, v84, v79
	v_pk_fma_f16 v57, v46, v69, v57
	v_pk_fma_f16 v58, v47, v83, v58
	v_pk_fma_f16 v54, v47, v68, v54
	v_pk_fma_f16 v77, v47, v84, v77
	v_pk_fma_f16 v45, v47, v69, v45
	v_pk_fma_f16 v80, v48, v83, v80
	v_pk_fma_f16 v51, v48, v68, v51
	v_pk_fma_f16 v81, v48, v84, v81
	v_pk_fma_f16 v82, v48, v69, v82
	v_pk_fma_f16 v42, v49, v83, v42
	v_pk_fma_f16 v52, v49, v68, v52
	v_pk_fma_f16 v56, v49, v84, v56
	v_pk_fma_f16 v68, v49, v69, v78
	ds_read2_b64 v[46:49], v41 offset0:64 offset1:96
	v_mul_u32_u24_sdwa v69, v70, s44 dst_sel:DWORD dst_unused:UNUSED_PAD src0_sel:WORD_0 src1_sel:DWORD
	v_mul_u32_u24_sdwa v70, v70, s44 dst_sel:DWORD dst_unused:UNUSED_PAD src0_sel:WORD_1 src1_sel:DWORD
	v_mul_u32_u24_sdwa v78, v71, s44 dst_sel:DWORD dst_unused:UNUSED_PAD src0_sel:WORD_0 src1_sel:DWORD
	v_mul_u32_u24_sdwa v71, v71, s44 dst_sel:DWORD dst_unused:UNUSED_PAD src0_sel:WORD_1 src1_sel:DWORD
	s_waitcnt lgkmcnt(0)
	v_pk_fma_f16 v50, v46, v69, v50
	v_pk_fma_f16 v76, v46, v70, v76
	v_pk_fma_f16 v79, v46, v78, v79
	v_pk_fma_f16 v57, v46, v71, v57
	v_pk_fma_f16 v58, v47, v69, v58
	v_pk_fma_f16 v54, v47, v70, v54
	v_pk_fma_f16 v77, v47, v78, v77
	v_pk_fma_f16 v45, v47, v71, v45
	v_pk_fma_f16 v80, v48, v69, v80
	v_pk_fma_f16 v51, v48, v70, v51
	v_pk_fma_f16 v81, v48, v78, v81
	v_pk_fma_f16 v82, v48, v71, v82
	v_pk_fma_f16 v42, v49, v69, v42
	v_pk_fma_f16 v52, v49, v70, v52
	v_pk_fma_f16 v56, v49, v78, v56
	v_pk_fma_f16 v68, v49, v71, v68
	ds_read2_b64 v[46:49], v41 offset0:128 offset1:160
	;; [unrolled: 22-line block ×3, first 2 shown]
	v_mul_u32_u24_sdwa v68, v74, s44 dst_sel:DWORD dst_unused:UNUSED_PAD src0_sel:WORD_0 src1_sel:DWORD
	v_mul_u32_u24_sdwa v69, v74, s44 dst_sel:DWORD dst_unused:UNUSED_PAD src0_sel:WORD_1 src1_sel:DWORD
	v_mul_u32_u24_sdwa v70, v75, s44 dst_sel:DWORD dst_unused:UNUSED_PAD src0_sel:WORD_0 src1_sel:DWORD
	v_mul_u32_u24_sdwa v74, v75, s44 dst_sel:DWORD dst_unused:UNUSED_PAD src0_sel:WORD_1 src1_sel:DWORD
	s_waitcnt lgkmcnt(0)
	v_pk_fma_f16 v96, v46, v68, v50
	v_pk_fma_f16 v102, v48, v69, v51
	v_lshl_add_u64 v[50:51], s[4:5], 0, v[12:13]
	v_pk_fma_f16 v99, v46, v74, v57
	v_pk_fma_f16 v105, v49, v68, v42
	;; [unrolled: 1-line block ×3, first 2 shown]
	v_add_u32_e32 v42, 0x5800, v39
	v_lshl_add_u64 v[50:51], v[50:51], 0, v[18:19]
	v_lshl_add_u64 v[56:57], s[4:5], 0, v[22:23]
	v_pk_fma_f16 v97, v46, v69, v73
	v_pk_fma_f16 v98, v46, v70, v76
	;; [unrolled: 1-line block ×10, first 2 shown]
	ds_read_b128 v[68:71], v63 offset:96
	v_pk_fma_f16 v107, v49, v74, v72
	ds_read2_b64 v[46:49], v42 offset1:32
	ds_read_b128 v[72:75], v63 offset:112
	ds_read2_b64 v[76:79], v42 offset0:64 offset1:96
	ds_read2_b64 v[80:83], v42 offset0:128 offset1:160
	;; [unrolled: 1-line block ×3, first 2 shown]
	s_waitcnt lgkmcnt(0)
	s_barrier
	v_lshl_add_u64 v[56:57], v[56:57], 0, v[18:19]
	global_load_dwordx4 v[88:91], v[50:51], off
	global_load_dwordx4 v[92:95], v[56:57], off
	v_mul_u32_u24_sdwa v108, v68, s44 dst_sel:DWORD dst_unused:UNUSED_PAD src0_sel:WORD_0 src1_sel:DWORD
	v_mul_u32_u24_sdwa v68, v68, s44 dst_sel:DWORD dst_unused:UNUSED_PAD src0_sel:WORD_1 src1_sel:DWORD
	v_mul_u32_u24_sdwa v50, v69, s44 dst_sel:DWORD dst_unused:UNUSED_PAD src0_sel:WORD_0 src1_sel:DWORD
	v_mul_u32_u24_sdwa v51, v69, s44 dst_sel:DWORD dst_unused:UNUSED_PAD src0_sel:WORD_1 src1_sel:DWORD
	v_pk_fma_f16 v56, v46, v108, v96
	v_pk_fma_f16 v57, v46, v68, v97
	v_pk_fma_f16 v69, v46, v50, v98
	v_pk_fma_f16 v46, v46, v51, v99
	v_pk_fma_f16 v58, v47, v108, v58
	v_pk_fma_f16 v54, v47, v68, v54
	v_pk_fma_f16 v96, v47, v50, v100
	v_pk_fma_f16 v45, v47, v51, v45
	v_pk_fma_f16 v47, v48, v108, v101
	v_pk_fma_f16 v97, v48, v68, v102
	v_pk_fma_f16 v98, v48, v50, v103
	v_pk_fma_f16 v48, v48, v51, v104
	v_pk_fma_f16 v99, v49, v108, v105
	v_pk_fma_f16 v52, v49, v68, v52
	v_pk_fma_f16 v50, v49, v50, v106
	v_pk_fma_f16 v49, v49, v51, v107
	v_mul_u32_u24_sdwa v51, v70, s44 dst_sel:DWORD dst_unused:UNUSED_PAD src0_sel:WORD_0 src1_sel:DWORD
	v_mul_u32_u24_sdwa v68, v70, s44 dst_sel:DWORD dst_unused:UNUSED_PAD src0_sel:WORD_1 src1_sel:DWORD
	v_mul_u32_u24_sdwa v70, v71, s44 dst_sel:DWORD dst_unused:UNUSED_PAD src0_sel:WORD_0 src1_sel:DWORD
	v_mul_u32_u24_sdwa v71, v71, s44 dst_sel:DWORD dst_unused:UNUSED_PAD src0_sel:WORD_1 src1_sel:DWORD
	v_pk_fma_f16 v56, v76, v51, v56
	v_pk_fma_f16 v57, v76, v68, v57
	v_pk_fma_f16 v69, v76, v70, v69
	v_pk_fma_f16 v46, v76, v71, v46
	v_pk_fma_f16 v58, v77, v51, v58
	v_pk_fma_f16 v54, v77, v68, v54
	v_pk_fma_f16 v76, v77, v70, v96
	v_pk_fma_f16 v45, v77, v71, v45
	v_pk_fma_f16 v47, v78, v51, v47
	v_pk_fma_f16 v77, v78, v68, v97
	v_pk_fma_f16 v96, v78, v70, v98
	v_pk_fma_f16 v48, v78, v71, v48
	v_pk_fma_f16 v51, v79, v51, v99
	v_pk_fma_f16 v52, v79, v68, v52
	v_pk_fma_f16 v50, v79, v70, v50
	v_pk_fma_f16 v49, v79, v71, v49
	;; [unrolled: 20-line block ×4, first 2 shown]
	s_waitcnt vmcnt(1)
	ds_write_b128 v64, v[88:91]
	s_waitcnt vmcnt(0)
	ds_write_b128 v65, v[92:95]
	s_waitcnt lgkmcnt(0)
	s_barrier
	ds_read_b128 v[46:49], v63 offset:128
	ds_read2_b64 v[68:71], v43 offset1:32
	ds_read_b128 v[72:75], v63 offset:144
	ds_read_b128 v[76:79], v63 offset:160
	;; [unrolled: 1-line block ×3, first 2 shown]
	s_waitcnt lgkmcnt(4)
	v_mul_u32_u24_sdwa v88, v46, s44 dst_sel:DWORD dst_unused:UNUSED_PAD src0_sel:WORD_0 src1_sel:DWORD
	v_mul_u32_u24_sdwa v46, v46, s44 dst_sel:DWORD dst_unused:UNUSED_PAD src0_sel:WORD_1 src1_sel:DWORD
	v_mul_u32_u24_sdwa v89, v47, s44 dst_sel:DWORD dst_unused:UNUSED_PAD src0_sel:WORD_0 src1_sel:DWORD
	v_mul_u32_u24_sdwa v47, v47, s44 dst_sel:DWORD dst_unused:UNUSED_PAD src0_sel:WORD_1 src1_sel:DWORD
	s_waitcnt lgkmcnt(3)
	v_pk_fma_f16 v56, v68, v88, v56
	v_pk_fma_f16 v57, v68, v46, v57
	v_pk_fma_f16 v90, v68, v89, v96
	v_pk_fma_f16 v84, v68, v47, v84
	v_pk_fma_f16 v58, v69, v88, v58
	v_pk_fma_f16 v54, v69, v46, v54
	v_pk_fma_f16 v91, v69, v89, v97
	v_pk_fma_f16 v45, v69, v47, v45
	v_pk_fma_f16 v85, v70, v88, v85
	v_pk_fma_f16 v92, v70, v46, v98
	v_pk_fma_f16 v93, v70, v89, v99
	v_pk_fma_f16 v86, v70, v47, v86
	v_pk_fma_f16 v51, v71, v88, v51
	v_pk_fma_f16 v46, v71, v46, v52
	v_pk_fma_f16 v50, v71, v89, v50
	v_pk_fma_f16 v47, v71, v47, v87
	ds_read2_b64 v[68:71], v43 offset0:64 offset1:96
	v_mul_u32_u24_sdwa v52, v48, s44 dst_sel:DWORD dst_unused:UNUSED_PAD src0_sel:WORD_0 src1_sel:DWORD
	v_mul_u32_u24_sdwa v48, v48, s44 dst_sel:DWORD dst_unused:UNUSED_PAD src0_sel:WORD_1 src1_sel:DWORD
	v_mul_u32_u24_sdwa v87, v49, s44 dst_sel:DWORD dst_unused:UNUSED_PAD src0_sel:WORD_0 src1_sel:DWORD
	v_mul_u32_u24_sdwa v49, v49, s44 dst_sel:DWORD dst_unused:UNUSED_PAD src0_sel:WORD_1 src1_sel:DWORD
	s_waitcnt lgkmcnt(0)
	v_pk_fma_f16 v56, v68, v52, v56
	v_pk_fma_f16 v57, v68, v48, v57
	v_pk_fma_f16 v88, v68, v87, v90
	v_pk_fma_f16 v68, v68, v49, v84
	v_pk_fma_f16 v58, v69, v52, v58
	v_pk_fma_f16 v54, v69, v48, v54
	v_pk_fma_f16 v84, v69, v87, v91
	v_pk_fma_f16 v45, v69, v49, v45
	v_pk_fma_f16 v69, v70, v52, v85
	v_pk_fma_f16 v85, v70, v48, v92
	v_pk_fma_f16 v89, v70, v87, v93
	v_pk_fma_f16 v70, v70, v49, v86
	v_pk_fma_f16 v51, v71, v52, v51
	v_pk_fma_f16 v52, v71, v48, v46
	v_pk_fma_f16 v50, v71, v87, v50
	v_pk_fma_f16 v71, v71, v49, v47
	ds_read2_b64 v[46:49], v43 offset0:128 offset1:160
	v_mul_u32_u24_sdwa v86, v72, s44 dst_sel:DWORD dst_unused:UNUSED_PAD src0_sel:WORD_0 src1_sel:DWORD
	v_mul_u32_u24_sdwa v72, v72, s44 dst_sel:DWORD dst_unused:UNUSED_PAD src0_sel:WORD_1 src1_sel:DWORD
	v_mul_u32_u24_sdwa v87, v73, s44 dst_sel:DWORD dst_unused:UNUSED_PAD src0_sel:WORD_0 src1_sel:DWORD
	v_mul_u32_u24_sdwa v73, v73, s44 dst_sel:DWORD dst_unused:UNUSED_PAD src0_sel:WORD_1 src1_sel:DWORD
	s_waitcnt lgkmcnt(0)
	v_pk_fma_f16 v56, v46, v86, v56
	v_pk_fma_f16 v57, v46, v72, v57
	v_pk_fma_f16 v88, v46, v87, v88
	v_pk_fma_f16 v68, v46, v73, v68
	v_pk_fma_f16 v58, v47, v86, v58
	v_pk_fma_f16 v54, v47, v72, v54
	v_pk_fma_f16 v84, v47, v87, v84
	v_pk_fma_f16 v45, v47, v73, v45
	v_pk_fma_f16 v69, v48, v86, v69
	v_pk_fma_f16 v85, v48, v72, v85
	v_pk_fma_f16 v89, v48, v87, v89
	v_pk_fma_f16 v70, v48, v73, v70
	v_pk_fma_f16 v51, v49, v86, v51
	v_pk_fma_f16 v52, v49, v72, v52
	v_pk_fma_f16 v50, v49, v87, v50
	v_pk_fma_f16 v71, v49, v73, v71
	ds_read2_b64 v[46:49], v43 offset0:192 offset1:224
	v_mul_u32_u24_sdwa v43, v74, s44 dst_sel:DWORD dst_unused:UNUSED_PAD src0_sel:WORD_0 src1_sel:DWORD
	v_mul_u32_u24_sdwa v72, v74, s44 dst_sel:DWORD dst_unused:UNUSED_PAD src0_sel:WORD_1 src1_sel:DWORD
	v_mul_u32_u24_sdwa v73, v75, s44 dst_sel:DWORD dst_unused:UNUSED_PAD src0_sel:WORD_0 src1_sel:DWORD
	v_mul_u32_u24_sdwa v74, v75, s44 dst_sel:DWORD dst_unused:UNUSED_PAD src0_sel:WORD_1 src1_sel:DWORD
	s_waitcnt lgkmcnt(0)
	v_pk_fma_f16 v56, v46, v43, v56
	v_pk_fma_f16 v57, v46, v72, v57
	;; [unrolled: 1-line block ×16, first 2 shown]
	ds_read2_b64 v[46:49], v44 offset1:32
	v_mul_u32_u24_sdwa v71, v76, s44 dst_sel:DWORD dst_unused:UNUSED_PAD src0_sel:WORD_0 src1_sel:DWORD
	v_mul_u32_u24_sdwa v72, v76, s44 dst_sel:DWORD dst_unused:UNUSED_PAD src0_sel:WORD_1 src1_sel:DWORD
	v_mul_u32_u24_sdwa v73, v77, s44 dst_sel:DWORD dst_unused:UNUSED_PAD src0_sel:WORD_0 src1_sel:DWORD
	v_mul_u32_u24_sdwa v74, v77, s44 dst_sel:DWORD dst_unused:UNUSED_PAD src0_sel:WORD_1 src1_sel:DWORD
	s_waitcnt lgkmcnt(0)
	v_pk_fma_f16 v56, v46, v71, v56
	v_pk_fma_f16 v57, v46, v72, v57
	;; [unrolled: 1-line block ×16, first 2 shown]
	ds_read2_b64 v[46:49], v44 offset0:64 offset1:96
	v_mul_u32_u24_sdwa v71, v78, s44 dst_sel:DWORD dst_unused:UNUSED_PAD src0_sel:WORD_0 src1_sel:DWORD
	v_mul_u32_u24_sdwa v72, v78, s44 dst_sel:DWORD dst_unused:UNUSED_PAD src0_sel:WORD_1 src1_sel:DWORD
	v_mul_u32_u24_sdwa v73, v79, s44 dst_sel:DWORD dst_unused:UNUSED_PAD src0_sel:WORD_0 src1_sel:DWORD
	v_mul_u32_u24_sdwa v74, v79, s44 dst_sel:DWORD dst_unused:UNUSED_PAD src0_sel:WORD_1 src1_sel:DWORD
	s_waitcnt lgkmcnt(0)
	v_pk_fma_f16 v56, v46, v71, v56
	v_pk_fma_f16 v57, v46, v72, v57
	;; [unrolled: 1-line block ×16, first 2 shown]
	ds_read2_b64 v[46:49], v44 offset0:128 offset1:160
	v_mul_u32_u24_sdwa v71, v80, s44 dst_sel:DWORD dst_unused:UNUSED_PAD src0_sel:WORD_0 src1_sel:DWORD
	v_mul_u32_u24_sdwa v72, v80, s44 dst_sel:DWORD dst_unused:UNUSED_PAD src0_sel:WORD_1 src1_sel:DWORD
	v_mul_u32_u24_sdwa v73, v81, s44 dst_sel:DWORD dst_unused:UNUSED_PAD src0_sel:WORD_0 src1_sel:DWORD
	v_mul_u32_u24_sdwa v74, v81, s44 dst_sel:DWORD dst_unused:UNUSED_PAD src0_sel:WORD_1 src1_sel:DWORD
	s_waitcnt lgkmcnt(0)
	v_pk_fma_f16 v56, v46, v71, v56
	v_pk_fma_f16 v57, v46, v72, v57
	;; [unrolled: 1-line block ×8, first 2 shown]
	ds_read2_b64 v[44:47], v44 offset0:192 offset1:224
	v_pk_fma_f16 v69, v48, v71, v69
	v_pk_fma_f16 v77, v48, v72, v77
	;; [unrolled: 1-line block ×8, first 2 shown]
	v_mul_u32_u24_sdwa v49, v82, s44 dst_sel:DWORD dst_unused:UNUSED_PAD src0_sel:WORD_0 src1_sel:DWORD
	v_mul_u32_u24_sdwa v50, v82, s44 dst_sel:DWORD dst_unused:UNUSED_PAD src0_sel:WORD_1 src1_sel:DWORD
	v_mul_u32_u24_sdwa v71, v83, s44 dst_sel:DWORD dst_unused:UNUSED_PAD src0_sel:WORD_0 src1_sel:DWORD
	v_mul_u32_u24_sdwa v72, v83, s44 dst_sel:DWORD dst_unused:UNUSED_PAD src0_sel:WORD_1 src1_sel:DWORD
	s_waitcnt lgkmcnt(0)
	v_pk_fma_f16 v56, v44, v49, v56
	v_pk_fma_f16 v57, v44, v50, v57
	v_pk_fma_f16 v73, v44, v71, v75
	v_pk_fma_f16 v58, v45, v49, v58
	v_pk_fma_f16 v54, v45, v50, v54
	v_pk_fma_f16 v75, v45, v71, v76
	v_pk_fma_f16 v76, v45, v72, v79
	v_pk_fma_f16 v79, v46, v49, v69
	v_pk_fma_f16 v77, v46, v50, v77
	v_pk_fma_f16 v80, v46, v72, v48
	v_pk_fma_f16 v43, v47, v49, v43
	v_pk_fma_f16 v81, v47, v50, v51
	ds_read_b128 v[48:51], v63 offset:192
	v_pk_fma_f16 v74, v44, v72, v68
	v_pk_fma_f16 v78, v46, v71, v78
	;; [unrolled: 1-line block ×4, first 2 shown]
	ds_read2_b64 v[44:47], v41 offset1:32
	ds_read_b128 v[68:71], v63 offset:208
	s_waitcnt lgkmcnt(2)
	v_mul_u32_u24_sdwa v72, v48, s44 dst_sel:DWORD dst_unused:UNUSED_PAD src0_sel:WORD_0 src1_sel:DWORD
	v_mul_u32_u24_sdwa v48, v48, s44 dst_sel:DWORD dst_unused:UNUSED_PAD src0_sel:WORD_1 src1_sel:DWORD
	v_mul_u32_u24_sdwa v83, v49, s44 dst_sel:DWORD dst_unused:UNUSED_PAD src0_sel:WORD_0 src1_sel:DWORD
	v_mul_u32_u24_sdwa v49, v49, s44 dst_sel:DWORD dst_unused:UNUSED_PAD src0_sel:WORD_1 src1_sel:DWORD
	s_waitcnt lgkmcnt(1)
	v_pk_fma_f16 v56, v44, v72, v56
	v_pk_fma_f16 v57, v44, v48, v57
	v_pk_fma_f16 v73, v44, v83, v73
	v_pk_fma_f16 v74, v44, v49, v74
	v_pk_fma_f16 v58, v45, v72, v58
	v_pk_fma_f16 v54, v45, v48, v54
	v_pk_fma_f16 v75, v45, v83, v75
	v_pk_fma_f16 v76, v45, v49, v76
	v_pk_fma_f16 v79, v46, v72, v79
	v_pk_fma_f16 v77, v46, v48, v77
	v_pk_fma_f16 v78, v46, v83, v78
	v_pk_fma_f16 v80, v46, v49, v80
	v_pk_fma_f16 v43, v47, v72, v43
	v_pk_fma_f16 v48, v47, v48, v81
	v_pk_fma_f16 v72, v47, v83, v82
	v_pk_fma_f16 v49, v47, v49, v52
	ds_read2_b64 v[44:47], v41 offset0:64 offset1:96
	v_mul_u32_u24_sdwa v52, v50, s44 dst_sel:DWORD dst_unused:UNUSED_PAD src0_sel:WORD_0 src1_sel:DWORD
	v_mul_u32_u24_sdwa v50, v50, s44 dst_sel:DWORD dst_unused:UNUSED_PAD src0_sel:WORD_1 src1_sel:DWORD
	v_mul_u32_u24_sdwa v81, v51, s44 dst_sel:DWORD dst_unused:UNUSED_PAD src0_sel:WORD_0 src1_sel:DWORD
	v_mul_u32_u24_sdwa v51, v51, s44 dst_sel:DWORD dst_unused:UNUSED_PAD src0_sel:WORD_1 src1_sel:DWORD
	s_waitcnt lgkmcnt(0)
	v_pk_fma_f16 v56, v44, v52, v56
	v_pk_fma_f16 v57, v44, v50, v57
	v_pk_fma_f16 v73, v44, v81, v73
	v_pk_fma_f16 v74, v44, v51, v74
	v_pk_fma_f16 v58, v45, v52, v58
	v_pk_fma_f16 v54, v45, v50, v54
	v_pk_fma_f16 v75, v45, v81, v75
	v_pk_fma_f16 v76, v45, v51, v76
	v_pk_fma_f16 v79, v46, v52, v79
	v_pk_fma_f16 v77, v46, v50, v77
	v_pk_fma_f16 v78, v46, v81, v78
	v_pk_fma_f16 v80, v46, v51, v80
	v_pk_fma_f16 v43, v47, v52, v43
	v_pk_fma_f16 v48, v47, v50, v48
	v_pk_fma_f16 v50, v47, v81, v72
	v_pk_fma_f16 v49, v47, v51, v49
	ds_read2_b64 v[44:47], v41 offset0:128 offset1:160
	;; [unrolled: 22-line block ×3, first 2 shown]
	v_mul_u32_u24_sdwa v41, v70, s44 dst_sel:DWORD dst_unused:UNUSED_PAD src0_sel:WORD_0 src1_sel:DWORD
	v_mul_u32_u24_sdwa v49, v70, s44 dst_sel:DWORD dst_unused:UNUSED_PAD src0_sel:WORD_1 src1_sel:DWORD
	v_mul_u32_u24_sdwa v69, v71, s44 dst_sel:DWORD dst_unused:UNUSED_PAD src0_sel:WORD_0 src1_sel:DWORD
	v_mul_u32_u24_sdwa v70, v71, s44 dst_sel:DWORD dst_unused:UNUSED_PAD src0_sel:WORD_1 src1_sel:DWORD
	s_waitcnt lgkmcnt(0)
	v_pk_fma_f16 v56, v44, v41, v56
	v_pk_fma_f16 v57, v44, v49, v57
	;; [unrolled: 1-line block ×8, first 2 shown]
	ds_read_b128 v[48:51], v63 offset:224
	v_pk_fma_f16 v72, v44, v69, v72
	v_pk_fma_f16 v73, v44, v70, v73
	;; [unrolled: 1-line block ×8, first 2 shown]
	ds_read2_b64 v[44:47], v42 offset1:32
	ds_read_b128 v[68:71], v63 offset:240
	s_waitcnt lgkmcnt(2)
	v_mul_u32_u24_sdwa v81, v48, s44 dst_sel:DWORD dst_unused:UNUSED_PAD src0_sel:WORD_0 src1_sel:DWORD
	v_mul_u32_u24_sdwa v48, v48, s44 dst_sel:DWORD dst_unused:UNUSED_PAD src0_sel:WORD_1 src1_sel:DWORD
	v_mul_u32_u24_sdwa v82, v49, s44 dst_sel:DWORD dst_unused:UNUSED_PAD src0_sel:WORD_0 src1_sel:DWORD
	v_mul_u32_u24_sdwa v49, v49, s44 dst_sel:DWORD dst_unused:UNUSED_PAD src0_sel:WORD_1 src1_sel:DWORD
	s_waitcnt lgkmcnt(1)
	v_pk_fma_f16 v56, v44, v81, v56
	v_pk_fma_f16 v57, v44, v48, v57
	;; [unrolled: 1-line block ×16, first 2 shown]
	ds_read2_b64 v[44:47], v42 offset0:64 offset1:96
	v_mul_u32_u24_sdwa v52, v50, s44 dst_sel:DWORD dst_unused:UNUSED_PAD src0_sel:WORD_0 src1_sel:DWORD
	v_mul_u32_u24_sdwa v50, v50, s44 dst_sel:DWORD dst_unused:UNUSED_PAD src0_sel:WORD_1 src1_sel:DWORD
	v_mul_u32_u24_sdwa v80, v51, s44 dst_sel:DWORD dst_unused:UNUSED_PAD src0_sel:WORD_0 src1_sel:DWORD
	v_mul_u32_u24_sdwa v51, v51, s44 dst_sel:DWORD dst_unused:UNUSED_PAD src0_sel:WORD_1 src1_sel:DWORD
	s_waitcnt lgkmcnt(0)
	v_pk_fma_f16 v56, v44, v52, v56
	v_pk_fma_f16 v57, v44, v50, v57
	;; [unrolled: 1-line block ×16, first 2 shown]
	ds_read2_b64 v[44:47], v42 offset0:128 offset1:160
	v_mul_u32_u24_sdwa v50, v68, s44 dst_sel:DWORD dst_unused:UNUSED_PAD src0_sel:WORD_0 src1_sel:DWORD
	v_mul_u32_u24_sdwa v51, v68, s44 dst_sel:DWORD dst_unused:UNUSED_PAD src0_sel:WORD_1 src1_sel:DWORD
	v_mul_u32_u24_sdwa v52, v69, s44 dst_sel:DWORD dst_unused:UNUSED_PAD src0_sel:WORD_0 src1_sel:DWORD
	v_mul_u32_u24_sdwa v68, v69, s44 dst_sel:DWORD dst_unused:UNUSED_PAD src0_sel:WORD_1 src1_sel:DWORD
	s_waitcnt lgkmcnt(0)
	v_pk_fma_f16 v56, v44, v50, v56
	v_pk_fma_f16 v57, v44, v51, v57
	;; [unrolled: 1-line block ×6, first 2 shown]
	ds_read2_b64 v[72:75], v42 offset0:192 offset1:224
	s_waitcnt lgkmcnt(0)
	s_barrier
	s_load_dword s4, s[8:9], 0x4
	v_pk_fma_f16 v58, v45, v50, v58
	v_pk_fma_f16 v54, v45, v51, v54
	;; [unrolled: 1-line block ×4, first 2 shown]
	s_waitcnt lgkmcnt(0)
	s_lshl_b32 s4, s4, 5
	v_pk_fma_f16 v78, v46, v52, v78
	v_pk_fma_f16 v79, v46, v68, v79
	;; [unrolled: 1-line block ×6, first 2 shown]
	v_mul_u32_u24_sdwa v47, v70, s44 dst_sel:DWORD dst_unused:UNUSED_PAD src0_sel:WORD_0 src1_sel:DWORD
	v_mul_u32_u24_sdwa v52, v70, s44 dst_sel:DWORD dst_unused:UNUSED_PAD src0_sel:WORD_1 src1_sel:DWORD
	v_mul_u32_u24_sdwa v70, v71, s44 dst_sel:DWORD dst_unused:UNUSED_PAD src0_sel:WORD_0 src1_sel:DWORD
	v_mul_u32_u24_sdwa v71, v71, s44 dst_sel:DWORD dst_unused:UNUSED_PAD src0_sel:WORD_1 src1_sel:DWORD
	s_add_i32 s18, s4, s18
	v_pk_fma_f16 v50, v72, v47, v56
	v_pk_fma_f16 v49, v72, v52, v57
	;; [unrolled: 1-line block ×15, first 2 shown]
	s_cmp_lt_i32 s18, s31
	v_pk_fma_f16 v44, v75, v71, v68
	s_cbranch_scc0 .LBB70_39
; %bb.37:                               ;   in Loop: Header=BB70_8 Depth=1
	v_mov_b32_e32 v71, v0
	v_mov_b32_e32 v70, v1
	;; [unrolled: 1-line block ×4, first 2 shown]
	s_branch .LBB70_8
.LBB70_38:
	v_mov_b32_e32 v0, 0xfeffffff
	v_mov_b32_e32 v1, v0
	;; [unrolled: 1-line block ×23, first 2 shown]
.LBB70_39:
	s_cmp_gt_i32 s38, s18
	s_cbranch_scc1 .LBB70_41
; %bb.40:
	v_mbcnt_hi_u32_b32 v13, -1, v59
	v_and_b32_e32 v6, 0x60, v13
	v_add_u32_e32 v22, 32, v6
	v_xor_b32_e32 v24, 16, v13
	v_xor_b32_e32 v26, 8, v13
	;; [unrolled: 1-line block ×5, first 2 shown]
	s_cbranch_execz .LBB70_42
	s_branch .LBB70_79
.LBB70_41:
                                        ; implicit-def: $vgpr13
                                        ; implicit-def: $vgpr22
                                        ; implicit-def: $vgpr24
                                        ; implicit-def: $vgpr26
                                        ; implicit-def: $vgpr27
                                        ; implicit-def: $vgpr25
                                        ; implicit-def: $vgpr23
.LBB70_42:
	s_mul_hi_i32 s5, s18, s28
	s_mul_i32 s4, s18, s28
	s_sub_i32 s10, s38, s18
	s_lshl_b64 s[4:5], s[4:5], 2
	v_lshl_add_u32 v10, v38, 1, v5
	s_mov_b64 s[6:7], src_private_base
	s_add_u32 s8, s29, s4
	v_mul_lo_u32 v8, s28, v10
	s_mov_b32 s4, 0
	s_addc_u32 s9, s30, s5
	v_ashrrev_i32_e32 v9, 31, v8
	s_mov_b32 s6, s4
	v_lshlrev_b32_e32 v22, 2, v4
	v_mov_b32_e32 v23, 0
	s_mov_b32 s5, s4
	v_mov_b32_e32 v66, s6
	v_lshl_add_u64 v[4:5], v[8:9], 2, s[8:9]
	v_mov_b32_e32 v65, s5
	v_mov_b32_e32 v64, s4
	v_lshl_add_u64 v[26:27], v[4:5], 0, v[22:23]
	v_mov_b32_e32 v60, s7
	v_cmp_gt_i32_e64 s[4:5], s10, v10
	v_mov_b32_e32 v62, 0
	scratch_store_dword off, v23, off
	scratch_store_dwordx3 off, v[64:66], off offset:4
	v_cndmask_b32_e64 v5, v60, v27, s[4:5]
	v_cndmask_b32_e64 v4, v62, v26, s[4:5]
	flat_load_dwordx4 v[4:7], v[4:5]
	v_lshl_add_u32 v8, s28, 4, v8
	s_movk_i32 s6, 0x110
	v_ashrrev_i32_e32 v9, 31, v8
	v_mad_u32_u24 v61, v10, s6, v22
	v_add_u32_e32 v10, 16, v10
	v_lshl_add_u64 v[8:9], v[8:9], 2, s[8:9]
	v_lshl_add_u64 v[24:25], v[8:9], 0, v[22:23]
	v_cmp_gt_i32_e32 vcc, s10, v10
	scratch_store_dword off, v23, off
	scratch_store_dwordx3 off, v[64:66], off offset:4
	v_cndmask_b32_e32 v9, v60, v25, vcc
	v_cndmask_b32_e32 v8, v62, v24, vcc
	v_mul_u32_u24_e32 v22, 0x110, v36
	v_mov_b32_e32 v21, v23
	v_mov_b32_e32 v19, v23
	s_mov_b64 s[6:7], 0x100
	v_lshl_add_u64 v[26:27], v[26:27], 0, s[6:7]
	v_cndmask_b32_e64 v27, v60, v27, s[4:5]
	v_cndmask_b32_e64 v26, v62, v26, s[4:5]
	s_mov_b32 s4, 0x3f200000
	s_waitcnt vmcnt(0) lgkmcnt(0)
	ds_write_b128 v61, v[4:7] offset:16384
	flat_load_dwordx4 v[6:9], v[8:9]
	v_mov_b32_e32 v4, v23
	v_mov_b32_e32 v5, v23
	s_waitcnt vmcnt(0) lgkmcnt(0)
	ds_write_b128 v61, v[6:9] offset:20736
	s_waitcnt lgkmcnt(0)
	s_barrier
	ds_read_b128 v[6:9], v22 offset:16384
	ds_read_b128 v[10:13], v55
	ds_read_b128 v[68:71], v55 offset:512
	ds_read_b128 v[72:75], v55 offset:1024
	;; [unrolled: 1-line block ×3, first 2 shown]
	s_waitcnt lgkmcnt(3)
	;;#ASMSTART
	v_dot2_f32_f16 v21, v6, v10, v21
	;;#ASMEND
	s_nop 0
	;;#ASMSTART
	v_dot2_f32_f16 v21, v7, v11, v21
	;;#ASMEND
	s_nop 0
	;;#ASMSTART
	v_dot2_f32_f16 v21, v8, v12, v21
	;;#ASMEND
	s_nop 0
	;;#ASMSTART
	v_dot2_f32_f16 v21, v9, v13, v21
	;;#ASMEND
	s_waitcnt lgkmcnt(2)
	;;#ASMSTART
	v_dot2_f32_f16 v19, v6, v68, v19
	;;#ASMEND
	s_nop 0
	;;#ASMSTART
	v_dot2_f32_f16 v19, v7, v69, v19
	;;#ASMEND
	s_nop 0
	;;#ASMSTART
	v_dot2_f32_f16 v19, v8, v70, v19
	;;#ASMEND
	s_nop 0
	;;#ASMSTART
	v_dot2_f32_f16 v19, v9, v71, v19
	;;#ASMEND
	;; [unrolled: 16-line block ×4, first 2 shown]
	ds_read_b128 v[6:9], v22 offset:16400
	ds_read_b128 v[10:13], v55 offset:16
	;; [unrolled: 1-line block ×5, first 2 shown]
	s_waitcnt lgkmcnt(3)
	;;#ASMSTART
	v_dot2_f32_f16 v21, v6, v10, v21
	;;#ASMEND
	s_nop 0
	;;#ASMSTART
	v_dot2_f32_f16 v21, v7, v11, v21
	;;#ASMEND
	s_nop 0
	;;#ASMSTART
	v_dot2_f32_f16 v21, v8, v12, v21
	;;#ASMEND
	s_nop 0
	;;#ASMSTART
	v_dot2_f32_f16 v21, v9, v13, v21
	;;#ASMEND
	s_waitcnt lgkmcnt(2)
	;;#ASMSTART
	v_dot2_f32_f16 v19, v6, v68, v19
	;;#ASMEND
	s_nop 0
	;;#ASMSTART
	v_dot2_f32_f16 v19, v7, v69, v19
	;;#ASMEND
	s_nop 0
	;;#ASMSTART
	v_dot2_f32_f16 v19, v8, v70, v19
	;;#ASMEND
	s_nop 0
	;;#ASMSTART
	v_dot2_f32_f16 v19, v9, v71, v19
	;;#ASMEND
	;; [unrolled: 16-line block ×4, first 2 shown]
	ds_read_b128 v[6:9], v22 offset:16416
	ds_read_b128 v[10:13], v55 offset:32
	ds_read_b128 v[68:71], v55 offset:544
	ds_read_b128 v[72:75], v55 offset:1056
	ds_read_b128 v[76:79], v55 offset:1568
	s_waitcnt lgkmcnt(3)
	;;#ASMSTART
	v_dot2_f32_f16 v21, v6, v10, v21
	;;#ASMEND
	s_nop 0
	;;#ASMSTART
	v_dot2_f32_f16 v21, v7, v11, v21
	;;#ASMEND
	s_nop 0
	;;#ASMSTART
	v_dot2_f32_f16 v21, v8, v12, v21
	;;#ASMEND
	s_nop 0
	;;#ASMSTART
	v_dot2_f32_f16 v21, v9, v13, v21
	;;#ASMEND
	s_waitcnt lgkmcnt(2)
	;;#ASMSTART
	v_dot2_f32_f16 v19, v6, v68, v19
	;;#ASMEND
	s_nop 0
	;;#ASMSTART
	v_dot2_f32_f16 v19, v7, v69, v19
	;;#ASMEND
	s_nop 0
	;;#ASMSTART
	v_dot2_f32_f16 v19, v8, v70, v19
	;;#ASMEND
	s_nop 0
	;;#ASMSTART
	v_dot2_f32_f16 v19, v9, v71, v19
	;;#ASMEND
	;; [unrolled: 16-line block ×4, first 2 shown]
	ds_read_b128 v[6:9], v22 offset:16432
	ds_read_b128 v[10:13], v55 offset:48
	;; [unrolled: 1-line block ×5, first 2 shown]
	s_waitcnt lgkmcnt(3)
	;;#ASMSTART
	v_dot2_f32_f16 v21, v6, v10, v21
	;;#ASMEND
	s_nop 0
	;;#ASMSTART
	v_dot2_f32_f16 v21, v7, v11, v21
	;;#ASMEND
	s_nop 0
	;;#ASMSTART
	v_dot2_f32_f16 v21, v8, v12, v21
	;;#ASMEND
	s_nop 0
	;;#ASMSTART
	v_dot2_f32_f16 v21, v9, v13, v21
	;;#ASMEND
	s_waitcnt lgkmcnt(2)
	;;#ASMSTART
	v_dot2_f32_f16 v19, v6, v68, v19
	;;#ASMEND
	s_nop 0
	;;#ASMSTART
	v_dot2_f32_f16 v19, v7, v69, v19
	;;#ASMEND
	s_nop 0
	;;#ASMSTART
	v_dot2_f32_f16 v19, v8, v70, v19
	;;#ASMEND
	s_nop 0
	;;#ASMSTART
	v_dot2_f32_f16 v19, v9, v71, v19
	;;#ASMEND
	;; [unrolled: 16-line block ×4, first 2 shown]
	ds_read_b128 v[6:9], v22 offset:16448
	ds_read_b128 v[10:13], v55 offset:64
	;; [unrolled: 1-line block ×5, first 2 shown]
	s_waitcnt lgkmcnt(3)
	;;#ASMSTART
	v_dot2_f32_f16 v21, v6, v10, v21
	;;#ASMEND
	s_nop 0
	;;#ASMSTART
	v_dot2_f32_f16 v21, v7, v11, v21
	;;#ASMEND
	s_nop 0
	;;#ASMSTART
	v_dot2_f32_f16 v21, v8, v12, v21
	;;#ASMEND
	s_nop 0
	;;#ASMSTART
	v_dot2_f32_f16 v21, v9, v13, v21
	;;#ASMEND
	s_waitcnt lgkmcnt(2)
	;;#ASMSTART
	v_dot2_f32_f16 v19, v6, v68, v19
	;;#ASMEND
	s_nop 0
	;;#ASMSTART
	v_dot2_f32_f16 v19, v7, v69, v19
	;;#ASMEND
	s_nop 0
	;;#ASMSTART
	v_dot2_f32_f16 v19, v8, v70, v19
	;;#ASMEND
	s_nop 0
	;;#ASMSTART
	v_dot2_f32_f16 v19, v9, v71, v19
	;;#ASMEND
	;; [unrolled: 16-line block ×4, first 2 shown]
	ds_read_b128 v[6:9], v22 offset:16464
	ds_read_b128 v[10:13], v55 offset:80
	;; [unrolled: 1-line block ×5, first 2 shown]
	s_waitcnt lgkmcnt(3)
	;;#ASMSTART
	v_dot2_f32_f16 v21, v6, v10, v21
	;;#ASMEND
	s_nop 0
	;;#ASMSTART
	v_dot2_f32_f16 v21, v7, v11, v21
	;;#ASMEND
	s_nop 0
	;;#ASMSTART
	v_dot2_f32_f16 v21, v8, v12, v21
	;;#ASMEND
	s_nop 0
	;;#ASMSTART
	v_dot2_f32_f16 v21, v9, v13, v21
	;;#ASMEND
	s_waitcnt lgkmcnt(2)
	;;#ASMSTART
	v_dot2_f32_f16 v19, v6, v68, v19
	;;#ASMEND
	s_nop 0
	;;#ASMSTART
	v_dot2_f32_f16 v19, v7, v69, v19
	;;#ASMEND
	s_nop 0
	;;#ASMSTART
	v_dot2_f32_f16 v19, v8, v70, v19
	;;#ASMEND
	s_nop 0
	;;#ASMSTART
	v_dot2_f32_f16 v19, v9, v71, v19
	;;#ASMEND
	;; [unrolled: 16-line block ×4, first 2 shown]
	ds_read_b128 v[6:9], v22 offset:16480
	ds_read_b128 v[10:13], v55 offset:96
	;; [unrolled: 1-line block ×5, first 2 shown]
	s_waitcnt lgkmcnt(3)
	;;#ASMSTART
	v_dot2_f32_f16 v21, v6, v10, v21
	;;#ASMEND
	s_nop 0
	;;#ASMSTART
	v_dot2_f32_f16 v21, v7, v11, v21
	;;#ASMEND
	s_nop 0
	;;#ASMSTART
	v_dot2_f32_f16 v21, v8, v12, v21
	;;#ASMEND
	s_nop 0
	;;#ASMSTART
	v_dot2_f32_f16 v21, v9, v13, v21
	;;#ASMEND
	s_waitcnt lgkmcnt(2)
	;;#ASMSTART
	v_dot2_f32_f16 v19, v6, v68, v19
	;;#ASMEND
	s_nop 0
	;;#ASMSTART
	v_dot2_f32_f16 v19, v7, v69, v19
	;;#ASMEND
	s_nop 0
	;;#ASMSTART
	v_dot2_f32_f16 v19, v8, v70, v19
	;;#ASMEND
	s_nop 0
	;;#ASMSTART
	v_dot2_f32_f16 v19, v9, v71, v19
	;;#ASMEND
	;; [unrolled: 16-line block ×4, first 2 shown]
	ds_read_b128 v[6:9], v22 offset:16496
	ds_read_b128 v[10:13], v55 offset:112
	;; [unrolled: 1-line block ×5, first 2 shown]
	s_waitcnt lgkmcnt(3)
	;;#ASMSTART
	v_dot2_f32_f16 v21, v6, v10, v21
	;;#ASMEND
	s_nop 0
	;;#ASMSTART
	v_dot2_f32_f16 v21, v7, v11, v21
	;;#ASMEND
	s_nop 0
	;;#ASMSTART
	v_dot2_f32_f16 v21, v8, v12, v21
	;;#ASMEND
	s_nop 0
	;;#ASMSTART
	v_dot2_f32_f16 v21, v9, v13, v21
	;;#ASMEND
	s_waitcnt lgkmcnt(2)
	;;#ASMSTART
	v_dot2_f32_f16 v19, v6, v68, v19
	;;#ASMEND
	s_nop 0
	;;#ASMSTART
	v_dot2_f32_f16 v19, v7, v69, v19
	;;#ASMEND
	s_nop 0
	;;#ASMSTART
	v_dot2_f32_f16 v19, v8, v70, v19
	;;#ASMEND
	s_nop 0
	;;#ASMSTART
	v_dot2_f32_f16 v19, v9, v71, v19
	;;#ASMEND
	;; [unrolled: 16-line block ×4, first 2 shown]
	ds_read_b128 v[6:9], v22 offset:16512
	ds_read_b128 v[10:13], v55 offset:128
	;; [unrolled: 1-line block ×5, first 2 shown]
	s_waitcnt lgkmcnt(3)
	;;#ASMSTART
	v_dot2_f32_f16 v21, v6, v10, v21
	;;#ASMEND
	s_nop 0
	;;#ASMSTART
	v_dot2_f32_f16 v21, v7, v11, v21
	;;#ASMEND
	s_nop 0
	;;#ASMSTART
	v_dot2_f32_f16 v21, v8, v12, v21
	;;#ASMEND
	s_nop 0
	;;#ASMSTART
	v_dot2_f32_f16 v21, v9, v13, v21
	;;#ASMEND
	s_waitcnt lgkmcnt(2)
	;;#ASMSTART
	v_dot2_f32_f16 v19, v6, v68, v19
	;;#ASMEND
	s_nop 0
	;;#ASMSTART
	v_dot2_f32_f16 v19, v7, v69, v19
	;;#ASMEND
	s_nop 0
	;;#ASMSTART
	v_dot2_f32_f16 v19, v8, v70, v19
	;;#ASMEND
	s_nop 0
	;;#ASMSTART
	v_dot2_f32_f16 v19, v9, v71, v19
	;;#ASMEND
	;; [unrolled: 16-line block ×4, first 2 shown]
	ds_read_b128 v[6:9], v22 offset:16528
	ds_read_b128 v[10:13], v55 offset:144
	;; [unrolled: 1-line block ×5, first 2 shown]
	s_waitcnt lgkmcnt(3)
	;;#ASMSTART
	v_dot2_f32_f16 v21, v6, v10, v21
	;;#ASMEND
	s_nop 0
	;;#ASMSTART
	v_dot2_f32_f16 v21, v7, v11, v21
	;;#ASMEND
	s_nop 0
	;;#ASMSTART
	v_dot2_f32_f16 v21, v8, v12, v21
	;;#ASMEND
	s_nop 0
	;;#ASMSTART
	v_dot2_f32_f16 v21, v9, v13, v21
	;;#ASMEND
	s_waitcnt lgkmcnt(2)
	;;#ASMSTART
	v_dot2_f32_f16 v19, v6, v68, v19
	;;#ASMEND
	s_nop 0
	;;#ASMSTART
	v_dot2_f32_f16 v19, v7, v69, v19
	;;#ASMEND
	s_nop 0
	;;#ASMSTART
	v_dot2_f32_f16 v19, v8, v70, v19
	;;#ASMEND
	s_nop 0
	;;#ASMSTART
	v_dot2_f32_f16 v19, v9, v71, v19
	;;#ASMEND
	;; [unrolled: 16-line block ×4, first 2 shown]
	ds_read_b128 v[6:9], v22 offset:16544
	ds_read_b128 v[10:13], v55 offset:160
	;; [unrolled: 1-line block ×5, first 2 shown]
	s_waitcnt lgkmcnt(3)
	;;#ASMSTART
	v_dot2_f32_f16 v21, v6, v10, v21
	;;#ASMEND
	s_nop 0
	;;#ASMSTART
	v_dot2_f32_f16 v21, v7, v11, v21
	;;#ASMEND
	s_nop 0
	;;#ASMSTART
	v_dot2_f32_f16 v21, v8, v12, v21
	;;#ASMEND
	s_nop 0
	;;#ASMSTART
	v_dot2_f32_f16 v21, v9, v13, v21
	;;#ASMEND
	s_waitcnt lgkmcnt(2)
	;;#ASMSTART
	v_dot2_f32_f16 v19, v6, v68, v19
	;;#ASMEND
	s_nop 0
	;;#ASMSTART
	v_dot2_f32_f16 v19, v7, v69, v19
	;;#ASMEND
	s_nop 0
	;;#ASMSTART
	v_dot2_f32_f16 v19, v8, v70, v19
	;;#ASMEND
	s_nop 0
	;;#ASMSTART
	v_dot2_f32_f16 v19, v9, v71, v19
	;;#ASMEND
	;; [unrolled: 16-line block ×4, first 2 shown]
	ds_read_b128 v[6:9], v22 offset:16560
	ds_read_b128 v[10:13], v55 offset:176
	ds_read_b128 v[68:71], v55 offset:688
	ds_read_b128 v[72:75], v55 offset:1200
	ds_read_b128 v[76:79], v55 offset:1712
	s_waitcnt lgkmcnt(3)
	;;#ASMSTART
	v_dot2_f32_f16 v21, v6, v10, v21
	;;#ASMEND
	s_nop 0
	;;#ASMSTART
	v_dot2_f32_f16 v21, v7, v11, v21
	;;#ASMEND
	s_nop 0
	;;#ASMSTART
	v_dot2_f32_f16 v21, v8, v12, v21
	;;#ASMEND
	s_nop 0
	;;#ASMSTART
	v_dot2_f32_f16 v21, v9, v13, v21
	;;#ASMEND
	s_waitcnt lgkmcnt(2)
	;;#ASMSTART
	v_dot2_f32_f16 v19, v6, v68, v19
	;;#ASMEND
	s_nop 0
	;;#ASMSTART
	v_dot2_f32_f16 v19, v7, v69, v19
	;;#ASMEND
	s_nop 0
	;;#ASMSTART
	v_dot2_f32_f16 v19, v8, v70, v19
	;;#ASMEND
	s_nop 0
	;;#ASMSTART
	v_dot2_f32_f16 v19, v9, v71, v19
	;;#ASMEND
	;; [unrolled: 16-line block ×4, first 2 shown]
	ds_read_b128 v[6:9], v22 offset:16576
	ds_read_b128 v[10:13], v55 offset:192
	;; [unrolled: 1-line block ×5, first 2 shown]
	s_waitcnt lgkmcnt(3)
	;;#ASMSTART
	v_dot2_f32_f16 v21, v6, v10, v21
	;;#ASMEND
	s_nop 0
	;;#ASMSTART
	v_dot2_f32_f16 v21, v7, v11, v21
	;;#ASMEND
	s_nop 0
	;;#ASMSTART
	v_dot2_f32_f16 v21, v8, v12, v21
	;;#ASMEND
	s_nop 0
	;;#ASMSTART
	v_dot2_f32_f16 v21, v9, v13, v21
	;;#ASMEND
	s_waitcnt lgkmcnt(2)
	;;#ASMSTART
	v_dot2_f32_f16 v19, v6, v68, v19
	;;#ASMEND
	s_nop 0
	;;#ASMSTART
	v_dot2_f32_f16 v19, v7, v69, v19
	;;#ASMEND
	s_nop 0
	;;#ASMSTART
	v_dot2_f32_f16 v19, v8, v70, v19
	;;#ASMEND
	s_nop 0
	;;#ASMSTART
	v_dot2_f32_f16 v19, v9, v71, v19
	;;#ASMEND
	;; [unrolled: 16-line block ×4, first 2 shown]
	ds_read_b128 v[6:9], v22 offset:16592
	ds_read_b128 v[10:13], v55 offset:208
	;; [unrolled: 1-line block ×5, first 2 shown]
	s_waitcnt lgkmcnt(3)
	;;#ASMSTART
	v_dot2_f32_f16 v21, v6, v10, v21
	;;#ASMEND
	s_nop 0
	;;#ASMSTART
	v_dot2_f32_f16 v21, v7, v11, v21
	;;#ASMEND
	s_nop 0
	;;#ASMSTART
	v_dot2_f32_f16 v21, v8, v12, v21
	;;#ASMEND
	s_nop 0
	;;#ASMSTART
	v_dot2_f32_f16 v21, v9, v13, v21
	;;#ASMEND
	s_waitcnt lgkmcnt(2)
	;;#ASMSTART
	v_dot2_f32_f16 v19, v6, v68, v19
	;;#ASMEND
	s_nop 0
	;;#ASMSTART
	v_dot2_f32_f16 v19, v7, v69, v19
	;;#ASMEND
	s_nop 0
	;;#ASMSTART
	v_dot2_f32_f16 v19, v8, v70, v19
	;;#ASMEND
	s_nop 0
	;;#ASMSTART
	v_dot2_f32_f16 v19, v9, v71, v19
	;;#ASMEND
	;; [unrolled: 16-line block ×4, first 2 shown]
	ds_read_b128 v[6:9], v22 offset:16608
	ds_read_b128 v[10:13], v55 offset:224
	;; [unrolled: 1-line block ×5, first 2 shown]
	s_waitcnt lgkmcnt(3)
	;;#ASMSTART
	v_dot2_f32_f16 v21, v6, v10, v21
	;;#ASMEND
	s_nop 0
	;;#ASMSTART
	v_dot2_f32_f16 v21, v7, v11, v21
	;;#ASMEND
	s_nop 0
	;;#ASMSTART
	v_dot2_f32_f16 v21, v8, v12, v21
	;;#ASMEND
	s_nop 0
	;;#ASMSTART
	v_dot2_f32_f16 v21, v9, v13, v21
	;;#ASMEND
	s_waitcnt lgkmcnt(2)
	;;#ASMSTART
	v_dot2_f32_f16 v19, v6, v68, v19
	;;#ASMEND
	s_nop 0
	;;#ASMSTART
	v_dot2_f32_f16 v19, v7, v69, v19
	;;#ASMEND
	s_nop 0
	;;#ASMSTART
	v_dot2_f32_f16 v19, v8, v70, v19
	;;#ASMEND
	s_nop 0
	;;#ASMSTART
	v_dot2_f32_f16 v19, v9, v71, v19
	;;#ASMEND
	;; [unrolled: 16-line block ×4, first 2 shown]
	ds_read_b128 v[6:9], v22 offset:16624
	ds_read_b128 v[10:13], v55 offset:240
	;; [unrolled: 1-line block ×5, first 2 shown]
	s_waitcnt lgkmcnt(3)
	;;#ASMSTART
	v_dot2_f32_f16 v21, v6, v10, v21
	;;#ASMEND
	s_nop 0
	;;#ASMSTART
	v_dot2_f32_f16 v21, v7, v11, v21
	;;#ASMEND
	v_lshl_add_u64 v[10:11], v[24:25], 0, s[6:7]
	;;#ASMSTART
	v_dot2_f32_f16 v21, v8, v12, v21
	;;#ASMEND
	v_cndmask_b32_e32 v11, v60, v11, vcc
	;;#ASMSTART
	v_dot2_f32_f16 v21, v9, v13, v21
	;;#ASMEND
	s_waitcnt lgkmcnt(2)
	;;#ASMSTART
	v_dot2_f32_f16 v19, v6, v68, v19
	;;#ASMEND
	v_cndmask_b32_e32 v10, v62, v10, vcc
	;;#ASMSTART
	v_dot2_f32_f16 v19, v7, v69, v19
	;;#ASMEND
	s_nop 0
	;;#ASMSTART
	v_dot2_f32_f16 v19, v8, v70, v19
	;;#ASMEND
	s_nop 0
	;;#ASMSTART
	v_dot2_f32_f16 v19, v9, v71, v19
	;;#ASMEND
	s_waitcnt lgkmcnt(1)
	;;#ASMSTART
	v_dot2_f32_f16 v4, v6, v72, v4
	;;#ASMEND
	s_nop 0
	;;#ASMSTART
	v_dot2_f32_f16 v4, v7, v73, v4
	;;#ASMEND
	s_nop 0
	;; [unrolled: 4-line block ×3, first 2 shown]
	;;#ASMSTART
	v_dot2_f32_f16 v4, v9, v75, v4
	;;#ASMEND
	s_waitcnt lgkmcnt(0)
	;;#ASMSTART
	v_dot2_f32_f16 v5, v6, v76, v5
	;;#ASMEND
	s_nop 0
	;;#ASMSTART
	v_dot2_f32_f16 v5, v7, v77, v5
	;;#ASMEND
	s_nop 0
	;; [unrolled: 4-line block ×3, first 2 shown]
	;;#ASMSTART
	v_dot2_f32_f16 v5, v9, v79, v5
	;;#ASMEND
	s_barrier
	scratch_store_dword off, v23, off
	scratch_store_dwordx3 off, v[64:66], off offset:4
	flat_load_dwordx4 v[6:9], v[26:27]
	s_nop 0
	scratch_store_dword off, v23, off
	scratch_store_dwordx3 off, v[64:66], off offset:4
	s_waitcnt vmcnt(0) lgkmcnt(0)
	ds_write_b128 v61, v[6:9] offset:16384
	flat_load_dwordx4 v[6:9], v[10:11]
	s_waitcnt vmcnt(0) lgkmcnt(0)
	ds_write_b128 v61, v[6:9] offset:20736
	s_waitcnt lgkmcnt(0)
	s_barrier
	ds_read_b128 v[6:9], v22 offset:16384
	ds_read_b128 v[10:13], v55 offset:256
	;; [unrolled: 1-line block ×5, first 2 shown]
	s_waitcnt lgkmcnt(3)
	;;#ASMSTART
	v_dot2_f32_f16 v21, v6, v10, v21
	;;#ASMEND
	s_nop 0
	;;#ASMSTART
	v_dot2_f32_f16 v21, v7, v11, v21
	;;#ASMEND
	s_nop 0
	;;#ASMSTART
	v_dot2_f32_f16 v21, v8, v12, v21
	;;#ASMEND
	s_nop 0
	;;#ASMSTART
	v_dot2_f32_f16 v21, v9, v13, v21
	;;#ASMEND
	s_waitcnt lgkmcnt(2)
	;;#ASMSTART
	v_dot2_f32_f16 v19, v6, v24, v19
	;;#ASMEND
	s_nop 0
	;;#ASMSTART
	v_dot2_f32_f16 v19, v7, v25, v19
	;;#ASMEND
	s_nop 0
	;;#ASMSTART
	v_dot2_f32_f16 v19, v8, v26, v19
	;;#ASMEND
	s_nop 0
	;;#ASMSTART
	v_dot2_f32_f16 v19, v9, v27, v19
	;;#ASMEND
	;; [unrolled: 16-line block ×4, first 2 shown]
	ds_read_b128 v[6:9], v22 offset:16400
	ds_read_b128 v[10:13], v55 offset:272
	;; [unrolled: 1-line block ×5, first 2 shown]
	s_waitcnt lgkmcnt(3)
	;;#ASMSTART
	v_dot2_f32_f16 v21, v6, v10, v21
	;;#ASMEND
	s_nop 0
	;;#ASMSTART
	v_dot2_f32_f16 v21, v7, v11, v21
	;;#ASMEND
	s_nop 0
	;;#ASMSTART
	v_dot2_f32_f16 v21, v8, v12, v21
	;;#ASMEND
	s_nop 0
	;;#ASMSTART
	v_dot2_f32_f16 v21, v9, v13, v21
	;;#ASMEND
	s_waitcnt lgkmcnt(2)
	;;#ASMSTART
	v_dot2_f32_f16 v19, v6, v24, v19
	;;#ASMEND
	s_nop 0
	;;#ASMSTART
	v_dot2_f32_f16 v19, v7, v25, v19
	;;#ASMEND
	s_nop 0
	;;#ASMSTART
	v_dot2_f32_f16 v19, v8, v26, v19
	;;#ASMEND
	s_nop 0
	;;#ASMSTART
	v_dot2_f32_f16 v19, v9, v27, v19
	;;#ASMEND
	;; [unrolled: 16-line block ×4, first 2 shown]
	ds_read_b128 v[6:9], v22 offset:16416
	ds_read_b128 v[10:13], v55 offset:288
	;; [unrolled: 1-line block ×5, first 2 shown]
	s_waitcnt lgkmcnt(3)
	;;#ASMSTART
	v_dot2_f32_f16 v21, v6, v10, v21
	;;#ASMEND
	s_nop 0
	;;#ASMSTART
	v_dot2_f32_f16 v21, v7, v11, v21
	;;#ASMEND
	s_nop 0
	;;#ASMSTART
	v_dot2_f32_f16 v21, v8, v12, v21
	;;#ASMEND
	s_nop 0
	;;#ASMSTART
	v_dot2_f32_f16 v21, v9, v13, v21
	;;#ASMEND
	s_waitcnt lgkmcnt(2)
	;;#ASMSTART
	v_dot2_f32_f16 v19, v6, v24, v19
	;;#ASMEND
	s_nop 0
	;;#ASMSTART
	v_dot2_f32_f16 v19, v7, v25, v19
	;;#ASMEND
	s_nop 0
	;;#ASMSTART
	v_dot2_f32_f16 v19, v8, v26, v19
	;;#ASMEND
	s_nop 0
	;;#ASMSTART
	v_dot2_f32_f16 v19, v9, v27, v19
	;;#ASMEND
	;; [unrolled: 16-line block ×4, first 2 shown]
	ds_read_b128 v[6:9], v22 offset:16432
	ds_read_b128 v[10:13], v55 offset:304
	;; [unrolled: 1-line block ×5, first 2 shown]
	s_waitcnt lgkmcnt(3)
	;;#ASMSTART
	v_dot2_f32_f16 v21, v6, v10, v21
	;;#ASMEND
	s_nop 0
	;;#ASMSTART
	v_dot2_f32_f16 v21, v7, v11, v21
	;;#ASMEND
	s_nop 0
	;;#ASMSTART
	v_dot2_f32_f16 v21, v8, v12, v21
	;;#ASMEND
	s_nop 0
	;;#ASMSTART
	v_dot2_f32_f16 v21, v9, v13, v21
	;;#ASMEND
	s_waitcnt lgkmcnt(2)
	;;#ASMSTART
	v_dot2_f32_f16 v19, v6, v24, v19
	;;#ASMEND
	s_nop 0
	;;#ASMSTART
	v_dot2_f32_f16 v19, v7, v25, v19
	;;#ASMEND
	s_nop 0
	;;#ASMSTART
	v_dot2_f32_f16 v19, v8, v26, v19
	;;#ASMEND
	s_nop 0
	;;#ASMSTART
	v_dot2_f32_f16 v19, v9, v27, v19
	;;#ASMEND
	;; [unrolled: 16-line block ×4, first 2 shown]
	ds_read_b128 v[6:9], v22 offset:16448
	ds_read_b128 v[10:13], v55 offset:320
	;; [unrolled: 1-line block ×5, first 2 shown]
	s_waitcnt lgkmcnt(3)
	;;#ASMSTART
	v_dot2_f32_f16 v21, v6, v10, v21
	;;#ASMEND
	s_nop 0
	;;#ASMSTART
	v_dot2_f32_f16 v21, v7, v11, v21
	;;#ASMEND
	s_nop 0
	;;#ASMSTART
	v_dot2_f32_f16 v21, v8, v12, v21
	;;#ASMEND
	s_nop 0
	;;#ASMSTART
	v_dot2_f32_f16 v21, v9, v13, v21
	;;#ASMEND
	s_waitcnt lgkmcnt(2)
	;;#ASMSTART
	v_dot2_f32_f16 v19, v6, v24, v19
	;;#ASMEND
	s_nop 0
	;;#ASMSTART
	v_dot2_f32_f16 v19, v7, v25, v19
	;;#ASMEND
	s_nop 0
	;;#ASMSTART
	v_dot2_f32_f16 v19, v8, v26, v19
	;;#ASMEND
	s_nop 0
	;;#ASMSTART
	v_dot2_f32_f16 v19, v9, v27, v19
	;;#ASMEND
	;; [unrolled: 16-line block ×4, first 2 shown]
	ds_read_b128 v[6:9], v22 offset:16464
	ds_read_b128 v[10:13], v55 offset:336
	;; [unrolled: 1-line block ×5, first 2 shown]
	s_waitcnt lgkmcnt(3)
	;;#ASMSTART
	v_dot2_f32_f16 v21, v6, v10, v21
	;;#ASMEND
	s_nop 0
	;;#ASMSTART
	v_dot2_f32_f16 v21, v7, v11, v21
	;;#ASMEND
	s_nop 0
	;;#ASMSTART
	v_dot2_f32_f16 v21, v8, v12, v21
	;;#ASMEND
	s_nop 0
	;;#ASMSTART
	v_dot2_f32_f16 v21, v9, v13, v21
	;;#ASMEND
	s_waitcnt lgkmcnt(2)
	;;#ASMSTART
	v_dot2_f32_f16 v19, v6, v24, v19
	;;#ASMEND
	s_nop 0
	;;#ASMSTART
	v_dot2_f32_f16 v19, v7, v25, v19
	;;#ASMEND
	s_nop 0
	;;#ASMSTART
	v_dot2_f32_f16 v19, v8, v26, v19
	;;#ASMEND
	s_nop 0
	;;#ASMSTART
	v_dot2_f32_f16 v19, v9, v27, v19
	;;#ASMEND
	;; [unrolled: 16-line block ×4, first 2 shown]
	ds_read_b128 v[6:9], v22 offset:16480
	ds_read_b128 v[10:13], v55 offset:352
	;; [unrolled: 1-line block ×5, first 2 shown]
	s_waitcnt lgkmcnt(3)
	;;#ASMSTART
	v_dot2_f32_f16 v21, v6, v10, v21
	;;#ASMEND
	s_nop 0
	;;#ASMSTART
	v_dot2_f32_f16 v21, v7, v11, v21
	;;#ASMEND
	s_nop 0
	;;#ASMSTART
	v_dot2_f32_f16 v21, v8, v12, v21
	;;#ASMEND
	s_nop 0
	;;#ASMSTART
	v_dot2_f32_f16 v21, v9, v13, v21
	;;#ASMEND
	s_waitcnt lgkmcnt(2)
	;;#ASMSTART
	v_dot2_f32_f16 v19, v6, v24, v19
	;;#ASMEND
	s_nop 0
	;;#ASMSTART
	v_dot2_f32_f16 v19, v7, v25, v19
	;;#ASMEND
	s_nop 0
	;;#ASMSTART
	v_dot2_f32_f16 v19, v8, v26, v19
	;;#ASMEND
	s_nop 0
	;;#ASMSTART
	v_dot2_f32_f16 v19, v9, v27, v19
	;;#ASMEND
	;; [unrolled: 16-line block ×4, first 2 shown]
	ds_read_b128 v[6:9], v22 offset:16496
	ds_read_b128 v[10:13], v55 offset:368
	;; [unrolled: 1-line block ×5, first 2 shown]
	s_waitcnt lgkmcnt(3)
	;;#ASMSTART
	v_dot2_f32_f16 v21, v6, v10, v21
	;;#ASMEND
	s_nop 0
	;;#ASMSTART
	v_dot2_f32_f16 v21, v7, v11, v21
	;;#ASMEND
	s_nop 0
	;;#ASMSTART
	v_dot2_f32_f16 v21, v8, v12, v21
	;;#ASMEND
	s_nop 0
	;;#ASMSTART
	v_dot2_f32_f16 v21, v9, v13, v21
	;;#ASMEND
	s_waitcnt lgkmcnt(2)
	;;#ASMSTART
	v_dot2_f32_f16 v19, v6, v24, v19
	;;#ASMEND
	s_nop 0
	;;#ASMSTART
	v_dot2_f32_f16 v19, v7, v25, v19
	;;#ASMEND
	s_nop 0
	;;#ASMSTART
	v_dot2_f32_f16 v19, v8, v26, v19
	;;#ASMEND
	s_nop 0
	;;#ASMSTART
	v_dot2_f32_f16 v19, v9, v27, v19
	;;#ASMEND
	;; [unrolled: 16-line block ×4, first 2 shown]
	ds_read_b128 v[6:9], v22 offset:16512
	ds_read_b128 v[10:13], v55 offset:384
	;; [unrolled: 1-line block ×5, first 2 shown]
	s_waitcnt lgkmcnt(3)
	;;#ASMSTART
	v_dot2_f32_f16 v21, v6, v10, v21
	;;#ASMEND
	s_nop 0
	;;#ASMSTART
	v_dot2_f32_f16 v21, v7, v11, v21
	;;#ASMEND
	s_nop 0
	;;#ASMSTART
	v_dot2_f32_f16 v21, v8, v12, v21
	;;#ASMEND
	s_nop 0
	;;#ASMSTART
	v_dot2_f32_f16 v21, v9, v13, v21
	;;#ASMEND
	s_waitcnt lgkmcnt(2)
	;;#ASMSTART
	v_dot2_f32_f16 v19, v6, v24, v19
	;;#ASMEND
	s_nop 0
	;;#ASMSTART
	v_dot2_f32_f16 v19, v7, v25, v19
	;;#ASMEND
	s_nop 0
	;;#ASMSTART
	v_dot2_f32_f16 v19, v8, v26, v19
	;;#ASMEND
	s_nop 0
	;;#ASMSTART
	v_dot2_f32_f16 v19, v9, v27, v19
	;;#ASMEND
	;; [unrolled: 16-line block ×4, first 2 shown]
	ds_read_b128 v[6:9], v22 offset:16528
	ds_read_b128 v[10:13], v55 offset:400
	;; [unrolled: 1-line block ×5, first 2 shown]
	s_waitcnt lgkmcnt(3)
	;;#ASMSTART
	v_dot2_f32_f16 v21, v6, v10, v21
	;;#ASMEND
	s_nop 0
	;;#ASMSTART
	v_dot2_f32_f16 v21, v7, v11, v21
	;;#ASMEND
	s_nop 0
	;;#ASMSTART
	v_dot2_f32_f16 v21, v8, v12, v21
	;;#ASMEND
	s_nop 0
	;;#ASMSTART
	v_dot2_f32_f16 v21, v9, v13, v21
	;;#ASMEND
	s_waitcnt lgkmcnt(2)
	;;#ASMSTART
	v_dot2_f32_f16 v19, v6, v24, v19
	;;#ASMEND
	s_nop 0
	;;#ASMSTART
	v_dot2_f32_f16 v19, v7, v25, v19
	;;#ASMEND
	s_nop 0
	;;#ASMSTART
	v_dot2_f32_f16 v19, v8, v26, v19
	;;#ASMEND
	s_nop 0
	;;#ASMSTART
	v_dot2_f32_f16 v19, v9, v27, v19
	;;#ASMEND
	;; [unrolled: 16-line block ×4, first 2 shown]
	ds_read_b128 v[6:9], v22 offset:16544
	ds_read_b128 v[10:13], v55 offset:416
	ds_read_b128 v[24:27], v55 offset:928
	ds_read_b128 v[60:63], v55 offset:1440
	ds_read_b128 v[64:67], v55 offset:1952
	s_waitcnt lgkmcnt(3)
	;;#ASMSTART
	v_dot2_f32_f16 v21, v6, v10, v21
	;;#ASMEND
	s_nop 0
	;;#ASMSTART
	v_dot2_f32_f16 v21, v7, v11, v21
	;;#ASMEND
	s_nop 0
	;;#ASMSTART
	v_dot2_f32_f16 v21, v8, v12, v21
	;;#ASMEND
	s_nop 0
	;;#ASMSTART
	v_dot2_f32_f16 v21, v9, v13, v21
	;;#ASMEND
	s_waitcnt lgkmcnt(2)
	;;#ASMSTART
	v_dot2_f32_f16 v19, v6, v24, v19
	;;#ASMEND
	s_nop 0
	;;#ASMSTART
	v_dot2_f32_f16 v19, v7, v25, v19
	;;#ASMEND
	s_nop 0
	;;#ASMSTART
	v_dot2_f32_f16 v19, v8, v26, v19
	;;#ASMEND
	s_nop 0
	;;#ASMSTART
	v_dot2_f32_f16 v19, v9, v27, v19
	;;#ASMEND
	;; [unrolled: 16-line block ×4, first 2 shown]
	ds_read_b128 v[6:9], v22 offset:16560
	ds_read_b128 v[10:13], v55 offset:432
	;; [unrolled: 1-line block ×5, first 2 shown]
	s_waitcnt lgkmcnt(3)
	;;#ASMSTART
	v_dot2_f32_f16 v21, v6, v10, v21
	;;#ASMEND
	s_nop 0
	;;#ASMSTART
	v_dot2_f32_f16 v21, v7, v11, v21
	;;#ASMEND
	s_nop 0
	;;#ASMSTART
	v_dot2_f32_f16 v21, v8, v12, v21
	;;#ASMEND
	s_nop 0
	;;#ASMSTART
	v_dot2_f32_f16 v21, v9, v13, v21
	;;#ASMEND
	s_waitcnt lgkmcnt(2)
	;;#ASMSTART
	v_dot2_f32_f16 v19, v6, v24, v19
	;;#ASMEND
	s_nop 0
	;;#ASMSTART
	v_dot2_f32_f16 v19, v7, v25, v19
	;;#ASMEND
	s_nop 0
	;;#ASMSTART
	v_dot2_f32_f16 v19, v8, v26, v19
	;;#ASMEND
	s_nop 0
	;;#ASMSTART
	v_dot2_f32_f16 v19, v9, v27, v19
	;;#ASMEND
	;; [unrolled: 16-line block ×4, first 2 shown]
	ds_read_b128 v[6:9], v22 offset:16576
	ds_read_b128 v[10:13], v55 offset:448
	;; [unrolled: 1-line block ×5, first 2 shown]
	s_waitcnt lgkmcnt(3)
	;;#ASMSTART
	v_dot2_f32_f16 v21, v6, v10, v21
	;;#ASMEND
	s_nop 0
	;;#ASMSTART
	v_dot2_f32_f16 v21, v7, v11, v21
	;;#ASMEND
	s_nop 0
	;;#ASMSTART
	v_dot2_f32_f16 v21, v8, v12, v21
	;;#ASMEND
	s_nop 0
	;;#ASMSTART
	v_dot2_f32_f16 v21, v9, v13, v21
	;;#ASMEND
	s_waitcnt lgkmcnt(2)
	;;#ASMSTART
	v_dot2_f32_f16 v19, v6, v24, v19
	;;#ASMEND
	s_nop 0
	;;#ASMSTART
	v_dot2_f32_f16 v19, v7, v25, v19
	;;#ASMEND
	s_nop 0
	;;#ASMSTART
	v_dot2_f32_f16 v19, v8, v26, v19
	;;#ASMEND
	s_nop 0
	;;#ASMSTART
	v_dot2_f32_f16 v19, v9, v27, v19
	;;#ASMEND
	;; [unrolled: 16-line block ×4, first 2 shown]
	ds_read_b128 v[6:9], v22 offset:16592
	ds_read_b128 v[10:13], v55 offset:464
	;; [unrolled: 1-line block ×5, first 2 shown]
	s_waitcnt lgkmcnt(3)
	;;#ASMSTART
	v_dot2_f32_f16 v21, v6, v10, v21
	;;#ASMEND
	s_nop 0
	;;#ASMSTART
	v_dot2_f32_f16 v21, v7, v11, v21
	;;#ASMEND
	s_nop 0
	;;#ASMSTART
	v_dot2_f32_f16 v21, v8, v12, v21
	;;#ASMEND
	s_nop 0
	;;#ASMSTART
	v_dot2_f32_f16 v21, v9, v13, v21
	;;#ASMEND
	s_waitcnt lgkmcnt(2)
	;;#ASMSTART
	v_dot2_f32_f16 v19, v6, v24, v19
	;;#ASMEND
	s_nop 0
	;;#ASMSTART
	v_dot2_f32_f16 v19, v7, v25, v19
	;;#ASMEND
	s_nop 0
	;;#ASMSTART
	v_dot2_f32_f16 v19, v8, v26, v19
	;;#ASMEND
	s_nop 0
	;;#ASMSTART
	v_dot2_f32_f16 v19, v9, v27, v19
	;;#ASMEND
	;; [unrolled: 16-line block ×4, first 2 shown]
	ds_read_b128 v[6:9], v22 offset:16608
	ds_read_b128 v[10:13], v55 offset:480
	;; [unrolled: 1-line block ×5, first 2 shown]
	s_waitcnt lgkmcnt(3)
	;;#ASMSTART
	v_dot2_f32_f16 v21, v6, v10, v21
	;;#ASMEND
	s_nop 0
	;;#ASMSTART
	v_dot2_f32_f16 v21, v7, v11, v21
	;;#ASMEND
	s_nop 0
	;;#ASMSTART
	v_dot2_f32_f16 v21, v8, v12, v21
	;;#ASMEND
	s_nop 0
	;;#ASMSTART
	v_dot2_f32_f16 v21, v9, v13, v21
	;;#ASMEND
	s_waitcnt lgkmcnt(2)
	;;#ASMSTART
	v_dot2_f32_f16 v19, v6, v24, v19
	;;#ASMEND
	s_nop 0
	;;#ASMSTART
	v_dot2_f32_f16 v19, v7, v25, v19
	;;#ASMEND
	s_nop 0
	;;#ASMSTART
	v_dot2_f32_f16 v19, v8, v26, v19
	;;#ASMEND
	s_nop 0
	;;#ASMSTART
	v_dot2_f32_f16 v19, v9, v27, v19
	;;#ASMEND
	;; [unrolled: 16-line block ×4, first 2 shown]
	ds_read_b128 v[6:9], v22 offset:16624
	ds_read_b128 v[10:13], v55 offset:496
	;; [unrolled: 1-line block ×5, first 2 shown]
	s_waitcnt lgkmcnt(3)
	;;#ASMSTART
	v_dot2_f32_f16 v21, v6, v10, v21
	;;#ASMEND
	s_nop 0
	;;#ASMSTART
	v_dot2_f32_f16 v21, v7, v11, v21
	;;#ASMEND
	s_nop 0
	;; [unrolled: 4-line block ×3, first 2 shown]
	;;#ASMSTART
	v_dot2_f32_f16 v21, v9, v13, v21
	;;#ASMEND
	s_waitcnt lgkmcnt(2)
	;;#ASMSTART
	v_dot2_f32_f16 v19, v6, v22, v19
	;;#ASMEND
	s_nop 0
	;;#ASMSTART
	v_dot2_f32_f16 v19, v7, v23, v19
	;;#ASMEND
	v_cmp_nlt_f32_e64 s[4:5], |v21|, s4
	;;#ASMSTART
	v_dot2_f32_f16 v19, v8, v24, v19
	;;#ASMEND
	s_nop 0
	;;#ASMSTART
	v_dot2_f32_f16 v19, v9, v25, v19
	;;#ASMEND
	s_waitcnt lgkmcnt(1)
	;;#ASMSTART
	v_dot2_f32_f16 v4, v6, v60, v4
	;;#ASMEND
	s_nop 0
	;;#ASMSTART
	v_dot2_f32_f16 v4, v7, v61, v4
	;;#ASMEND
	s_nop 0
	;; [unrolled: 4-line block ×3, first 2 shown]
	;;#ASMSTART
	v_dot2_f32_f16 v4, v9, v63, v4
	;;#ASMEND
	s_waitcnt lgkmcnt(0)
	;;#ASMSTART
	v_dot2_f32_f16 v5, v6, v64, v5
	;;#ASMEND
                                        ; implicit-def: $vgpr6
	s_nop 0
	;;#ASMSTART
	v_dot2_f32_f16 v5, v7, v65, v5
	;;#ASMEND
	s_nop 0
	;;#ASMSTART
	v_dot2_f32_f16 v5, v8, v66, v5
	;;#ASMEND
	;; [unrolled: 4-line block ×3, first 2 shown]
	s_and_saveexec_b64 s[6:7], s[4:5]
	s_xor_b64 s[4:5], exec, s[6:7]
	s_cbranch_execz .LBB70_44
; %bb.43:
	v_add_f32_e64 v6, |v21|, |v21|
	v_mul_f32_e32 v7, 0x3fb8aa3b, v6
	s_mov_b32 s6, 0x3fb8aa3b
	v_rndne_f32_e32 v8, v7
	v_sub_f32_e32 v9, v7, v8
	v_fma_f32 v7, v6, s6, -v7
	v_fmamk_f32 v7, v6, 0x32a5705f, v7
	v_add_f32_e32 v7, v9, v7
	v_exp_f32_e32 v7, v7
	v_cvt_i32_f32_e32 v8, v8
	s_mov_b32 s6, 0xc2ce8ed0
	v_cmp_ngt_f32_e32 vcc, s6, v6
	s_mov_b32 s6, 0x42b17218
	v_ldexp_f32 v7, v7, v8
	v_cndmask_b32_e32 v7, 0, v7, vcc
	v_mov_b32_e32 v8, 0x7f800000
	v_cmp_nlt_f32_e32 vcc, s6, v6
	s_nop 1
	v_cndmask_b32_e32 v6, v8, v7, vcc
	v_add_f32_e32 v6, 1.0, v6
	v_rcp_f32_e32 v6, v6
	s_nop 0
	v_fma_f32 v6, v6, -2.0, 1.0
.LBB70_44:
	s_andn2_saveexec_b64 s[4:5], s[4:5]
; %bb.45:
	v_mul_f32_e32 v6, v21, v21
	v_mov_b32_e32 v7, 0x3ca908c9
	v_fmac_f32_e32 v7, 0xbbbac73d, v6
	v_fmaak_f32 v7, v6, v7, 0xbd5c1c4e
	v_fmaak_f32 v7, v6, v7, 0x3e088382
	;; [unrolled: 1-line block ×3, first 2 shown]
	v_mul_f32_e64 v7, |v21|, v7
	v_fma_f32 v6, v6, v7, |v21|
; %bb.46:
	s_or_b64 exec, exec, s[4:5]
	s_cmp_lg_u64 s[36:37], 0
	s_brev_b32 s4, -2
	v_bfi_b32 v6, s4, v6, v21
	s_cselect_b64 s[4:5], -1, 0
	v_mul_f32_e32 v10, s15, v6
	v_cndmask_b32_e64 v6, 0, 1, s[4:5]
	v_cmp_ne_u32_e64 s[4:5], 1, v6
	v_mov_b64_e32 v[8:9], v[2:3]
	v_cmp_gt_i32_e64 s[6:7], s10, v36
	v_add_u32_e32 v12, s18, v36
	v_mov_b64_e32 v[6:7], v[0:1]
	v_mov_b32_e32 v11, v0
	s_and_saveexec_b64 s[8:9], s[6:7]
	s_cbranch_execz .LBB70_51
; %bb.47:
	s_and_b64 vcc, exec, s[4:5]
	s_cbranch_vccnz .LBB70_49
; %bb.48:
	v_mad_u64_u32 v[6:7], s[28:29], v53, s19, v[12:13]
	v_ashrrev_i32_e32 v7, 31, v6
	v_lshl_add_u64 v[6:7], v[6:7], 1, s[36:37]
	global_load_ushort v6, v[6:7], off
	s_waitcnt vmcnt(0)
	v_cvt_f32_f16_e32 v6, v6
	v_mul_f32_e32 v6, v40, v6
	s_branch .LBB70_50
.LBB70_49:
	v_mov_b32_e32 v6, 0
.LBB70_50:
	v_add_f32_e32 v10, v10, v6
	v_add_f32_e32 v6, 0x40051340, v10
	v_max_f32_e32 v7, v0, v0
	v_max_f32_e32 v11, v7, v6
	v_mov_b64_e32 v[8:9], v[2:3]
	v_mov_b64_e32 v[6:7], v[0:1]
.LBB70_51:
	s_or_b64 exec, exec, s[8:9]
	v_mbcnt_hi_u32_b32 v13, -1, v59
	v_and_b32_e32 v6, 0x60, v13
	v_add_u32_e32 v22, 32, v6
	v_xor_b32_e32 v24, 16, v13
	v_cmp_lt_i32_e32 vcc, v24, v22
	v_xor_b32_e32 v26, 8, v13
	v_xor_b32_e32 v27, 4, v13
	v_cndmask_b32_e32 v6, v13, v24, vcc
	v_lshlrev_b32_e32 v59, 2, v6
	ds_bpermute_b32 v6, v59, v11
	v_cmp_lt_i32_e32 vcc, v26, v22
	v_max_f32_e32 v11, v11, v11
	v_xor_b32_e32 v25, 2, v13
	v_cndmask_b32_e32 v21, v13, v26, vcc
	s_waitcnt lgkmcnt(0)
	v_max_f32_e32 v6, v6, v6
	v_lshlrev_b32_e32 v60, 2, v21
	v_max_f32_e32 v6, v11, v6
	ds_bpermute_b32 v11, v60, v6
	v_cmp_lt_i32_e32 vcc, v27, v22
	v_xor_b32_e32 v23, 1, v13
	s_mov_b32 s8, 0x3f200000
	v_cndmask_b32_e32 v21, v13, v27, vcc
	s_waitcnt lgkmcnt(0)
	v_max_f32_e32 v11, v11, v11
	v_lshlrev_b32_e32 v55, 2, v21
	v_max_f32_e32 v6, v6, v11
	ds_bpermute_b32 v11, v55, v6
	v_cmp_lt_i32_e32 vcc, v25, v22
	v_cmp_nlt_f32_e64 s[8:9], |v19|, s8
                                        ; implicit-def: $vgpr61
	s_waitcnt lgkmcnt(0)
	v_max_f32_e32 v11, v11, v11
	v_cndmask_b32_e32 v21, v13, v25, vcc
	v_lshlrev_b32_e32 v53, 2, v21
	v_max_f32_e32 v6, v6, v11
	ds_bpermute_b32 v11, v53, v6
	v_cmp_lt_i32_e32 vcc, v23, v22
	s_waitcnt lgkmcnt(0)
	v_max_f32_e32 v11, v11, v11
	v_cndmask_b32_e32 v21, v13, v23, vcc
	v_lshlrev_b32_e32 v21, 2, v21
	v_max_f32_e32 v6, v6, v11
	ds_bpermute_b32 v11, v21, v6
	s_and_saveexec_b64 s[28:29], s[8:9]
	s_xor_b64 s[8:9], exec, s[28:29]
	s_cbranch_execz .LBB70_53
; %bb.52:
	v_add_f32_e64 v61, |v19|, |v19|
	v_mul_f32_e32 v62, 0x3fb8aa3b, v61
	s_mov_b32 s11, 0x3fb8aa3b
	v_rndne_f32_e32 v63, v62
	v_sub_f32_e32 v64, v62, v63
	v_fma_f32 v62, v61, s11, -v62
	v_fmamk_f32 v62, v61, 0x32a5705f, v62
	v_add_f32_e32 v62, v64, v62
	v_exp_f32_e32 v62, v62
	v_cvt_i32_f32_e32 v63, v63
	s_mov_b32 s11, 0xc2ce8ed0
	v_cmp_ngt_f32_e32 vcc, s11, v61
	s_mov_b32 s11, 0x42b17218
	v_ldexp_f32 v62, v62, v63
	v_cndmask_b32_e32 v62, 0, v62, vcc
	v_mov_b32_e32 v63, 0x7f800000
	v_cmp_nlt_f32_e32 vcc, s11, v61
	s_nop 1
	v_cndmask_b32_e32 v61, v63, v62, vcc
	v_add_f32_e32 v61, 1.0, v61
	v_rcp_f32_e32 v61, v61
	s_nop 0
	v_fma_f32 v61, v61, -2.0, 1.0
.LBB70_53:
	s_andn2_saveexec_b64 s[8:9], s[8:9]
; %bb.54:
	v_mul_f32_e32 v61, v19, v19
	v_mov_b32_e32 v62, 0x3ca908c9
	v_fmac_f32_e32 v62, 0xbbbac73d, v61
	v_fmaak_f32 v62, v61, v62, 0xbd5c1c4e
	v_fmaak_f32 v62, v61, v62, 0x3e088382
	v_fmaak_f32 v62, v61, v62, 0xbeaaaa99
	v_mul_f32_e64 v62, |v19|, v62
	v_fma_f32 v61, v61, v62, |v19|
; %bb.55:
	s_or_b64 exec, exec, s[8:9]
	s_waitcnt lgkmcnt(0)
	v_max_f32_e32 v11, v11, v11
	v_max_f32_e32 v6, v6, v6
	s_brev_b32 s8, -2
	v_max_f32_e32 v6, v6, v11
	v_bfi_b32 v11, s8, v61, v19
	v_mul_f32_e32 v11, s15, v11
	s_and_saveexec_b64 s[8:9], s[6:7]
	s_cbranch_execz .LBB70_60
; %bb.56:
	s_and_b64 vcc, exec, s[4:5]
	s_cbranch_vccnz .LBB70_58
; %bb.57:
	v_or_b32_e32 v19, 1, v37
	v_mul_hi_u32 v61, s24, v19
	v_add_u32_e32 v61, v19, v61
	v_lshrrev_b32_e32 v61, s25, v61
	v_mul_lo_u32 v61, v61, s26
	v_sub_u32_e32 v19, v19, v61
	v_mad_u64_u32 v[62:63], s[28:29], v19, s19, v[12:13]
	v_ashrrev_i32_e32 v63, 31, v62
	v_lshl_add_u64 v[62:63], v[62:63], 1, s[36:37]
	global_load_ushort v19, v[62:63], off
	s_waitcnt vmcnt(0)
	v_cvt_f32_f16_e32 v19, v19
	v_mul_f32_e32 v19, v40, v19
	s_branch .LBB70_59
.LBB70_58:
	v_mov_b32_e32 v19, 0
.LBB70_59:
	v_add_f32_e32 v11, v11, v19
	v_add_f32_e32 v19, 0x40051340, v11
	v_max_f32_e32 v7, v7, v7
	v_max_f32_e32 v7, v7, v19
.LBB70_60:
	s_or_b64 exec, exec, s[8:9]
	ds_bpermute_b32 v19, v59, v7
	v_max_f32_e32 v7, v7, v7
	s_mov_b32 s8, 0x3f200000
	v_cmp_nlt_f32_e64 s[8:9], |v4|, s8
                                        ; implicit-def: $vgpr61
	s_waitcnt lgkmcnt(0)
	v_max_f32_e32 v19, v19, v19
	v_max_f32_e32 v7, v7, v19
	ds_bpermute_b32 v19, v60, v7
	s_waitcnt lgkmcnt(0)
	v_max_f32_e32 v19, v19, v19
	v_max_f32_e32 v7, v7, v19
	ds_bpermute_b32 v19, v55, v7
	;; [unrolled: 4-line block ×4, first 2 shown]
	s_and_saveexec_b64 s[28:29], s[8:9]
	s_xor_b64 s[8:9], exec, s[28:29]
	s_cbranch_execz .LBB70_62
; %bb.61:
	v_add_f32_e64 v61, |v4|, |v4|
	v_mul_f32_e32 v62, 0x3fb8aa3b, v61
	s_mov_b32 s11, 0x3fb8aa3b
	v_rndne_f32_e32 v63, v62
	v_sub_f32_e32 v64, v62, v63
	v_fma_f32 v62, v61, s11, -v62
	v_fmamk_f32 v62, v61, 0x32a5705f, v62
	v_add_f32_e32 v62, v64, v62
	v_exp_f32_e32 v62, v62
	v_cvt_i32_f32_e32 v63, v63
	s_mov_b32 s11, 0xc2ce8ed0
	v_cmp_ngt_f32_e32 vcc, s11, v61
	s_mov_b32 s11, 0x42b17218
	v_ldexp_f32 v62, v62, v63
	v_cndmask_b32_e32 v62, 0, v62, vcc
	v_mov_b32_e32 v63, 0x7f800000
	v_cmp_nlt_f32_e32 vcc, s11, v61
	s_nop 1
	v_cndmask_b32_e32 v61, v63, v62, vcc
	v_add_f32_e32 v61, 1.0, v61
	v_rcp_f32_e32 v61, v61
	s_nop 0
	v_fma_f32 v61, v61, -2.0, 1.0
.LBB70_62:
	s_andn2_saveexec_b64 s[8:9], s[8:9]
; %bb.63:
	v_mul_f32_e32 v61, v4, v4
	v_mov_b32_e32 v62, 0x3ca908c9
	v_fmac_f32_e32 v62, 0xbbbac73d, v61
	v_fmaak_f32 v62, v61, v62, 0xbd5c1c4e
	v_fmaak_f32 v62, v61, v62, 0x3e088382
	;; [unrolled: 1-line block ×3, first 2 shown]
	v_mul_f32_e64 v62, |v4|, v62
	v_fma_f32 v61, v61, v62, |v4|
; %bb.64:
	s_or_b64 exec, exec, s[8:9]
	s_brev_b32 s8, -2
	s_waitcnt lgkmcnt(0)
	v_max_f32_e32 v19, v19, v19
	v_max_f32_e32 v7, v7, v7
	v_bfi_b32 v4, s8, v61, v4
	v_max_f32_e32 v7, v7, v19
	v_mul_f32_e32 v4, s15, v4
	s_and_saveexec_b64 s[8:9], s[6:7]
	s_cbranch_execz .LBB70_69
; %bb.65:
	s_and_b64 vcc, exec, s[4:5]
	s_cbranch_vccnz .LBB70_67
; %bb.66:
	v_or_b32_e32 v19, 2, v37
	v_mul_hi_u32 v61, s24, v19
	v_add_u32_e32 v61, v19, v61
	v_lshrrev_b32_e32 v61, s25, v61
	v_mul_lo_u32 v61, v61, s26
	v_sub_u32_e32 v19, v19, v61
	v_mad_u64_u32 v[62:63], s[28:29], v19, s19, v[12:13]
	v_ashrrev_i32_e32 v63, 31, v62
	v_lshl_add_u64 v[62:63], v[62:63], 1, s[36:37]
	global_load_ushort v19, v[62:63], off
	s_waitcnt vmcnt(0)
	v_cvt_f32_f16_e32 v19, v19
	v_mul_f32_e32 v19, v40, v19
	s_branch .LBB70_68
.LBB70_67:
	v_mov_b32_e32 v19, 0
.LBB70_68:
	v_add_f32_e32 v4, v4, v19
	v_add_f32_e32 v19, 0x40051340, v4
	v_max_f32_e32 v8, v8, v8
	v_max_f32_e32 v8, v8, v19
.LBB70_69:
	s_or_b64 exec, exec, s[8:9]
	ds_bpermute_b32 v19, v59, v8
	v_max_f32_e32 v8, v8, v8
	s_mov_b32 s8, 0x3f200000
	v_cmp_nlt_f32_e64 s[8:9], |v5|, s8
                                        ; implicit-def: $vgpr61
	s_waitcnt lgkmcnt(0)
	v_max_f32_e32 v19, v19, v19
	v_max_f32_e32 v8, v8, v19
	ds_bpermute_b32 v19, v60, v8
	s_waitcnt lgkmcnt(0)
	v_max_f32_e32 v19, v19, v19
	v_max_f32_e32 v8, v8, v19
	ds_bpermute_b32 v19, v55, v8
	;; [unrolled: 4-line block ×4, first 2 shown]
	s_and_saveexec_b64 s[28:29], s[8:9]
	s_xor_b64 s[8:9], exec, s[28:29]
	s_cbranch_execz .LBB70_71
; %bb.70:
	v_add_f32_e64 v61, |v5|, |v5|
	v_mul_f32_e32 v62, 0x3fb8aa3b, v61
	s_mov_b32 s11, 0x3fb8aa3b
	v_rndne_f32_e32 v63, v62
	v_sub_f32_e32 v64, v62, v63
	v_fma_f32 v62, v61, s11, -v62
	v_fmamk_f32 v62, v61, 0x32a5705f, v62
	v_add_f32_e32 v62, v64, v62
	v_exp_f32_e32 v62, v62
	v_cvt_i32_f32_e32 v63, v63
	s_mov_b32 s11, 0xc2ce8ed0
	v_cmp_ngt_f32_e32 vcc, s11, v61
	s_mov_b32 s11, 0x42b17218
	v_ldexp_f32 v62, v62, v63
	v_cndmask_b32_e32 v62, 0, v62, vcc
	v_mov_b32_e32 v63, 0x7f800000
	v_cmp_nlt_f32_e32 vcc, s11, v61
	s_nop 1
	v_cndmask_b32_e32 v61, v63, v62, vcc
	v_add_f32_e32 v61, 1.0, v61
	v_rcp_f32_e32 v61, v61
	s_nop 0
	v_fma_f32 v61, v61, -2.0, 1.0
.LBB70_71:
	s_andn2_saveexec_b64 s[8:9], s[8:9]
; %bb.72:
	v_mul_f32_e32 v61, v5, v5
	v_mov_b32_e32 v62, 0x3ca908c9
	v_fmac_f32_e32 v62, 0xbbbac73d, v61
	v_fmaak_f32 v62, v61, v62, 0xbd5c1c4e
	v_fmaak_f32 v62, v61, v62, 0x3e088382
	;; [unrolled: 1-line block ×3, first 2 shown]
	v_mul_f32_e64 v62, |v5|, v62
	v_fma_f32 v61, v61, v62, |v5|
; %bb.73:
	s_or_b64 exec, exec, s[8:9]
	s_brev_b32 s8, -2
	s_waitcnt lgkmcnt(0)
	v_max_f32_e32 v19, v19, v19
	v_max_f32_e32 v8, v8, v8
	v_bfi_b32 v5, s8, v61, v5
	v_max_f32_e32 v8, v8, v19
	v_mul_f32_e32 v5, s15, v5
	s_and_saveexec_b64 s[8:9], s[6:7]
	s_cbranch_execz .LBB70_78
; %bb.74:
	s_and_b64 vcc, exec, s[4:5]
	s_cbranch_vccnz .LBB70_76
; %bb.75:
	v_or_b32_e32 v19, 3, v37
	v_mul_hi_u32 v61, s24, v19
	v_add_u32_e32 v61, v19, v61
	v_lshrrev_b32_e32 v61, s25, v61
	v_mul_lo_u32 v61, v61, s26
	v_sub_u32_e32 v19, v19, v61
	v_mad_u64_u32 v[62:63], s[4:5], v19, s19, v[12:13]
	v_ashrrev_i32_e32 v63, 31, v62
	v_lshl_add_u64 v[62:63], v[62:63], 1, s[36:37]
	global_load_ushort v12, v[62:63], off
	s_waitcnt vmcnt(0)
	v_cvt_f32_f16_e32 v12, v12
	v_mul_f32_e32 v12, v40, v12
	s_branch .LBB70_77
.LBB70_76:
	v_mov_b32_e32 v12, 0
.LBB70_77:
	v_add_f32_e32 v5, v5, v12
	v_add_f32_e32 v12, 0x40051340, v5
	v_max_f32_e32 v9, v9, v9
	v_max_f32_e32 v9, v9, v12
.LBB70_78:
	s_or_b64 exec, exec, s[8:9]
	ds_bpermute_b32 v12, v59, v9
	v_max_f32_e32 v9, v9, v9
	s_mov_b64 s[6:7], src_private_base
	v_sub_f32_e32 v10, v10, v6
	s_mov_b32 s6, 0x3fb8aa3b
	s_waitcnt lgkmcnt(0)
	v_max_f32_e32 v12, v12, v12
	v_max_f32_e32 v9, v9, v12
	ds_bpermute_b32 v19, v60, v9
	v_mul_f32_e32 v40, 0x3fb8aa3b, v10
	v_rndne_f32_e32 v59, v40
	s_mov_b32 s9, 0xc2ce8ed0
	v_cmp_ngt_f32_e32 vcc, s9, v10
	s_waitcnt lgkmcnt(0)
	v_max_f32_e32 v19, v19, v19
	v_max_f32_e32 v9, v9, v19
	ds_bpermute_b32 v19, v55, v9
	v_fma_f32 v55, v10, s6, -v40
	v_fmac_f32_e32 v55, 0x32a5705f, v10
	v_sub_f32_e32 v40, v40, v59
	v_add_f32_e32 v40, v40, v55
	s_waitcnt lgkmcnt(0)
	v_max_f32_e32 v19, v19, v19
	v_max_f32_e32 v9, v9, v19
	ds_bpermute_b32 v19, v53, v9
	v_cvt_i32_f32_e32 v53, v59
	v_exp_f32_e32 v40, v40
	v_sub_f32_e32 v11, v11, v7
	s_mov_b32 s8, 0x42b17218
	s_waitcnt lgkmcnt(0)
	v_max_f32_e32 v19, v19, v19
	v_max_f32_e32 v9, v9, v19
	ds_bpermute_b32 v19, v21, v9
	v_ldexp_f32 v21, v40, v53
	v_mov_b32_e32 v59, 0x7f800000
	v_sub_f32_e32 v4, v4, v8
	v_cmp_ngt_f32_e64 s[4:5], s9, v11
	s_waitcnt lgkmcnt(0)
	v_max_f32_e32 v19, v19, v19
	v_max_f32_e32 v9, v9, v19
	v_cndmask_b32_e32 v19, 0, v21, vcc
	v_mul_f32_e32 v21, 0x3fb8aa3b, v11
	v_fma_f32 v40, v11, s6, -v21
	v_rndne_f32_e32 v53, v21
	v_fmac_f32_e32 v40, 0x32a5705f, v11
	v_sub_f32_e32 v21, v21, v53
	v_add_f32_e32 v21, v21, v40
	v_exp_f32_e32 v21, v21
	v_cvt_i32_f32_e32 v40, v53
	v_cmp_nlt_f32_e32 vcc, s8, v10
	v_sub_f32_e32 v5, v5, v9
	v_lshlrev_b32_e32 v12, 8, v38
	v_cndmask_b32_e32 v10, v59, v19, vcc
	v_cmp_gt_u32_e32 vcc, s10, v36
	v_mul_f32_e32 v19, 0x3fb8aa3b, v4
	s_mov_b32 s28, 0
	v_cndmask_b32_e32 v63, 0, v10, vcc
	v_ldexp_f32 v10, v21, v40
	v_fma_f32 v21, v4, s6, -v19
	v_rndne_f32_e32 v40, v19
	v_fmac_f32_e32 v21, 0x32a5705f, v4
	v_sub_f32_e32 v19, v19, v40
	v_add_f32_e32 v19, v19, v21
	v_exp_f32_e32 v19, v19
	v_cvt_i32_f32_e32 v21, v40
	v_cndmask_b32_e64 v10, 0, v10, s[4:5]
	v_cmp_nlt_f32_e64 s[4:5], s8, v11
	v_mul_f32_e32 v11, 0x3fb8aa3b, v5
	s_nop 0
	v_cndmask_b32_e64 v10, v59, v10, s[4:5]
	v_cndmask_b32_e32 v68, 0, v10, vcc
	v_ldexp_f32 v10, v19, v21
	v_fma_f32 v19, v5, s6, -v11
	v_rndne_f32_e32 v21, v11
	v_fmac_f32_e32 v19, 0x32a5705f, v5
	v_sub_f32_e32 v11, v11, v21
	v_add_f32_e32 v11, v11, v19
	v_exp_f32_e32 v11, v11
	v_cvt_i32_f32_e32 v19, v21
	v_cmp_ngt_f32_e64 s[4:5], s9, v4
	v_ashrrev_i32_e32 v21, 31, v20
	s_barrier
	v_cndmask_b32_e64 v10, 0, v10, s[4:5]
	v_cmp_nlt_f32_e64 s[4:5], s8, v4
	s_mov_b32 s30, s28
	s_nop 0
	v_cndmask_b32_e64 v4, v59, v10, s[4:5]
	v_cndmask_b32_e32 v69, 0, v4, vcc
	v_ldexp_f32 v4, v11, v19
	v_cmp_ngt_f32_e64 s[4:5], s9, v5
	v_mov_b32_e32 v19, 0
	s_mov_b32 s29, s28
	v_cndmask_b32_e64 v4, 0, v4, s[4:5]
	v_cmp_nlt_f32_e64 s[4:5], s8, v5
	v_mov_b32_e32 v62, s30
	v_mov_b32_e32 v61, s29
	v_cndmask_b32_e64 v4, v59, v4, s[4:5]
	s_movk_i32 s4, 0x6200
	v_add3_u32 v10, v12, s4, v39
	s_mul_hi_i32 s5, s18, s2
	s_mul_i32 s4, s18, s2
	v_cndmask_b32_e32 v70, 0, v4, vcc
	s_lshl_b64 s[4:5], s[4:5], 2
	v_cvt_pk_f16_f32 v5, v69, v70
	v_cvt_pk_f16_f32 v4, v63, v68
	s_add_u32 s24, s12, s4
	ds_write_b64 v10, v[4:5]
	s_addc_u32 s25, s13, s5
	v_lshlrev_b64 v[4:5], 2, v[20:21]
	v_lshl_add_u64 v[10:11], s[24:25], 0, v[4:5]
	v_mov_b32_e32 v60, s28
	v_lshl_add_u64 v[10:11], v[10:11], 0, v[18:19]
	v_mov_b32_e32 v21, s7
	v_cmp_gt_i32_e32 vcc, s10, v38
	v_mov_b32_e32 v40, 0
	scratch_store_dword off, v19, off
	scratch_store_dwordx3 off, v[60:62], off offset:4
	v_cndmask_b32_e32 v11, v21, v11, vcc
	v_cndmask_b32_e32 v10, v40, v10, vcc
	flat_load_dwordx4 v[64:67], v[10:11]
	v_sub_f32_e32 v71, v0, v6
	v_lshl_add_u32 v0, s2, 3, v20
	v_sub_f32_e32 v72, v1, v7
	v_ashrrev_i32_e32 v1, 31, v0
	v_lshlrev_b64 v[0:1], 2, v[0:1]
	v_add_u32_e32 v53, 8, v38
	v_lshl_add_u64 v[10:11], s[24:25], 0, v[0:1]
	v_lshl_add_u32 v55, v38, 9, v18
	v_lshl_add_u64 v[10:11], v[10:11], 0, v[18:19]
	v_cmp_gt_i32_e32 vcc, s10, v53
	scratch_store_dword off, v19, off
	scratch_store_dwordx3 off, v[60:62], off offset:4
	v_cndmask_b32_e32 v11, v21, v11, vcc
	v_cndmask_b32_e32 v10, v40, v10, vcc
	v_sub_f32_e32 v2, v2, v8
	v_mul_f32_e32 v20, 0x3fb8aa3b, v2
	v_fma_f32 v77, v2, s6, -v20
	v_rndne_f32_e32 v78, v20
	v_fmac_f32_e32 v77, 0x32a5705f, v2
	v_sub_f32_e32 v20, v20, v78
	v_add_f32_e32 v20, v20, v77
	v_cvt_i32_f32_e32 v78, v78
	v_cmp_ngt_f32_e32 vcc, s9, v71
	v_sub_f32_e32 v3, v3, v9
	s_mov_b32 s4, 0x10001
	s_or_b32 s5, s18, 16
	s_mul_hi_i32 s7, s5, s2
	s_waitcnt vmcnt(0) lgkmcnt(0)
	ds_write_b128 v55, v[64:67] offset:16384
	flat_load_dwordx4 v[64:67], v[10:11]
	v_mul_f32_e32 v10, 0x3fb8aa3b, v71
	v_mul_f32_e32 v11, 0x3fb8aa3b, v72
	v_fma_f32 v73, v71, s6, -v10
	v_rndne_f32_e32 v74, v10
	v_fma_f32 v75, v72, s6, -v11
	v_rndne_f32_e32 v76, v11
	v_fmac_f32_e32 v73, 0x32a5705f, v71
	v_sub_f32_e32 v10, v10, v74
	v_fmac_f32_e32 v75, 0x32a5705f, v72
	v_sub_f32_e32 v11, v11, v76
	v_add_f32_e32 v10, v10, v73
	v_cvt_i32_f32_e32 v74, v74
	v_add_f32_e32 v11, v11, v75
	v_exp_f32_e32 v10, v10
	v_cvt_i32_f32_e32 v76, v76
	v_exp_f32_e32 v11, v11
	v_exp_f32_e32 v73, v20
	v_ldexp_f32 v10, v10, v74
	v_cndmask_b32_e32 v10, 0, v10, vcc
	v_ldexp_f32 v11, v11, v76
	v_cmp_ngt_f32_e32 vcc, s9, v72
	v_ldexp_f32 v73, v73, v78
	v_lshl_add_u32 v20, v53, 9, v18
	v_cndmask_b32_e32 v11, 0, v11, vcc
	v_cmp_ngt_f32_e32 vcc, s9, v2
	s_waitcnt vmcnt(0) lgkmcnt(0)
	ds_write_b128 v20, v[64:67] offset:16384
	v_cndmask_b32_e32 v73, 0, v73, vcc
	v_cmp_nlt_f32_e32 vcc, s8, v71
	s_waitcnt lgkmcnt(0)
	s_barrier
	v_cndmask_b32_e32 v10, v59, v10, vcc
	v_cvt_f16_f32_e32 v71, v10
	v_cmp_nlt_f32_e32 vcc, s8, v72
	v_fma_f32 v16, v16, v10, v63
	v_mul_f32_e32 v10, 0x3fb8aa3b, v3
	v_cndmask_b32_e32 v11, v59, v11, vcc
	v_cmp_nlt_f32_e32 vcc, s8, v2
	v_cvt_f16_f32_e32 v72, v11
	v_fma_f32 v17, v17, v11, v68
	v_cndmask_b32_e32 v2, v59, v73, vcc
	v_cvt_f16_f32_e32 v73, v2
	v_fma_f32 v14, v14, v2, v69
	v_mul_u32_u24_e32 v2, 0x10001, v71
	v_pk_mul_f16 v81, v56, v2
	v_pk_mul_f16 v82, v57, v2
	v_fma_f32 v56, v3, s6, -v10
	v_rndne_f32_e32 v57, v10
	v_fmac_f32_e32 v56, 0x32a5705f, v3
	v_sub_f32_e32 v10, v10, v57
	v_add_f32_e32 v10, v10, v56
	v_cvt_i32_f32_e32 v57, v57
	v_exp_f32_e32 v10, v10
	v_cmp_ngt_f32_e32 vcc, s9, v3
	v_mul_u32_u24_e32 v11, 0x10001, v72
	v_mul_u32_u24_e32 v63, 0x10001, v73
	v_ldexp_f32 v10, v10, v57
	v_cndmask_b32_e32 v10, 0, v10, vcc
	v_cmp_nlt_f32_e32 vcc, s8, v3
	v_pk_mul_f16 v80, v58, v2
	s_nop 0
	v_cndmask_b32_e32 v3, v59, v10, vcc
	v_cvt_f16_f32_e32 v10, v3
	v_fma_f32 v15, v15, v3, v70
	v_pk_mul_f16 v54, v54, v11
	v_pk_mul_f16 v51, v51, v11
	v_mul_u32_u24_e32 v3, 0x10001, v10
	v_add_u32_e32 v10, 0x4000, v39
	ds_read_b128 v[56:59], v12 offset:25088
	ds_read2_b64 v[64:67], v10 offset1:32
	ds_read_b128 v[68:71], v12 offset:25104
	ds_read_b128 v[72:75], v12 offset:25120
	;; [unrolled: 1-line block ×3, first 2 shown]
	v_pk_mul_f16 v43, v43, v3
	v_pk_mul_f16 v42, v42, v3
	;; [unrolled: 1-line block ×4, first 2 shown]
	s_waitcnt lgkmcnt(4)
	v_mul_u32_u24_sdwa v44, v56, s4 dst_sel:DWORD dst_unused:UNUSED_PAD src0_sel:WORD_0 src1_sel:DWORD
	v_mul_u32_u24_sdwa v56, v56, s4 dst_sel:DWORD dst_unused:UNUSED_PAD src0_sel:WORD_1 src1_sel:DWORD
	s_waitcnt lgkmcnt(3)
	v_pk_mul_f16 v84, v64, v44
	v_mul_u32_u24_sdwa v83, v57, s4 dst_sel:DWORD dst_unused:UNUSED_PAD src0_sel:WORD_0 src1_sel:DWORD
	v_pk_fma_f16 v2, v50, v2, v84
	v_pk_mul_f16 v50, v64, v56
	v_pk_mul_f16 v52, v52, v11
	;; [unrolled: 1-line block ×4, first 2 shown]
	v_mul_u32_u24_sdwa v57, v57, s4 dst_sel:DWORD dst_unused:UNUSED_PAD src0_sel:WORD_1 src1_sel:DWORD
	v_pk_fma_f16 v11, v49, v11, v50
	v_pk_mul_f16 v49, v64, v83
	v_pk_mul_f16 v47, v47, v63
	v_pk_fma_f16 v49, v45, v63, v49
	v_pk_fma_f16 v50, v64, v57, v43
	;; [unrolled: 1-line block ×11, first 2 shown]
	ds_read2_b64 v[42:45], v10 offset0:64 offset1:96
	v_pk_fma_f16 v52, v67, v56, v52
	v_pk_fma_f16 v47, v67, v83, v47
	;; [unrolled: 1-line block ×3, first 2 shown]
	v_mul_u32_u24_sdwa v56, v58, s4 dst_sel:DWORD dst_unused:UNUSED_PAD src0_sel:WORD_0 src1_sel:DWORD
	v_mul_u32_u24_sdwa v57, v58, s4 dst_sel:DWORD dst_unused:UNUSED_PAD src0_sel:WORD_1 src1_sel:DWORD
	v_mul_u32_u24_sdwa v58, v59, s4 dst_sel:DWORD dst_unused:UNUSED_PAD src0_sel:WORD_0 src1_sel:DWORD
	v_mul_u32_u24_sdwa v59, v59, s4 dst_sel:DWORD dst_unused:UNUSED_PAD src0_sel:WORD_1 src1_sel:DWORD
	s_waitcnt lgkmcnt(0)
	v_pk_fma_f16 v2, v42, v56, v2
	v_pk_fma_f16 v11, v42, v57, v11
	;; [unrolled: 1-line block ×16, first 2 shown]
	ds_read2_b64 v[42:45], v10 offset0:128 offset1:160
	v_mul_u32_u24_sdwa v57, v68, s4 dst_sel:DWORD dst_unused:UNUSED_PAD src0_sel:WORD_0 src1_sel:DWORD
	v_mul_u32_u24_sdwa v58, v68, s4 dst_sel:DWORD dst_unused:UNUSED_PAD src0_sel:WORD_1 src1_sel:DWORD
	v_mul_u32_u24_sdwa v59, v69, s4 dst_sel:DWORD dst_unused:UNUSED_PAD src0_sel:WORD_0 src1_sel:DWORD
	v_mul_u32_u24_sdwa v66, v69, s4 dst_sel:DWORD dst_unused:UNUSED_PAD src0_sel:WORD_1 src1_sel:DWORD
	s_waitcnt lgkmcnt(0)
	v_pk_fma_f16 v2, v42, v57, v2
	v_pk_fma_f16 v11, v42, v58, v11
	;; [unrolled: 1-line block ×16, first 2 shown]
	ds_read2_b64 v[42:45], v10 offset0:192 offset1:224
	v_mul_u32_u24_sdwa v58, v70, s4 dst_sel:DWORD dst_unused:UNUSED_PAD src0_sel:WORD_1 src1_sel:DWORD
	v_mul_u32_u24_sdwa v57, v70, s4 dst_sel:DWORD dst_unused:UNUSED_PAD src0_sel:WORD_0 src1_sel:DWORD
	v_mul_u32_u24_sdwa v59, v71, s4 dst_sel:DWORD dst_unused:UNUSED_PAD src0_sel:WORD_0 src1_sel:DWORD
	v_mul_u32_u24_sdwa v66, v71, s4 dst_sel:DWORD dst_unused:UNUSED_PAD src0_sel:WORD_1 src1_sel:DWORD
	s_waitcnt lgkmcnt(0)
	v_pk_fma_f16 v67, v42, v58, v11
	v_add_u32_e32 v11, 0x4800, v39
	v_pk_fma_f16 v2, v42, v57, v2
	v_pk_fma_f16 v49, v42, v59, v49
	;; [unrolled: 1-line block ×15, first 2 shown]
	ds_read2_b64 v[42:45], v11 offset1:32
	v_mul_u32_u24_sdwa v57, v72, s4 dst_sel:DWORD dst_unused:UNUSED_PAD src0_sel:WORD_0 src1_sel:DWORD
	v_mul_u32_u24_sdwa v58, v72, s4 dst_sel:DWORD dst_unused:UNUSED_PAD src0_sel:WORD_1 src1_sel:DWORD
	v_mul_u32_u24_sdwa v59, v73, s4 dst_sel:DWORD dst_unused:UNUSED_PAD src0_sel:WORD_0 src1_sel:DWORD
	v_mul_u32_u24_sdwa v66, v73, s4 dst_sel:DWORD dst_unused:UNUSED_PAD src0_sel:WORD_1 src1_sel:DWORD
	s_waitcnt lgkmcnt(0)
	v_pk_fma_f16 v2, v42, v57, v2
	v_pk_fma_f16 v67, v42, v58, v67
	v_pk_fma_f16 v49, v42, v59, v49
	v_pk_fma_f16 v50, v42, v66, v50
	v_pk_fma_f16 v63, v43, v57, v63
	v_pk_fma_f16 v54, v43, v58, v54
	v_pk_fma_f16 v48, v43, v59, v48
	v_pk_fma_f16 v64, v43, v66, v64
	v_pk_fma_f16 v65, v44, v57, v65
	v_pk_fma_f16 v51, v44, v58, v51
	v_pk_fma_f16 v46, v44, v59, v46
	v_pk_fma_f16 v41, v44, v66, v41
	v_pk_fma_f16 v56, v45, v57, v56
	v_pk_fma_f16 v52, v45, v58, v52
	v_pk_fma_f16 v47, v45, v59, v47
	v_pk_fma_f16 v3, v45, v66, v3
	ds_read2_b64 v[42:45], v11 offset0:64 offset1:96
	v_mul_u32_u24_sdwa v57, v74, s4 dst_sel:DWORD dst_unused:UNUSED_PAD src0_sel:WORD_0 src1_sel:DWORD
	v_mul_u32_u24_sdwa v58, v74, s4 dst_sel:DWORD dst_unused:UNUSED_PAD src0_sel:WORD_1 src1_sel:DWORD
	v_mul_u32_u24_sdwa v59, v75, s4 dst_sel:DWORD dst_unused:UNUSED_PAD src0_sel:WORD_0 src1_sel:DWORD
	v_mul_u32_u24_sdwa v66, v75, s4 dst_sel:DWORD dst_unused:UNUSED_PAD src0_sel:WORD_1 src1_sel:DWORD
	s_waitcnt lgkmcnt(0)
	v_pk_fma_f16 v2, v42, v57, v2
	v_pk_fma_f16 v67, v42, v58, v67
	v_pk_fma_f16 v49, v42, v59, v49
	v_pk_fma_f16 v50, v42, v66, v50
	v_pk_fma_f16 v63, v43, v57, v63
	v_pk_fma_f16 v54, v43, v58, v54
	v_pk_fma_f16 v48, v43, v59, v48
	v_pk_fma_f16 v64, v43, v66, v64
	v_pk_fma_f16 v65, v44, v57, v65
	v_pk_fma_f16 v51, v44, v58, v51
	v_pk_fma_f16 v46, v44, v59, v46
	v_pk_fma_f16 v41, v44, v66, v41
	v_pk_fma_f16 v56, v45, v57, v56
	v_pk_fma_f16 v52, v45, v58, v52
	v_pk_fma_f16 v47, v45, v59, v47
	v_pk_fma_f16 v3, v45, v66, v3
	ds_read2_b64 v[42:45], v11 offset0:128 offset1:160
	;; [unrolled: 22-line block ×3, first 2 shown]
	s_mul_i32 s6, s5, s2
	s_lshl_b64 s[6:7], s[6:7], 2
	s_add_u32 s6, s12, s6
	s_addc_u32 s7, s13, s7
	v_mul_u32_u24_sdwa v57, v78, s4 dst_sel:DWORD dst_unused:UNUSED_PAD src0_sel:WORD_0 src1_sel:DWORD
	v_mul_u32_u24_sdwa v66, v79, s4 dst_sel:DWORD dst_unused:UNUSED_PAD src0_sel:WORD_1 src1_sel:DWORD
	s_add_i32 s10, s10, -16
	v_lshl_add_u64 v[4:5], s[6:7], 0, v[4:5]
	v_mul_u32_u24_sdwa v58, v78, s4 dst_sel:DWORD dst_unused:UNUSED_PAD src0_sel:WORD_1 src1_sel:DWORD
	v_mul_u32_u24_sdwa v59, v79, s4 dst_sel:DWORD dst_unused:UNUSED_PAD src0_sel:WORD_0 src1_sel:DWORD
	s_waitcnt lgkmcnt(0)
	v_pk_fma_f16 v104, v42, v57, v2
	v_pk_fma_f16 v113, v45, v66, v3
	v_add_u32_e32 v3, 0x5000, v39
	v_add_u32_e32 v2, 0x5800, v39
	v_lshl_add_u64 v[4:5], v[4:5], 0, v[18:19]
	v_cmp_gt_i32_e32 vcc, s10, v38
	v_pk_fma_f16 v105, v42, v58, v67
	v_pk_fma_f16 v106, v42, v59, v49
	;; [unrolled: 1-line block ×14, first 2 shown]
	ds_read_b128 v[46:49], v12 offset:25152
	ds_read2_b64 v[42:45], v3 offset1:32
	ds_read_b128 v[56:59], v12 offset:25168
	ds_read2_b64 v[64:67], v3 offset0:64 offset1:96
	ds_read2_b64 v[68:71], v3 offset0:128 offset1:160
	;; [unrolled: 1-line block ×3, first 2 shown]
	ds_read2_b64 v[76:79], v2 offset1:32
	ds_read2_b64 v[80:83], v2 offset0:64 offset1:96
	ds_read2_b64 v[84:87], v2 offset0:128 offset1:160
	ds_read_b128 v[88:91], v12 offset:25184
	ds_read_b128 v[92:95], v12 offset:25200
	ds_read2_b64 v[96:99], v2 offset0:192 offset1:224
	s_waitcnt lgkmcnt(0)
	s_barrier
	scratch_store_dword off, v19, off
	scratch_store_dwordx3 off, v[60:62], off offset:4
	v_cndmask_b32_e32 v5, v21, v5, vcc
	v_cndmask_b32_e32 v4, v40, v4, vcc
	flat_load_dwordx4 v[100:103], v[4:5]
	v_mul_u32_u24_sdwa v114, v46, s4 dst_sel:DWORD dst_unused:UNUSED_PAD src0_sel:WORD_0 src1_sel:DWORD
	v_mul_u32_u24_sdwa v46, v46, s4 dst_sel:DWORD dst_unused:UNUSED_PAD src0_sel:WORD_1 src1_sel:DWORD
	v_mul_u32_u24_sdwa v4, v47, s4 dst_sel:DWORD dst_unused:UNUSED_PAD src0_sel:WORD_0 src1_sel:DWORD
	v_mul_u32_u24_sdwa v5, v47, s4 dst_sel:DWORD dst_unused:UNUSED_PAD src0_sel:WORD_1 src1_sel:DWORD
	v_pk_fma_f16 v38, v42, v114, v104
	v_pk_fma_f16 v39, v42, v46, v105
	;; [unrolled: 1-line block ×16, first 2 shown]
	v_mul_u32_u24_sdwa v45, v48, s4 dst_sel:DWORD dst_unused:UNUSED_PAD src0_sel:WORD_0 src1_sel:DWORD
	v_mul_u32_u24_sdwa v48, v48, s4 dst_sel:DWORD dst_unused:UNUSED_PAD src0_sel:WORD_1 src1_sel:DWORD
	v_mul_u32_u24_sdwa v52, v49, s4 dst_sel:DWORD dst_unused:UNUSED_PAD src0_sel:WORD_0 src1_sel:DWORD
	v_mul_u32_u24_sdwa v49, v49, s4 dst_sel:DWORD dst_unused:UNUSED_PAD src0_sel:WORD_1 src1_sel:DWORD
	v_lshl_add_u64 v[0:1], s[6:7], 0, v[0:1]
	v_pk_fma_f16 v38, v64, v45, v38
	v_pk_fma_f16 v39, v64, v48, v39
	;; [unrolled: 1-line block ×16, first 2 shown]
	v_mul_u32_u24_sdwa v46, v56, s4 dst_sel:DWORD dst_unused:UNUSED_PAD src0_sel:WORD_0 src1_sel:DWORD
	v_mul_u32_u24_sdwa v48, v56, s4 dst_sel:DWORD dst_unused:UNUSED_PAD src0_sel:WORD_1 src1_sel:DWORD
	v_mul_u32_u24_sdwa v52, v57, s4 dst_sel:DWORD dst_unused:UNUSED_PAD src0_sel:WORD_1 src1_sel:DWORD
	v_lshl_add_u64 v[0:1], v[0:1], 0, v[18:19]
	v_cmp_gt_i32_e32 vcc, s10, v53
	v_mul_u32_u24_sdwa v49, v57, s4 dst_sel:DWORD dst_unused:UNUSED_PAD src0_sel:WORD_0 src1_sel:DWORD
	v_pk_fma_f16 v38, v68, v46, v38
	v_pk_fma_f16 v39, v68, v48, v39
	v_pk_fma_f16 v42, v68, v52, v42
	v_pk_fma_f16 v50, v69, v46, v50
	v_pk_fma_f16 v54, v69, v48, v54
	v_pk_fma_f16 v43, v69, v52, v43
	v_pk_fma_f16 v57, v70, v46, v64
	v_pk_fma_f16 v51, v70, v48, v51
	v_pk_fma_f16 v41, v70, v52, v41
	v_pk_fma_f16 v44, v71, v46, v44
	v_pk_fma_f16 v45, v71, v48, v45
	v_pk_fma_f16 v5, v71, v52, v5
	v_mul_u32_u24_sdwa v46, v58, s4 dst_sel:DWORD dst_unused:UNUSED_PAD src0_sel:WORD_0 src1_sel:DWORD
	v_mul_u32_u24_sdwa v48, v58, s4 dst_sel:DWORD dst_unused:UNUSED_PAD src0_sel:WORD_1 src1_sel:DWORD
	v_mul_u32_u24_sdwa v52, v59, s4 dst_sel:DWORD dst_unused:UNUSED_PAD src0_sel:WORD_1 src1_sel:DWORD
	v_cndmask_b32_e32 v1, v21, v1, vcc
	v_cndmask_b32_e32 v0, v40, v0, vcc
	v_pk_fma_f16 v47, v68, v49, v47
	v_pk_fma_f16 v56, v69, v49, v63
	v_pk_fma_f16 v63, v70, v49, v65
	v_pk_fma_f16 v4, v71, v49, v4
	v_mul_u32_u24_sdwa v49, v59, s4 dst_sel:DWORD dst_unused:UNUSED_PAD src0_sel:WORD_0 src1_sel:DWORD
	v_pk_fma_f16 v58, v72, v46, v38
	v_pk_fma_f16 v59, v72, v48, v39
	;; [unrolled: 1-line block ×10, first 2 shown]
	s_waitcnt vmcnt(0) lgkmcnt(0)
	ds_write_b128 v55, v[100:103] offset:16384
	scratch_store_dword off, v19, off
	scratch_store_dwordx3 off, v[60:62], off offset:4
	flat_load_dwordx4 v[38:41], v[0:1]
	v_pk_fma_f16 v51, v74, v48, v51
	v_pk_fma_f16 v63, v74, v49, v63
	v_pk_fma_f16 v44, v75, v46, v44
	v_pk_fma_f16 v45, v75, v48, v45
	v_pk_fma_f16 v4, v75, v49, v4
	v_pk_fma_f16 v5, v75, v52, v5
	v_mul_u32_u24_sdwa v46, v88, s4 dst_sel:DWORD dst_unused:UNUSED_PAD src0_sel:WORD_0 src1_sel:DWORD
	v_mul_u32_u24_sdwa v0, v88, s4 dst_sel:DWORD dst_unused:UNUSED_PAD src0_sel:WORD_1 src1_sel:DWORD
	v_mul_u32_u24_sdwa v1, v89, s4 dst_sel:DWORD dst_unused:UNUSED_PAD src0_sel:WORD_0 src1_sel:DWORD
	v_mul_u32_u24_sdwa v18, v89, s4 dst_sel:DWORD dst_unused:UNUSED_PAD src0_sel:WORD_1 src1_sel:DWORD
	v_pk_fma_f16 v19, v76, v46, v58
	v_pk_fma_f16 v21, v76, v0, v59
	v_pk_fma_f16 v47, v76, v1, v47
	v_pk_fma_f16 v42, v76, v18, v42
	v_pk_fma_f16 v48, v77, v46, v50
	v_pk_fma_f16 v49, v77, v0, v54
	v_pk_fma_f16 v50, v77, v1, v56
	v_pk_fma_f16 v43, v77, v18, v43
	v_pk_fma_f16 v52, v78, v46, v57
	v_pk_fma_f16 v51, v78, v0, v51
	v_pk_fma_f16 v53, v78, v1, v63
	v_pk_fma_f16 v54, v78, v18, v64
	v_pk_fma_f16 v44, v79, v46, v44
	v_pk_fma_f16 v0, v79, v0, v45
	v_pk_fma_f16 v1, v79, v1, v4
	v_pk_fma_f16 v4, v79, v18, v5
	v_mul_u32_u24_sdwa v5, v90, s4 dst_sel:DWORD dst_unused:UNUSED_PAD src0_sel:WORD_0 src1_sel:DWORD
	v_mul_u32_u24_sdwa v18, v90, s4 dst_sel:DWORD dst_unused:UNUSED_PAD src0_sel:WORD_1 src1_sel:DWORD
	v_mul_u32_u24_sdwa v45, v91, s4 dst_sel:DWORD dst_unused:UNUSED_PAD src0_sel:WORD_0 src1_sel:DWORD
	v_mul_u32_u24_sdwa v46, v91, s4 dst_sel:DWORD dst_unused:UNUSED_PAD src0_sel:WORD_1 src1_sel:DWORD
	v_pk_fma_f16 v19, v80, v5, v19
	v_pk_fma_f16 v21, v80, v18, v21
	v_pk_fma_f16 v47, v80, v45, v47
	v_pk_fma_f16 v42, v80, v46, v42
	v_pk_fma_f16 v48, v81, v5, v48
	v_pk_fma_f16 v49, v81, v18, v49
	v_pk_fma_f16 v50, v81, v45, v50
	v_pk_fma_f16 v43, v81, v46, v43
	v_pk_fma_f16 v52, v82, v5, v52
	v_pk_fma_f16 v51, v82, v18, v51
	;; [unrolled: 20-line block ×4, first 2 shown]
	v_pk_fma_f16 v65, v98, v45, v53
	v_pk_fma_f16 v54, v98, v46, v54
	;; [unrolled: 1-line block ×6, first 2 shown]
	s_waitcnt vmcnt(0) lgkmcnt(0)
	ds_write_b128 v20, v[38:41] offset:16384
	s_waitcnt lgkmcnt(0)
	s_barrier
	ds_read_b128 v[18:21], v12 offset:25216
	ds_read2_b64 v[38:41], v10 offset1:32
	ds_read_b128 v[42:45], v12 offset:25232
	ds_read_b128 v[46:49], v12 offset:25248
	;; [unrolled: 1-line block ×3, first 2 shown]
	s_waitcnt lgkmcnt(4)
	v_mul_u32_u24_sdwa v66, v18, s4 dst_sel:DWORD dst_unused:UNUSED_PAD src0_sel:WORD_0 src1_sel:DWORD
	v_mul_u32_u24_sdwa v18, v18, s4 dst_sel:DWORD dst_unused:UNUSED_PAD src0_sel:WORD_1 src1_sel:DWORD
	v_mul_u32_u24_sdwa v67, v19, s4 dst_sel:DWORD dst_unused:UNUSED_PAD src0_sel:WORD_0 src1_sel:DWORD
	v_mul_u32_u24_sdwa v19, v19, s4 dst_sel:DWORD dst_unused:UNUSED_PAD src0_sel:WORD_1 src1_sel:DWORD
	s_waitcnt lgkmcnt(3)
	v_pk_fma_f16 v55, v38, v66, v55
	v_pk_fma_f16 v56, v38, v18, v56
	v_pk_fma_f16 v57, v38, v67, v57
	v_pk_fma_f16 v58, v38, v19, v58
	v_pk_fma_f16 v59, v39, v66, v59
	v_pk_fma_f16 v60, v39, v18, v60
	v_pk_fma_f16 v61, v39, v67, v61
	v_pk_fma_f16 v62, v39, v19, v62
	v_pk_fma_f16 v63, v40, v66, v63
	v_pk_fma_f16 v64, v40, v18, v64
	v_pk_fma_f16 v65, v40, v67, v65
	v_pk_fma_f16 v54, v40, v19, v54
	v_pk_fma_f16 v5, v41, v66, v5
	v_pk_fma_f16 v0, v41, v18, v0
	v_pk_fma_f16 v1, v41, v67, v1
	v_pk_fma_f16 v4, v41, v19, v4
	ds_read2_b64 v[38:41], v10 offset0:64 offset1:96
	v_mul_u32_u24_sdwa v18, v20, s4 dst_sel:DWORD dst_unused:UNUSED_PAD src0_sel:WORD_0 src1_sel:DWORD
	v_mul_u32_u24_sdwa v19, v20, s4 dst_sel:DWORD dst_unused:UNUSED_PAD src0_sel:WORD_1 src1_sel:DWORD
	v_mul_u32_u24_sdwa v20, v21, s4 dst_sel:DWORD dst_unused:UNUSED_PAD src0_sel:WORD_0 src1_sel:DWORD
	v_mul_u32_u24_sdwa v21, v21, s4 dst_sel:DWORD dst_unused:UNUSED_PAD src0_sel:WORD_1 src1_sel:DWORD
	s_waitcnt lgkmcnt(0)
	v_pk_fma_f16 v55, v38, v18, v55
	v_pk_fma_f16 v56, v38, v19, v56
	v_pk_fma_f16 v57, v38, v20, v57
	v_pk_fma_f16 v38, v38, v21, v58
	v_pk_fma_f16 v58, v39, v18, v59
	v_pk_fma_f16 v59, v39, v19, v60
	v_pk_fma_f16 v60, v39, v20, v61
	v_pk_fma_f16 v39, v39, v21, v62
	v_pk_fma_f16 v61, v40, v18, v63
	v_pk_fma_f16 v62, v40, v19, v64
	v_pk_fma_f16 v63, v40, v20, v65
	v_pk_fma_f16 v40, v40, v21, v54
	v_pk_fma_f16 v5, v41, v18, v5
	v_pk_fma_f16 v0, v41, v19, v0
	v_pk_fma_f16 v1, v41, v20, v1
	v_pk_fma_f16 v4, v41, v21, v4
	ds_read2_b64 v[18:21], v10 offset0:128 offset1:160
	v_mul_u32_u24_sdwa v41, v42, s4 dst_sel:DWORD dst_unused:UNUSED_PAD src0_sel:WORD_0 src1_sel:DWORD
	v_mul_u32_u24_sdwa v42, v42, s4 dst_sel:DWORD dst_unused:UNUSED_PAD src0_sel:WORD_1 src1_sel:DWORD
	v_mul_u32_u24_sdwa v54, v43, s4 dst_sel:DWORD dst_unused:UNUSED_PAD src0_sel:WORD_0 src1_sel:DWORD
	v_mul_u32_u24_sdwa v43, v43, s4 dst_sel:DWORD dst_unused:UNUSED_PAD src0_sel:WORD_1 src1_sel:DWORD
	s_waitcnt lgkmcnt(0)
	v_pk_fma_f16 v55, v18, v41, v55
	v_pk_fma_f16 v56, v18, v42, v56
	v_pk_fma_f16 v57, v18, v54, v57
	v_pk_fma_f16 v38, v18, v43, v38
	v_pk_fma_f16 v58, v19, v41, v58
	v_pk_fma_f16 v59, v19, v42, v59
	v_pk_fma_f16 v60, v19, v54, v60
	v_pk_fma_f16 v39, v19, v43, v39
	v_pk_fma_f16 v61, v20, v41, v61
	v_pk_fma_f16 v62, v20, v42, v62
	v_pk_fma_f16 v63, v20, v54, v63
	v_pk_fma_f16 v40, v20, v43, v40
	v_pk_fma_f16 v5, v21, v41, v5
	v_pk_fma_f16 v0, v21, v42, v0
	v_pk_fma_f16 v1, v21, v54, v1
	v_pk_fma_f16 v4, v21, v43, v4
	ds_read2_b64 v[18:21], v10 offset0:192 offset1:224
	v_mul_u32_u24_sdwa v10, v44, s4 dst_sel:DWORD dst_unused:UNUSED_PAD src0_sel:WORD_0 src1_sel:DWORD
	v_mul_u32_u24_sdwa v41, v44, s4 dst_sel:DWORD dst_unused:UNUSED_PAD src0_sel:WORD_1 src1_sel:DWORD
	v_mul_u32_u24_sdwa v42, v45, s4 dst_sel:DWORD dst_unused:UNUSED_PAD src0_sel:WORD_0 src1_sel:DWORD
	v_mul_u32_u24_sdwa v43, v45, s4 dst_sel:DWORD dst_unused:UNUSED_PAD src0_sel:WORD_1 src1_sel:DWORD
	s_waitcnt lgkmcnt(0)
	v_pk_fma_f16 v44, v18, v10, v55
	v_pk_fma_f16 v45, v18, v41, v56
	;; [unrolled: 1-line block ×16, first 2 shown]
	ds_read2_b64 v[18:21], v11 offset1:32
	v_mul_u32_u24_sdwa v10, v46, s4 dst_sel:DWORD dst_unused:UNUSED_PAD src0_sel:WORD_0 src1_sel:DWORD
	v_mul_u32_u24_sdwa v41, v46, s4 dst_sel:DWORD dst_unused:UNUSED_PAD src0_sel:WORD_1 src1_sel:DWORD
	v_mul_u32_u24_sdwa v42, v47, s4 dst_sel:DWORD dst_unused:UNUSED_PAD src0_sel:WORD_0 src1_sel:DWORD
	v_mul_u32_u24_sdwa v43, v47, s4 dst_sel:DWORD dst_unused:UNUSED_PAD src0_sel:WORD_1 src1_sel:DWORD
	s_waitcnt lgkmcnt(0)
	v_pk_fma_f16 v44, v18, v10, v44
	v_pk_fma_f16 v45, v18, v41, v45
	v_pk_fma_f16 v46, v18, v42, v54
	v_pk_fma_f16 v38, v18, v43, v38
	v_pk_fma_f16 v47, v19, v10, v55
	v_pk_fma_f16 v54, v19, v41, v56
	v_pk_fma_f16 v55, v19, v42, v57
	v_pk_fma_f16 v39, v19, v43, v39
	v_pk_fma_f16 v56, v20, v10, v58
	v_pk_fma_f16 v57, v20, v41, v59
	v_pk_fma_f16 v58, v20, v42, v60
	v_pk_fma_f16 v40, v20, v43, v40
	v_pk_fma_f16 v5, v21, v10, v5
	v_pk_fma_f16 v0, v21, v41, v0
	v_pk_fma_f16 v1, v21, v42, v1
	v_pk_fma_f16 v4, v21, v43, v4
	ds_read2_b64 v[18:21], v11 offset0:64 offset1:96
	v_mul_u32_u24_sdwa v10, v48, s4 dst_sel:DWORD dst_unused:UNUSED_PAD src0_sel:WORD_0 src1_sel:DWORD
	v_mul_u32_u24_sdwa v41, v48, s4 dst_sel:DWORD dst_unused:UNUSED_PAD src0_sel:WORD_1 src1_sel:DWORD
	v_mul_u32_u24_sdwa v42, v49, s4 dst_sel:DWORD dst_unused:UNUSED_PAD src0_sel:WORD_0 src1_sel:DWORD
	v_mul_u32_u24_sdwa v43, v49, s4 dst_sel:DWORD dst_unused:UNUSED_PAD src0_sel:WORD_1 src1_sel:DWORD
	s_waitcnt lgkmcnt(0)
	v_pk_fma_f16 v44, v18, v10, v44
	v_pk_fma_f16 v45, v18, v41, v45
	v_pk_fma_f16 v46, v18, v42, v46
	v_pk_fma_f16 v38, v18, v43, v38
	v_pk_fma_f16 v47, v19, v10, v47
	v_pk_fma_f16 v48, v19, v41, v54
	v_pk_fma_f16 v49, v19, v42, v55
	v_pk_fma_f16 v39, v19, v43, v39
	v_pk_fma_f16 v54, v20, v10, v56
	v_pk_fma_f16 v55, v20, v41, v57
	v_pk_fma_f16 v56, v20, v42, v58
	v_pk_fma_f16 v40, v20, v43, v40
	v_pk_fma_f16 v5, v21, v10, v5
	v_pk_fma_f16 v0, v21, v41, v0
	v_pk_fma_f16 v1, v21, v42, v1
	v_pk_fma_f16 v4, v21, v43, v4
	ds_read2_b64 v[18:21], v11 offset0:128 offset1:160
	;; [unrolled: 22-line block ×3, first 2 shown]
	v_mul_u32_u24_sdwa v43, v53, s4 dst_sel:DWORD dst_unused:UNUSED_PAD src0_sel:WORD_1 src1_sel:DWORD
	v_mul_u32_u24_sdwa v10, v52, s4 dst_sel:DWORD dst_unused:UNUSED_PAD src0_sel:WORD_0 src1_sel:DWORD
	v_mul_u32_u24_sdwa v11, v52, s4 dst_sel:DWORD dst_unused:UNUSED_PAD src0_sel:WORD_1 src1_sel:DWORD
	v_mul_u32_u24_sdwa v42, v53, s4 dst_sel:DWORD dst_unused:UNUSED_PAD src0_sel:WORD_0 src1_sel:DWORD
	s_waitcnt lgkmcnt(0)
	v_pk_fma_f16 v55, v18, v43, v38
	v_pk_fma_f16 v56, v19, v43, v39
	v_pk_fma_f16 v57, v20, v43, v40
	ds_read_b128 v[38:41], v12 offset:25280
	v_pk_fma_f16 v52, v18, v10, v44
	v_pk_fma_f16 v53, v18, v11, v45
	;; [unrolled: 1-line block ×13, first 2 shown]
	ds_read2_b64 v[18:21], v3 offset1:32
	ds_read_b128 v[42:45], v12 offset:25296
	s_waitcnt lgkmcnt(2)
	v_mul_u32_u24_sdwa v10, v38, s4 dst_sel:DWORD dst_unused:UNUSED_PAD src0_sel:WORD_0 src1_sel:DWORD
	v_mul_u32_u24_sdwa v11, v38, s4 dst_sel:DWORD dst_unused:UNUSED_PAD src0_sel:WORD_1 src1_sel:DWORD
	v_mul_u32_u24_sdwa v38, v39, s4 dst_sel:DWORD dst_unused:UNUSED_PAD src0_sel:WORD_0 src1_sel:DWORD
	v_mul_u32_u24_sdwa v39, v39, s4 dst_sel:DWORD dst_unused:UNUSED_PAD src0_sel:WORD_1 src1_sel:DWORD
	s_waitcnt lgkmcnt(1)
	v_pk_fma_f16 v52, v18, v10, v52
	v_pk_fma_f16 v53, v18, v11, v53
	v_pk_fma_f16 v46, v18, v38, v46
	v_pk_fma_f16 v55, v18, v39, v55
	v_pk_fma_f16 v47, v19, v10, v47
	v_pk_fma_f16 v48, v19, v11, v48
	v_pk_fma_f16 v49, v19, v38, v49
	v_pk_fma_f16 v56, v19, v39, v56
	v_pk_fma_f16 v50, v20, v10, v50
	v_pk_fma_f16 v51, v20, v11, v51
	v_pk_fma_f16 v54, v20, v38, v54
	v_pk_fma_f16 v57, v20, v39, v57
	v_pk_fma_f16 v5, v21, v10, v5
	v_pk_fma_f16 v0, v21, v11, v0
	v_pk_fma_f16 v1, v21, v38, v1
	v_pk_fma_f16 v4, v21, v39, v4
	ds_read2_b64 v[18:21], v3 offset0:64 offset1:96
	v_mul_u32_u24_sdwa v10, v40, s4 dst_sel:DWORD dst_unused:UNUSED_PAD src0_sel:WORD_0 src1_sel:DWORD
	v_mul_u32_u24_sdwa v11, v40, s4 dst_sel:DWORD dst_unused:UNUSED_PAD src0_sel:WORD_1 src1_sel:DWORD
	v_mul_u32_u24_sdwa v38, v41, s4 dst_sel:DWORD dst_unused:UNUSED_PAD src0_sel:WORD_0 src1_sel:DWORD
	v_mul_u32_u24_sdwa v39, v41, s4 dst_sel:DWORD dst_unused:UNUSED_PAD src0_sel:WORD_1 src1_sel:DWORD
	s_waitcnt lgkmcnt(0)
	v_pk_fma_f16 v40, v18, v10, v52
	v_pk_fma_f16 v41, v18, v11, v53
	v_pk_fma_f16 v46, v18, v38, v46
	v_pk_fma_f16 v52, v18, v39, v55
	v_pk_fma_f16 v47, v19, v10, v47
	v_pk_fma_f16 v48, v19, v11, v48
	v_pk_fma_f16 v49, v19, v38, v49
	v_pk_fma_f16 v53, v19, v39, v56
	v_pk_fma_f16 v50, v20, v10, v50
	v_pk_fma_f16 v51, v20, v11, v51
	v_pk_fma_f16 v54, v20, v38, v54
	v_pk_fma_f16 v55, v20, v39, v57
	v_pk_fma_f16 v5, v21, v10, v5
	v_pk_fma_f16 v0, v21, v11, v0
	v_pk_fma_f16 v1, v21, v38, v1
	v_pk_fma_f16 v4, v21, v39, v4
	ds_read2_b64 v[18:21], v3 offset0:128 offset1:160
	;; [unrolled: 22-line block ×3, first 2 shown]
	v_mul_u32_u24_sdwa v3, v44, s4 dst_sel:DWORD dst_unused:UNUSED_PAD src0_sel:WORD_0 src1_sel:DWORD
	v_mul_u32_u24_sdwa v10, v44, s4 dst_sel:DWORD dst_unused:UNUSED_PAD src0_sel:WORD_1 src1_sel:DWORD
	v_mul_u32_u24_sdwa v11, v45, s4 dst_sel:DWORD dst_unused:UNUSED_PAD src0_sel:WORD_0 src1_sel:DWORD
	v_mul_u32_u24_sdwa v44, v45, s4 dst_sel:DWORD dst_unused:UNUSED_PAD src0_sel:WORD_1 src1_sel:DWORD
	s_waitcnt lgkmcnt(0)
	v_pk_fma_f16 v54, v18, v3, v40
	v_pk_fma_f16 v55, v18, v10, v41
	ds_read_b128 v[38:41], v12 offset:25312
	v_pk_fma_f16 v56, v18, v11, v42
	v_pk_fma_f16 v57, v18, v44, v43
	;; [unrolled: 1-line block ×14, first 2 shown]
	ds_read2_b64 v[18:21], v2 offset1:32
	ds_read_b128 v[42:45], v12 offset:25328
	s_waitcnt lgkmcnt(2)
	v_mul_u32_u24_sdwa v5, v38, s4 dst_sel:DWORD dst_unused:UNUSED_PAD src0_sel:WORD_0 src1_sel:DWORD
	v_mul_u32_u24_sdwa v10, v38, s4 dst_sel:DWORD dst_unused:UNUSED_PAD src0_sel:WORD_1 src1_sel:DWORD
	v_mul_u32_u24_sdwa v11, v39, s4 dst_sel:DWORD dst_unused:UNUSED_PAD src0_sel:WORD_0 src1_sel:DWORD
	v_mul_u32_u24_sdwa v12, v39, s4 dst_sel:DWORD dst_unused:UNUSED_PAD src0_sel:WORD_1 src1_sel:DWORD
	s_waitcnt lgkmcnt(1)
	v_pk_fma_f16 v38, v18, v5, v54
	v_pk_fma_f16 v39, v18, v10, v55
	;; [unrolled: 1-line block ×16, first 2 shown]
	ds_read2_b64 v[18:21], v2 offset0:64 offset1:96
	v_mul_u32_u24_sdwa v5, v40, s4 dst_sel:DWORD dst_unused:UNUSED_PAD src0_sel:WORD_0 src1_sel:DWORD
	v_mul_u32_u24_sdwa v10, v40, s4 dst_sel:DWORD dst_unused:UNUSED_PAD src0_sel:WORD_1 src1_sel:DWORD
	v_mul_u32_u24_sdwa v11, v41, s4 dst_sel:DWORD dst_unused:UNUSED_PAD src0_sel:WORD_0 src1_sel:DWORD
	v_mul_u32_u24_sdwa v12, v41, s4 dst_sel:DWORD dst_unused:UNUSED_PAD src0_sel:WORD_1 src1_sel:DWORD
	s_waitcnt lgkmcnt(0)
	v_pk_fma_f16 v38, v18, v5, v38
	v_pk_fma_f16 v39, v18, v10, v39
	;; [unrolled: 1-line block ×16, first 2 shown]
	ds_read2_b64 v[18:21], v2 offset0:128 offset1:160
	v_mul_u32_u24_sdwa v5, v42, s4 dst_sel:DWORD dst_unused:UNUSED_PAD src0_sel:WORD_0 src1_sel:DWORD
	v_mul_u32_u24_sdwa v10, v42, s4 dst_sel:DWORD dst_unused:UNUSED_PAD src0_sel:WORD_1 src1_sel:DWORD
	v_mul_u32_u24_sdwa v11, v43, s4 dst_sel:DWORD dst_unused:UNUSED_PAD src0_sel:WORD_0 src1_sel:DWORD
	v_mul_u32_u24_sdwa v12, v43, s4 dst_sel:DWORD dst_unused:UNUSED_PAD src0_sel:WORD_1 src1_sel:DWORD
	s_waitcnt lgkmcnt(0)
	v_pk_fma_f16 v38, v18, v5, v38
	v_pk_fma_f16 v39, v18, v10, v39
	;; [unrolled: 1-line block ×13, first 2 shown]
	ds_read2_b64 v[0:3], v2 offset0:192 offset1:224
	v_pk_fma_f16 v19, v19, v12, v49
	v_pk_fma_f16 v20, v20, v12, v53
	;; [unrolled: 1-line block ×3, first 2 shown]
	v_mul_u32_u24_sdwa v12, v44, s4 dst_sel:DWORD dst_unused:UNUSED_PAD src0_sel:WORD_0 src1_sel:DWORD
	v_mul_u32_u24_sdwa v21, v44, s4 dst_sel:DWORD dst_unused:UNUSED_PAD src0_sel:WORD_1 src1_sel:DWORD
	v_mul_u32_u24_sdwa v44, v45, s4 dst_sel:DWORD dst_unused:UNUSED_PAD src0_sel:WORD_0 src1_sel:DWORD
	v_mul_u32_u24_sdwa v53, v45, s4 dst_sel:DWORD dst_unused:UNUSED_PAD src0_sel:WORD_1 src1_sel:DWORD
	s_waitcnt lgkmcnt(0)
	v_pk_fma_f16 v50, v0, v12, v38
	v_pk_fma_f16 v49, v0, v21, v39
	;; [unrolled: 1-line block ×16, first 2 shown]
	v_mov_b64_e32 v[0:1], v[6:7]
	v_mov_b64_e32 v[2:3], v[8:9]
	s_barrier
.LBB70_79:
	v_cmp_lt_i32_e32 vcc, v24, v22
	s_cmp_eq_u64 s[16:17], 0
	s_cselect_b64 s[4:5], -1, 0
	v_cndmask_b32_e32 v4, v13, v24, vcc
	v_cmp_lt_i32_e32 vcc, v26, v22
	v_lshlrev_b32_e32 v7, 2, v4
	ds_bpermute_b32 v5, v7, v17
	v_cndmask_b32_e32 v4, v13, v26, vcc
	v_cmp_lt_i32_e32 vcc, v27, v22
	v_lshlrev_b32_e32 v11, 2, v4
	ds_bpermute_b32 v6, v7, v14
	v_cndmask_b32_e32 v4, v13, v27, vcc
	v_lshlrev_b32_e32 v12, 2, v4
	ds_bpermute_b32 v4, v7, v16
	ds_bpermute_b32 v7, v7, v15
	v_cmp_lt_i32_e32 vcc, v25, v22
	s_cmp_lg_u32 s3, 0
	s_cselect_b64 s[6:7], -1, 0
	s_waitcnt lgkmcnt(1)
	v_pk_add_f32 v[4:5], v[16:17], v[4:5]
	s_waitcnt lgkmcnt(0)
	v_pk_add_f32 v[6:7], v[14:15], v[6:7]
	ds_bpermute_b32 v8, v11, v4
	ds_bpermute_b32 v9, v11, v5
	;; [unrolled: 1-line block ×4, first 2 shown]
	v_cndmask_b32_e32 v18, v13, v25, vcc
	v_lshlrev_b32_e32 v14, 2, v18
	s_waitcnt lgkmcnt(2)
	v_pk_add_f32 v[4:5], v[4:5], v[8:9]
	ds_bpermute_b32 v8, v12, v4
	s_waitcnt lgkmcnt(1)
	v_pk_add_f32 v[6:7], v[6:7], v[10:11]
	ds_bpermute_b32 v9, v12, v5
	ds_bpermute_b32 v10, v12, v6
	ds_bpermute_b32 v11, v12, v7
	v_cmp_lt_i32_e32 vcc, v23, v22
	s_or_b64 s[4:5], s[6:7], s[4:5]
	s_waitcnt lgkmcnt(2)
	v_pk_add_f32 v[4:5], v[4:5], v[8:9]
	ds_bpermute_b32 v8, v14, v4
	s_waitcnt lgkmcnt(1)
	v_pk_add_f32 v[6:7], v[6:7], v[10:11]
	ds_bpermute_b32 v9, v14, v5
	ds_bpermute_b32 v10, v14, v6
	;; [unrolled: 1-line block ×3, first 2 shown]
	v_cndmask_b32_e32 v12, v13, v23, vcc
	v_lshlrev_b32_e32 v13, 2, v12
	s_waitcnt lgkmcnt(2)
	v_pk_add_f32 v[4:5], v[4:5], v[8:9]
	ds_bpermute_b32 v8, v13, v4
	s_waitcnt lgkmcnt(1)
	v_pk_add_f32 v[10:11], v[6:7], v[10:11]
	ds_bpermute_b32 v9, v13, v5
	ds_bpermute_b32 v12, v13, v10
	;; [unrolled: 1-line block ×3, first 2 shown]
	s_and_b64 vcc, exec, s[4:5]
	s_waitcnt lgkmcnt(2)
	v_pk_add_f32 v[6:7], v[4:5], v[8:9]
	s_waitcnt lgkmcnt(0)
	v_pk_add_f32 v[4:5], v[10:11], v[12:13]
	s_cbranch_vccnz .LBB70_81
; %bb.80:
	s_lshl_b64 s[4:5], s[34:35], 2
	s_add_u32 s4, s16, s4
	s_addc_u32 s5, s17, s5
	v_mov_b32_e32 v8, 0
	global_load_dword v15, v8, s[4:5]
	v_max_f32_e32 v8, v0, v0
	v_max_f32_e32 v9, v1, v1
	s_mov_b32 s5, 0x3fb8aa3b
	s_mov_b32 s2, 0xc2ce8ed0
	v_max_f32_e32 v10, v2, v2
	s_mov_b32 s4, 0x42b17218
	v_mov_b32_e32 v16, 0x7f800000
	s_waitcnt vmcnt(0)
	v_max_f32_e32 v11, v15, v15
	v_max_f32_e32 v8, v8, v11
	v_sub_f32_e32 v0, v0, v8
	v_max_f32_e32 v9, v9, v11
	v_sub_f32_e32 v12, v15, v8
	v_mul_f32_e32 v17, 0x3fb8aa3b, v0
	v_sub_f32_e32 v1, v1, v9
	v_mul_f32_e32 v18, 0x3fb8aa3b, v12
	v_fma_f32 v23, v0, s5, -v17
	v_rndne_f32_e32 v24, v17
	v_sub_f32_e32 v13, v15, v9
	v_mul_f32_e32 v19, 0x3fb8aa3b, v1
	v_fma_f32 v25, v12, s5, -v18
	v_rndne_f32_e32 v26, v18
	v_fmac_f32_e32 v23, 0x32a5705f, v0
	v_sub_f32_e32 v17, v17, v24
	v_mul_f32_e32 v20, 0x3fb8aa3b, v13
	v_fma_f32 v27, v1, s5, -v19
	v_rndne_f32_e32 v38, v19
	v_fmac_f32_e32 v25, 0x32a5705f, v12
	v_sub_f32_e32 v18, v18, v26
	v_add_f32_e32 v17, v17, v23
	v_fma_f32 v39, v13, s5, -v20
	v_rndne_f32_e32 v40, v20
	v_cvt_i32_f32_e32 v24, v24
	v_fmac_f32_e32 v27, 0x32a5705f, v1
	v_sub_f32_e32 v19, v19, v38
	v_add_f32_e32 v18, v18, v25
	v_exp_f32_e32 v17, v17
	v_cvt_i32_f32_e32 v26, v26
	v_fmac_f32_e32 v39, 0x32a5705f, v13
	v_sub_f32_e32 v20, v20, v40
	v_add_f32_e32 v19, v19, v27
	v_exp_f32_e32 v18, v18
	v_cvt_i32_f32_e32 v38, v38
	v_add_f32_e32 v20, v20, v39
	v_exp_f32_e32 v19, v19
	v_cvt_i32_f32_e32 v40, v40
	v_exp_f32_e32 v20, v20
	v_max_f32_e32 v10, v10, v11
	v_ldexp_f32 v17, v17, v24
	v_cmp_ngt_f32_e32 vcc, s2, v0
	v_sub_f32_e32 v2, v2, v10
	v_ldexp_f32 v18, v18, v26
	v_cndmask_b32_e32 v17, 0, v17, vcc
	v_cmp_ngt_f32_e32 vcc, s2, v12
	v_mul_f32_e32 v21, 0x3fb8aa3b, v2
	v_ldexp_f32 v19, v19, v38
	v_cndmask_b32_e32 v18, 0, v18, vcc
	v_cmp_ngt_f32_e32 vcc, s2, v1
	v_fma_f32 v53, v2, s5, -v21
	v_rndne_f32_e32 v55, v21
	v_ldexp_f32 v20, v20, v40
	v_cndmask_b32_e32 v19, 0, v19, vcc
	v_cmp_ngt_f32_e32 vcc, s2, v13
	v_fmac_f32_e32 v53, 0x32a5705f, v2
	v_sub_f32_e32 v21, v21, v55
	v_cndmask_b32_e32 v20, 0, v20, vcc
	v_cmp_nlt_f32_e32 vcc, s4, v0
	v_add_f32_e32 v21, v21, v53
	v_sub_f32_e32 v14, v15, v10
	v_cndmask_b32_e32 v0, v16, v17, vcc
	v_cmp_nlt_f32_e32 vcc, s4, v12
	v_cvt_i32_f32_e32 v55, v55
	v_exp_f32_e32 v21, v21
	v_cndmask_b32_e32 v12, v16, v18, vcc
	v_cmp_nlt_f32_e32 vcc, s4, v1
	v_cvt_f16_f32_e32 v17, v0
	v_mul_f32_e32 v22, 0x3fb8aa3b, v14
	v_cndmask_b32_e32 v1, v16, v19, vcc
	v_fma_f32 v59, v14, s5, -v22
	v_rndne_f32_e32 v60, v22
	v_cvt_f16_f32_e32 v18, v1
	v_fmac_f32_e32 v59, 0x32a5705f, v14
	v_sub_f32_e32 v22, v22, v60
	v_cmp_nlt_f32_e32 vcc, s4, v13
	v_add_f32_e32 v22, v22, v59
	v_ldexp_f32 v21, v21, v55
	v_cndmask_b32_e32 v13, v16, v20, vcc
	v_mul_u32_u24_e32 v17, 0x10001, v17
	v_cmp_ngt_f32_e32 vcc, s2, v2
	v_cvt_i32_f32_e32 v60, v60
	v_exp_f32_e32 v22, v22
	v_pk_mul_f16 v50, v50, v17
	v_pk_mul_f16 v58, v58, v17
	;; [unrolled: 1-line block ×4, first 2 shown]
	v_cndmask_b32_e32 v17, 0, v21, vcc
	v_cmp_nlt_f32_e32 vcc, s4, v2
	v_mul_u32_u24_e32 v18, 0x10001, v18
	v_pk_mul_f16 v49, v49, v18
	v_cndmask_b32_e32 v2, v16, v17, vcc
	v_pk_mul_f16 v54, v54, v18
	v_pk_mul_f16 v51, v51, v18
	v_pk_mul_f16 v52, v52, v18
	v_cvt_f16_f32_e32 v18, v2
	v_ldexp_f32 v17, v22, v60
	v_cmp_ngt_f32_e32 vcc, s2, v14
	v_pk_fma_f32 v[6:7], v[6:7], v[0:1], v[12:13]
	s_nop 0
	v_cndmask_b32_e32 v17, 0, v17, vcc
	v_cmp_nlt_f32_e32 vcc, s4, v14
	s_nop 1
	v_cndmask_b32_e32 v14, v16, v17, vcc
	v_mul_u32_u24_e32 v17, 0x10001, v18
	v_max_f32_e32 v18, v3, v3
	v_max_f32_e32 v11, v18, v11
	v_sub_f32_e32 v3, v3, v11
	v_mul_f32_e32 v18, 0x3fb8aa3b, v3
	v_fma_f32 v19, v3, s5, -v18
	v_rndne_f32_e32 v20, v18
	v_fmac_f32_e32 v19, 0x32a5705f, v3
	v_sub_f32_e32 v18, v18, v20
	v_add_f32_e32 v18, v18, v19
	v_exp_f32_e32 v18, v18
	v_cvt_i32_f32_e32 v19, v20
	v_sub_f32_e32 v15, v15, v11
	v_pk_mul_f16 v45, v45, v17
	v_pk_mul_f16 v48, v48, v17
	;; [unrolled: 1-line block ×4, first 2 shown]
	v_ldexp_f32 v17, v18, v19
	v_mul_f32_e32 v18, 0x3fb8aa3b, v15
	v_fma_f32 v19, v15, s5, -v18
	v_rndne_f32_e32 v20, v18
	v_fmac_f32_e32 v19, 0x32a5705f, v15
	v_sub_f32_e32 v18, v18, v20
	v_add_f32_e32 v18, v18, v19
	v_exp_f32_e32 v18, v18
	v_cvt_i32_f32_e32 v19, v20
	v_cmp_ngt_f32_e32 vcc, s2, v3
	s_nop 1
	v_cndmask_b32_e32 v17, 0, v17, vcc
	v_cmp_nlt_f32_e32 vcc, s4, v3
	s_nop 1
	v_cndmask_b32_e32 v3, v16, v17, vcc
	v_ldexp_f32 v17, v18, v19
	v_cvt_f16_f32_e32 v18, v3
	v_cmp_ngt_f32_e32 vcc, s2, v15
	s_nop 1
	v_cndmask_b32_e32 v17, 0, v17, vcc
	v_cmp_nlt_f32_e32 vcc, s4, v15
	s_nop 1
	v_cndmask_b32_e32 v15, v16, v17, vcc
	v_mul_u32_u24_e32 v16, 0x10001, v18
	v_pk_fma_f32 v[4:5], v[4:5], v[2:3], v[14:15]
	v_mov_b64_e32 v[0:1], v[8:9]
	v_pk_mul_f16 v43, v43, v16
	v_pk_mul_f16 v42, v42, v16
	v_pk_mul_f16 v41, v41, v16
	v_pk_mul_f16 v44, v44, v16
	v_mov_b64_e32 v[2:3], v[10:11]
.LBB70_81:
	v_cmp_gt_i32_e32 vcc, s26, v37
	s_and_saveexec_b64 s[4:5], vcc
	s_cbranch_execz .LBB70_101
; %bb.82:
	s_load_dword s2, s[0:1], 0xd4
	v_mov_b32_e32 v8, 1.0
	s_waitcnt lgkmcnt(0)
	s_cmp_lg_u32 s2, 1
	s_cselect_b64 s[0:1], -1, 0
	s_cmp_eq_u32 s2, 1
	s_cselect_b64 s[6:7], -1, 0
	s_and_b64 vcc, exec, s[0:1]
	s_cbranch_vccnz .LBB70_84
; %bb.83:
	v_div_scale_f32 v8, s[4:5], v6, v6, 1.0
	v_rcp_f32_e32 v9, v8
	v_div_scale_f32 v10, vcc, 1.0, v6, 1.0
	v_fma_f32 v11, -v8, v9, 1.0
	v_fmac_f32_e32 v9, v11, v9
	v_mul_f32_e32 v11, v10, v9
	v_fma_f32 v12, -v8, v11, v10
	v_fmac_f32_e32 v11, v12, v9
	v_fma_f32 v8, -v8, v11, v10
	v_div_fmas_f32 v8, v8, v9, v11
	v_div_fixup_f32 v8, v8, v6, 1.0
.LBB70_84:
	s_mul_i32 s8, s33, s26
	s_add_i32 s8, s8, s14
	v_add_u32_e32 v9, s8, v35
	v_mul_lo_u32 v9, v9, s27
	v_add_u32_e32 v9, s34, v9
	v_cvt_f32_f16_sdwa v13, v50 dst_sel:DWORD dst_unused:UNUSED_PAD src0_sel:WORD_1
	v_cvt_f32_f16_e32 v12, v50
	v_cvt_f32_f16_sdwa v15, v58 dst_sel:DWORD dst_unused:UNUSED_PAD src0_sel:WORD_1
	v_cvt_f32_f16_e32 v14, v58
	v_mul_lo_u32 v9, s2, v9
	v_add_u32_e32 v10, s3, v9
	v_lshl_add_u32 v16, v10, 8, v29
	v_mov_b32_e32 v17, 0
	v_lshl_add_u64 v[18:19], v[16:17], 2, s[20:21]
	v_pk_mul_f32 v[12:13], v[8:9], v[12:13] op_sel_hi:[0,1]
	v_pk_mul_f32 v[14:15], v[8:9], v[14:15] op_sel_hi:[0,1]
	global_store_dwordx4 v[18:19], v[12:15], off
	v_cmp_eq_u32_e32 vcc, 0, v36
	v_add_u32_e32 v16, 0x80, v16
	v_cvt_f32_f16_sdwa v13, v56 dst_sel:DWORD dst_unused:UNUSED_PAD src0_sel:WORD_1
	v_cvt_f32_f16_e32 v12, v56
	v_cvt_f32_f16_sdwa v15, v57 dst_sel:DWORD dst_unused:UNUSED_PAD src0_sel:WORD_1
	v_cvt_f32_f16_e32 v14, v57
	v_lshl_add_u64 v[16:17], v[16:17], 2, s[20:21]
	v_pk_mul_f32 v[12:13], v[8:9], v[12:13] op_sel_hi:[0,1]
	s_and_b64 s[4:5], vcc, s[0:1]
	v_pk_mul_f32 v[14:15], v[8:9], v[14:15] op_sel_hi:[0,1]
	global_store_dwordx4 v[16:17], v[12:15], off
	s_and_saveexec_b64 s[0:1], s[4:5]
	s_cbranch_execz .LBB70_86
; %bb.85:
	v_ashrrev_i32_e32 v11, 31, v10
	v_lshl_add_u64 v[8:9], v[10:11], 3, s[22:23]
	v_mov_b32_e32 v10, v0
	v_mov_b32_e32 v11, v6
	global_store_dwordx2 v[8:9], v[10:11], off
.LBB70_86:
	s_or_b64 exec, exec, s[0:1]
	v_cmp_gt_i32_e32 vcc, s26, v34
	s_and_b64 exec, exec, vcc
	s_cbranch_execz .LBB70_101
; %bb.87:
	v_cndmask_b32_e64 v0, 0, 1, s[6:7]
	v_cmp_ne_u32_e64 s[0:1], 1, v0
	s_andn2_b64 vcc, exec, s[6:7]
	v_mov_b32_e32 v0, 1.0
	s_cbranch_vccnz .LBB70_89
; %bb.88:
	v_div_scale_f32 v0, s[6:7], v7, v7, 1.0
	v_rcp_f32_e32 v6, v0
	v_div_scale_f32 v8, vcc, 1.0, v7, 1.0
	v_fma_f32 v9, -v0, v6, 1.0
	v_fmac_f32_e32 v6, v9, v6
	v_mul_f32_e32 v9, v8, v6
	v_fma_f32 v10, -v0, v9, v8
	v_fmac_f32_e32 v9, v10, v6
	v_fma_f32 v0, -v0, v9, v8
	v_div_fmas_f32 v0, v0, v6, v9
	v_div_fixup_f32 v0, v0, v7, 1.0
.LBB70_89:
	v_add_u32_e32 v6, s8, v33
	v_mul_lo_u32 v6, v6, s27
	v_add_u32_e32 v6, s34, v6
	v_cvt_f32_f16_sdwa v11, v49 dst_sel:DWORD dst_unused:UNUSED_PAD src0_sel:WORD_1
	v_cvt_f32_f16_e32 v10, v49
	v_cvt_f32_f16_sdwa v13, v54 dst_sel:DWORD dst_unused:UNUSED_PAD src0_sel:WORD_1
	v_cvt_f32_f16_e32 v12, v54
	v_mul_lo_u32 v6, s2, v6
	v_add_u32_e32 v8, s3, v6
	v_lshl_add_u32 v14, v8, 8, v29
	v_mov_b32_e32 v15, 0
	v_lshl_add_u64 v[16:17], v[14:15], 2, s[20:21]
	v_pk_mul_f32 v[10:11], v[0:1], v[10:11] op_sel_hi:[0,1]
	v_pk_mul_f32 v[12:13], v[0:1], v[12:13] op_sel_hi:[0,1]
	global_store_dwordx4 v[16:17], v[10:13], off
	v_add_u32_e32 v14, 0x80, v14
	v_lshl_add_u64 v[14:15], v[14:15], 2, s[20:21]
	v_cvt_f32_f16_sdwa v11, v51 dst_sel:DWORD dst_unused:UNUSED_PAD src0_sel:WORD_1
	v_cvt_f32_f16_e32 v10, v51
	v_cvt_f32_f16_sdwa v13, v52 dst_sel:DWORD dst_unused:UNUSED_PAD src0_sel:WORD_1
	v_cvt_f32_f16_e32 v12, v52
	v_pk_mul_f32 v[10:11], v[0:1], v[10:11] op_sel_hi:[0,1]
	v_pk_mul_f32 v[12:13], v[0:1], v[12:13] op_sel_hi:[0,1]
	global_store_dwordx4 v[14:15], v[10:13], off
	s_and_saveexec_b64 s[6:7], s[4:5]
	s_cbranch_execz .LBB70_91
; %bb.90:
	v_ashrrev_i32_e32 v9, 31, v8
	v_lshl_add_u64 v[8:9], v[8:9], 3, s[22:23]
	v_mov_b32_e32 v6, v1
	global_store_dwordx2 v[8:9], v[6:7], off
.LBB70_91:
	s_or_b64 exec, exec, s[6:7]
	v_cmp_gt_i32_e32 vcc, s26, v32
	s_and_b64 exec, exec, vcc
	s_cbranch_execz .LBB70_101
; %bb.92:
	s_and_b64 vcc, exec, s[0:1]
	v_mov_b32_e32 v6, 1.0
	s_cbranch_vccnz .LBB70_94
; %bb.93:
	v_div_scale_f32 v0, s[6:7], v4, v4, 1.0
	v_rcp_f32_e32 v1, v0
	v_div_scale_f32 v6, vcc, 1.0, v4, 1.0
	v_fma_f32 v7, -v0, v1, 1.0
	v_fmac_f32_e32 v1, v7, v1
	v_mul_f32_e32 v7, v6, v1
	v_fma_f32 v8, -v0, v7, v6
	v_fmac_f32_e32 v7, v8, v1
	v_fma_f32 v0, -v0, v7, v6
	v_div_fmas_f32 v0, v0, v1, v7
	v_div_fixup_f32 v6, v0, v4, 1.0
.LBB70_94:
	v_add_u32_e32 v0, s8, v31
	v_mul_lo_u32 v0, v0, s27
	v_add_u32_e32 v0, s34, v0
	v_cvt_f32_f16_sdwa v9, v45 dst_sel:DWORD dst_unused:UNUSED_PAD src0_sel:WORD_1
	v_cvt_f32_f16_e32 v8, v45
	v_cvt_f32_f16_sdwa v11, v48 dst_sel:DWORD dst_unused:UNUSED_PAD src0_sel:WORD_1
	v_cvt_f32_f16_e32 v10, v48
	v_mul_lo_u32 v0, s2, v0
	v_add_u32_e32 v0, s3, v0
	v_lshl_add_u32 v12, v0, 8, v29
	v_mov_b32_e32 v13, 0
	v_lshl_add_u64 v[14:15], v[12:13], 2, s[20:21]
	v_pk_mul_f32 v[8:9], v[6:7], v[8:9] op_sel_hi:[0,1]
	v_pk_mul_f32 v[10:11], v[6:7], v[10:11] op_sel_hi:[0,1]
	global_store_dwordx4 v[14:15], v[8:11], off
	v_add_u32_e32 v12, 0x80, v12
	v_lshl_add_u64 v[12:13], v[12:13], 2, s[20:21]
	v_cvt_f32_f16_sdwa v9, v46 dst_sel:DWORD dst_unused:UNUSED_PAD src0_sel:WORD_1
	v_cvt_f32_f16_e32 v8, v46
	v_cvt_f32_f16_sdwa v11, v47 dst_sel:DWORD dst_unused:UNUSED_PAD src0_sel:WORD_1
	v_cvt_f32_f16_e32 v10, v47
	v_pk_mul_f32 v[8:9], v[6:7], v[8:9] op_sel_hi:[0,1]
	v_pk_mul_f32 v[10:11], v[6:7], v[10:11] op_sel_hi:[0,1]
	global_store_dwordx4 v[12:13], v[8:11], off
	s_and_saveexec_b64 s[6:7], s[4:5]
	s_cbranch_execz .LBB70_96
; %bb.95:
	v_ashrrev_i32_e32 v1, 31, v0
	v_lshl_add_u64 v[0:1], v[0:1], 3, s[22:23]
	v_mov_b32_e32 v6, v2
	v_mov_b32_e32 v7, v4
	global_store_dwordx2 v[0:1], v[6:7], off
.LBB70_96:
	s_or_b64 exec, exec, s[6:7]
	v_cmp_gt_i32_e32 vcc, s26, v30
	s_and_b64 exec, exec, vcc
	s_cbranch_execz .LBB70_101
; %bb.97:
	s_and_b64 vcc, exec, s[0:1]
	v_mov_b32_e32 v2, 1.0
	s_cbranch_vccnz .LBB70_99
; %bb.98:
	v_div_scale_f32 v0, s[0:1], v5, v5, 1.0
	v_rcp_f32_e32 v1, v0
	v_div_scale_f32 v2, vcc, 1.0, v5, 1.0
	v_fma_f32 v4, -v0, v1, 1.0
	v_fmac_f32_e32 v1, v4, v1
	v_mul_f32_e32 v4, v2, v1
	v_fma_f32 v6, -v0, v4, v2
	v_fmac_f32_e32 v4, v6, v1
	v_fma_f32 v0, -v0, v4, v2
	v_div_fmas_f32 v0, v0, v1, v4
	v_div_fixup_f32 v2, v0, v5, 1.0
.LBB70_99:
	v_add_u32_e32 v0, s8, v28
	v_mul_lo_u32 v0, v0, s27
	v_add_u32_e32 v0, s34, v0
	v_cvt_f32_f16_sdwa v7, v43 dst_sel:DWORD dst_unused:UNUSED_PAD src0_sel:WORD_1
	v_cvt_f32_f16_e32 v6, v43
	v_cvt_f32_f16_sdwa v9, v42 dst_sel:DWORD dst_unused:UNUSED_PAD src0_sel:WORD_1
	v_cvt_f32_f16_e32 v8, v42
	v_mul_lo_u32 v0, s2, v0
	v_add_u32_e32 v0, s3, v0
	v_lshl_add_u32 v10, v0, 8, v29
	v_mov_b32_e32 v11, 0
	v_lshl_add_u64 v[12:13], v[10:11], 2, s[20:21]
	v_pk_mul_f32 v[6:7], v[2:3], v[6:7] op_sel_hi:[0,1]
	v_pk_mul_f32 v[8:9], v[2:3], v[8:9] op_sel_hi:[0,1]
	global_store_dwordx4 v[12:13], v[6:9], off
	v_add_u32_e32 v10, 0x80, v10
	v_lshl_add_u64 v[10:11], v[10:11], 2, s[20:21]
	v_cvt_f32_f16_sdwa v7, v41 dst_sel:DWORD dst_unused:UNUSED_PAD src0_sel:WORD_1
	v_cvt_f32_f16_e32 v6, v41
	v_cvt_f32_f16_sdwa v9, v44 dst_sel:DWORD dst_unused:UNUSED_PAD src0_sel:WORD_1
	v_cvt_f32_f16_e32 v8, v44
	v_pk_mul_f32 v[6:7], v[2:3], v[6:7] op_sel_hi:[0,1]
	v_pk_mul_f32 v[8:9], v[2:3], v[8:9] op_sel_hi:[0,1]
	global_store_dwordx4 v[10:11], v[6:9], off
	s_and_b64 exec, exec, s[4:5]
	s_cbranch_execz .LBB70_101
; %bb.100:
	v_ashrrev_i32_e32 v1, 31, v0
	v_lshl_add_u64 v[0:1], v[0:1], 3, s[22:23]
	v_mov_b32_e32 v4, v3
	global_store_dwordx2 v[0:1], v[4:5], off
.LBB70_101:
	s_endpgm
	.section	.rodata,"a",@progbits
	.p2align	6, 0x0
	.amdhsa_kernel _ZL15flash_attn_tileILi256ELi256ELi32ELi1ELb1EEvPKcS1_S1_S1_S1_PKiPfP15HIP_vector_typeIfLj2EEffffjfiS5_IjLj3EEiiiiiiiiiiiliiliiiiil
		.amdhsa_group_segment_fixed_size 27136
		.amdhsa_private_segment_fixed_size 32
		.amdhsa_kernarg_size 464
		.amdhsa_user_sgpr_count 2
		.amdhsa_user_sgpr_dispatch_ptr 0
		.amdhsa_user_sgpr_queue_ptr 0
		.amdhsa_user_sgpr_kernarg_segment_ptr 1
		.amdhsa_user_sgpr_dispatch_id 0
		.amdhsa_user_sgpr_kernarg_preload_length 0
		.amdhsa_user_sgpr_kernarg_preload_offset 0
		.amdhsa_user_sgpr_private_segment_size 0
		.amdhsa_uses_dynamic_stack 0
		.amdhsa_enable_private_segment 1
		.amdhsa_system_sgpr_workgroup_id_x 1
		.amdhsa_system_sgpr_workgroup_id_y 1
		.amdhsa_system_sgpr_workgroup_id_z 1
		.amdhsa_system_sgpr_workgroup_info 0
		.amdhsa_system_vgpr_workitem_id 1
		.amdhsa_next_free_vgpr 115
		.amdhsa_next_free_sgpr 91
		.amdhsa_accum_offset 116
		.amdhsa_reserve_vcc 1
		.amdhsa_float_round_mode_32 0
		.amdhsa_float_round_mode_16_64 0
		.amdhsa_float_denorm_mode_32 3
		.amdhsa_float_denorm_mode_16_64 3
		.amdhsa_dx10_clamp 1
		.amdhsa_ieee_mode 1
		.amdhsa_fp16_overflow 0
		.amdhsa_tg_split 0
		.amdhsa_exception_fp_ieee_invalid_op 0
		.amdhsa_exception_fp_denorm_src 0
		.amdhsa_exception_fp_ieee_div_zero 0
		.amdhsa_exception_fp_ieee_overflow 0
		.amdhsa_exception_fp_ieee_underflow 0
		.amdhsa_exception_fp_ieee_inexact 0
		.amdhsa_exception_int_div_zero 0
	.end_amdhsa_kernel
	.section	.text._ZL15flash_attn_tileILi256ELi256ELi32ELi1ELb1EEvPKcS1_S1_S1_S1_PKiPfP15HIP_vector_typeIfLj2EEffffjfiS5_IjLj3EEiiiiiiiiiiiliiliiiiil,"axG",@progbits,_ZL15flash_attn_tileILi256ELi256ELi32ELi1ELb1EEvPKcS1_S1_S1_S1_PKiPfP15HIP_vector_typeIfLj2EEffffjfiS5_IjLj3EEiiiiiiiiiiiliiliiiiil,comdat
.Lfunc_end70:
	.size	_ZL15flash_attn_tileILi256ELi256ELi32ELi1ELb1EEvPKcS1_S1_S1_S1_PKiPfP15HIP_vector_typeIfLj2EEffffjfiS5_IjLj3EEiiiiiiiiiiiliiliiiiil, .Lfunc_end70-_ZL15flash_attn_tileILi256ELi256ELi32ELi1ELb1EEvPKcS1_S1_S1_S1_PKiPfP15HIP_vector_typeIfLj2EEffffjfiS5_IjLj3EEiiiiiiiiiiiliiliiiiil
                                        ; -- End function
	.set _ZL15flash_attn_tileILi256ELi256ELi32ELi1ELb1EEvPKcS1_S1_S1_S1_PKiPfP15HIP_vector_typeIfLj2EEffffjfiS5_IjLj3EEiiiiiiiiiiiliiliiiiil.num_vgpr, 115
	.set _ZL15flash_attn_tileILi256ELi256ELi32ELi1ELb1EEvPKcS1_S1_S1_S1_PKiPfP15HIP_vector_typeIfLj2EEffffjfiS5_IjLj3EEiiiiiiiiiiiliiliiiiil.num_agpr, 0
	.set _ZL15flash_attn_tileILi256ELi256ELi32ELi1ELb1EEvPKcS1_S1_S1_S1_PKiPfP15HIP_vector_typeIfLj2EEffffjfiS5_IjLj3EEiiiiiiiiiiiliiliiiiil.numbered_sgpr, 48
	.set _ZL15flash_attn_tileILi256ELi256ELi32ELi1ELb1EEvPKcS1_S1_S1_S1_PKiPfP15HIP_vector_typeIfLj2EEffffjfiS5_IjLj3EEiiiiiiiiiiiliiliiiiil.num_named_barrier, 0
	.set _ZL15flash_attn_tileILi256ELi256ELi32ELi1ELb1EEvPKcS1_S1_S1_S1_PKiPfP15HIP_vector_typeIfLj2EEffffjfiS5_IjLj3EEiiiiiiiiiiiliiliiiiil.private_seg_size, 32
	.set _ZL15flash_attn_tileILi256ELi256ELi32ELi1ELb1EEvPKcS1_S1_S1_S1_PKiPfP15HIP_vector_typeIfLj2EEffffjfiS5_IjLj3EEiiiiiiiiiiiliiliiiiil.uses_vcc, 1
	.set _ZL15flash_attn_tileILi256ELi256ELi32ELi1ELb1EEvPKcS1_S1_S1_S1_PKiPfP15HIP_vector_typeIfLj2EEffffjfiS5_IjLj3EEiiiiiiiiiiiliiliiiiil.uses_flat_scratch, 0
	.set _ZL15flash_attn_tileILi256ELi256ELi32ELi1ELb1EEvPKcS1_S1_S1_S1_PKiPfP15HIP_vector_typeIfLj2EEffffjfiS5_IjLj3EEiiiiiiiiiiiliiliiiiil.has_dyn_sized_stack, 0
	.set _ZL15flash_attn_tileILi256ELi256ELi32ELi1ELb1EEvPKcS1_S1_S1_S1_PKiPfP15HIP_vector_typeIfLj2EEffffjfiS5_IjLj3EEiiiiiiiiiiiliiliiiiil.has_recursion, 0
	.set _ZL15flash_attn_tileILi256ELi256ELi32ELi1ELb1EEvPKcS1_S1_S1_S1_PKiPfP15HIP_vector_typeIfLj2EEffffjfiS5_IjLj3EEiiiiiiiiiiiliiliiiiil.has_indirect_call, 0
	.section	.AMDGPU.csdata,"",@progbits
; Kernel info:
; codeLenInByte = 47188
; TotalNumSgprs: 54
; NumVgprs: 115
; NumAgprs: 0
; TotalNumVgprs: 115
; ScratchSize: 32
; MemoryBound: 0
; FloatMode: 240
; IeeeMode: 1
; LDSByteSize: 27136 bytes/workgroup (compile time only)
; SGPRBlocks: 12
; VGPRBlocks: 14
; NumSGPRsForWavesPerEU: 97
; NumVGPRsForWavesPerEU: 115
; AccumOffset: 116
; Occupancy: 4
; WaveLimiterHint : 1
; COMPUTE_PGM_RSRC2:SCRATCH_EN: 1
; COMPUTE_PGM_RSRC2:USER_SGPR: 2
; COMPUTE_PGM_RSRC2:TRAP_HANDLER: 0
; COMPUTE_PGM_RSRC2:TGID_X_EN: 1
; COMPUTE_PGM_RSRC2:TGID_Y_EN: 1
; COMPUTE_PGM_RSRC2:TGID_Z_EN: 1
; COMPUTE_PGM_RSRC2:TIDIG_COMP_CNT: 1
; COMPUTE_PGM_RSRC3_GFX90A:ACCUM_OFFSET: 28
; COMPUTE_PGM_RSRC3_GFX90A:TG_SPLIT: 0
	.section	.text._ZL15flash_attn_tileILi256ELi256ELi16ELi1ELb1EEvPKcS1_S1_S1_S1_PKiPfP15HIP_vector_typeIfLj2EEffffjfiS5_IjLj3EEiiiiiiiiiiiliiliiiiil,"axG",@progbits,_ZL15flash_attn_tileILi256ELi256ELi16ELi1ELb1EEvPKcS1_S1_S1_S1_PKiPfP15HIP_vector_typeIfLj2EEffffjfiS5_IjLj3EEiiiiiiiiiiiliiliiiiil,comdat
	.globl	_ZL15flash_attn_tileILi256ELi256ELi16ELi1ELb1EEvPKcS1_S1_S1_S1_PKiPfP15HIP_vector_typeIfLj2EEffffjfiS5_IjLj3EEiiiiiiiiiiiliiliiiiil ; -- Begin function _ZL15flash_attn_tileILi256ELi256ELi16ELi1ELb1EEvPKcS1_S1_S1_S1_PKiPfP15HIP_vector_typeIfLj2EEffffjfiS5_IjLj3EEiiiiiiiiiiiliiliiiiil
	.p2align	8
	.type	_ZL15flash_attn_tileILi256ELi256ELi16ELi1ELb1EEvPKcS1_S1_S1_S1_PKiPfP15HIP_vector_typeIfLj2EEffffjfiS5_IjLj3EEiiiiiiiiiiiliiliiiiil,@function
_ZL15flash_attn_tileILi256ELi256ELi16ELi1ELb1EEvPKcS1_S1_S1_S1_PKiPfP15HIP_vector_typeIfLj2EEffffjfiS5_IjLj3EEiiiiiiiiiiiliiliiiiil: ; @_ZL15flash_attn_tileILi256ELi256ELi16ELi1ELb1EEvPKcS1_S1_S1_S1_PKiPfP15HIP_vector_typeIfLj2EEffffjfiS5_IjLj3EEiiiiiiiiiiiliiliiiiil
; %bb.0:
	s_load_dwordx4 s[24:27], s[0:1], 0x5c
	s_load_dwordx2 s[38:39], s[0:1], 0x80
	s_load_dwordx2 s[40:41], s[0:1], 0xb8
	s_mov_b64 s[36:37], 0
	s_waitcnt lgkmcnt(0)
	v_cvt_f32_u32_e32 v1, s27
	s_sub_i32 s5, 0, s27
	v_rcp_iflag_f32_e32 v1, v1
	s_nop 0
	v_mul_f32_e32 v1, 0x4f7ffffe, v1
	v_cvt_u32_f32_e32 v1, v1
	s_nop 0
	v_readfirstlane_b32 s6, v1
	s_mul_i32 s5, s5, s6
	s_mul_hi_u32 s5, s6, s5
	s_add_i32 s6, s6, s5
	s_mul_hi_u32 s5, s4, s6
	s_mul_i32 s6, s5, s27
	s_sub_i32 s6, s4, s6
	s_add_i32 s7, s5, 1
	s_sub_i32 s8, s6, s27
	s_cmp_ge_u32 s6, s27
	s_cselect_b32 s5, s7, s5
	s_cselect_b32 s6, s8, s6
	s_add_i32 s7, s5, 1
	s_cmp_ge_u32 s6, s27
	s_cselect_b32 s33, s7, s5
	s_abs_i32 s5, s39
	v_cvt_f32_u32_e32 v1, s5
	s_mul_i32 s8, s33, s27
	s_sub_i32 s9, 0, s5
	s_sub_i32 s34, s4, s8
	v_rcp_iflag_f32_e32 v1, v1
	s_abs_i32 s7, s27
	s_xor_b32 s6, s27, s39
	s_ashr_i32 s6, s6, 31
	v_mul_f32_e32 v1, 0x4f7ffffe, v1
	v_cvt_u32_f32_e32 v1, v1
	s_nop 0
	v_readfirstlane_b32 s4, v1
	s_mul_i32 s9, s9, s4
	s_mul_hi_u32 s8, s4, s9
	s_add_i32 s4, s4, s8
	s_mul_hi_u32 s4, s7, s4
	s_mul_i32 s8, s4, s5
	s_sub_i32 s7, s7, s8
	s_add_i32 s9, s4, 1
	s_sub_i32 s8, s7, s5
	s_cmp_ge_u32 s7, s5
	s_cselect_b32 s4, s9, s4
	s_cselect_b32 s7, s8, s7
	s_add_i32 s8, s4, 1
	s_cmp_ge_u32 s7, s5
	s_cselect_b32 s4, s8, s4
	s_xor_b32 s4, s4, s6
	s_sub_i32 s43, s4, s6
	s_abs_i32 s39, s43
	v_cvt_f32_u32_e32 v1, s39
	s_load_dwordx16 s[8:23], s[0:1], 0x0
	s_sub_i32 s4, 0, s39
	s_abs_i32 s42, s34
	v_rcp_iflag_f32_e32 v1, v1
	s_nop 0
	v_mul_f32_e32 v1, 0x4f7ffffe, v1
	v_cvt_u32_f32_e32 v1, v1
	s_nop 0
	v_readfirstlane_b32 s5, v1
	s_mul_i32 s4, s4, s5
	s_mul_hi_u32 s4, s5, s4
	s_add_i32 s4, s5, s4
	s_waitcnt lgkmcnt(0)
	s_cmp_eq_u64 s[14:15], 0
	s_cbranch_scc1 .LBB71_2
; %bb.1:
	s_abs_i32 s5, s40
	v_cvt_f32_u32_e32 v1, s5
	s_sub_i32 s30, 0, s5
	s_abs_i32 s29, s33
	s_ashr_i32 s28, s33, 31
	v_rcp_iflag_f32_e32 v1, v1
	s_load_dwordx2 s[6:7], s[0:1], 0xc8
	v_mul_f32_e32 v1, 0x4f7ffffe, v1
	v_cvt_u32_f32_e32 v1, v1
	s_nop 0
	v_readfirstlane_b32 s31, v1
	s_mul_i32 s30, s30, s31
	s_mul_hi_u32 s30, s31, s30
	s_add_i32 s31, s31, s30
	s_mul_hi_u32 s30, s29, s31
	s_mul_i32 s30, s30, s5
	s_sub_i32 s29, s29, s30
	s_sub_i32 s30, s29, s5
	s_cmp_ge_u32 s29, s5
	s_cselect_b32 s29, s30, s29
	s_sub_i32 s30, s29, s5
	s_cmp_ge_u32 s29, s5
	s_cselect_b32 s5, s30, s29
	s_xor_b32 s5, s5, s28
	s_sub_i32 s5, s5, s28
	s_ashr_i32 s28, s5, 31
	s_waitcnt lgkmcnt(0)
	s_mul_hi_u32 s29, s6, s5
	s_mul_i32 s28, s6, s28
	s_mul_i32 s7, s7, s5
	s_add_i32 s28, s29, s28
	s_add_i32 s28, s28, s7
	s_mul_i32 s5, s6, s5
	s_add_u32 s36, s14, s5
	s_addc_u32 s37, s15, s28
.LBB71_2:
	s_load_dwordx4 s[28:31], s[0:1], 0x40
	s_load_dwordx2 s[14:15], s[0:1], 0x50
	s_mul_hi_u32 s40, s42, s4
	v_mov_b32_e32 v13, 1.0
	s_waitcnt lgkmcnt(0)
	v_cmp_le_f32_e64 s[4:5], s29, 0
	s_and_b64 vcc, exec, s[4:5]
	s_cbranch_vccnz .LBB71_4
; %bb.3:
	v_mov_b32_e32 v1, s14
	v_sub_co_u32_e32 v1, vcc, s34, v1
	v_mov_b32_e32 v2, s31
	v_mov_b32_e32 v3, s30
	s_add_i32 s4, s34, 1
	v_lshlrev_b32_e32 v1, 1, v1
	v_cndmask_b32_e32 v2, v2, v3, vcc
	v_or_b32_e32 v1, 1, v1
	v_mov_b32_e32 v3, s4
	v_cndmask_b32_e32 v1, v1, v3, vcc
	v_cvt_f32_i32_e32 v1, v1
	v_cmp_neq_f32_e32 vcc, 1.0, v2
	s_mov_b32 s4, 0x3f2aaaab
	s_movk_i32 s6, 0x204
	v_cndmask_b32_e32 v1, 1.0, v1, vcc
	v_cmp_neq_f32_e32 vcc, 0, v1
	s_mov_b32 s5, 0x42b17218
	s_mov_b32 s7, 0x3fb8aa3b
	v_cndmask_b32_e32 v18, 1.0, v2, vcc
	v_frexp_mant_f32_e64 v2, |v18|
	v_cmp_gt_f32_e32 vcc, s4, v2
	s_mov_b32 s4, 0x3f317218
	s_brev_b32 s14, -2
	v_cndmask_b32_e64 v3, 1.0, 2.0, vcc
	v_mul_f32_e32 v2, v2, v3
	v_add_f32_e32 v5, 1.0, v2
	v_rcp_f32_e32 v10, v5
	v_add_f32_e32 v3, -1.0, v5
	v_sub_f32_e32 v7, v2, v3
	v_add_f32_e32 v3, -1.0, v2
	v_mul_f32_e32 v11, v3, v10
	v_mul_f32_e32 v4, v5, v11
	v_fma_f32 v6, v11, v5, -v4
	v_fmac_f32_e32 v6, v11, v7
	v_add_f32_e32 v2, v4, v6
	v_sub_f32_e32 v5, v3, v2
	v_pk_add_f32 v[8:9], v[2:3], v[4:5] neg_lo:[0,1] neg_hi:[0,1]
	v_mov_b32_e32 v7, v2
	v_pk_add_f32 v[2:3], v[8:9], v[6:7] neg_lo:[0,1] neg_hi:[0,1]
	v_mov_b32_e32 v6, 0x3e91f4c4
	v_add_f32_e32 v2, v2, v3
	v_add_f32_e32 v2, v5, v2
	v_mul_f32_e32 v3, v10, v2
	v_add_f32_e32 v2, v11, v3
	v_sub_f32_e32 v4, v2, v11
	v_sub_f32_e32 v12, v3, v4
	v_mul_f32_e32 v3, v2, v2
	v_fma_f32 v5, v2, v2, -v3
	v_add_f32_e32 v4, v12, v12
	v_fmac_f32_e32 v5, v2, v4
	v_add_f32_e32 v4, v3, v5
	v_fmac_f32_e32 v6, 0x3e76c4e1, v4
	v_fmaak_f32 v6, v4, v6, 0x3ecccdef
	v_sub_f32_e32 v3, v4, v3
	v_sub_f32_e32 v13, v5, v3
	v_mul_f32_e32 v3, v4, v6
	v_fma_f32 v5, v4, v6, -v3
	v_fmac_f32_e32 v5, v13, v6
	v_add_f32_e32 v6, v3, v5
	v_add_f32_e32 v7, 0x3f2aaaaa, v6
	v_sub_f32_e32 v3, v6, v3
	v_sub_f32_e32 v3, v5, v3
	v_add_f32_e32 v5, 0xbf2aaaaa, v7
	v_add_f32_e32 v3, 0x31739010, v3
	v_sub_f32_e32 v5, v6, v5
	v_pk_mul_f32 v[8:9], v[2:3], v[4:5]
	v_pk_add_f32 v[10:11], v[2:3], v[4:5]
	v_fma_f32 v6, v4, v2, -v8
	v_fmac_f32_e32 v6, v4, v12
	v_mov_b32_e32 v9, v11
	v_fmac_f32_e32 v6, v13, v2
	v_pk_add_f32 v[4:5], v[8:9], v[6:7]
	v_ldexp_f32 v14, v12, 1
	v_sub_f32_e32 v3, v4, v8
	v_sub_f32_e32 v3, v6, v3
	;; [unrolled: 1-line block ×3, first 2 shown]
	v_add_f32_e32 v9, v11, v6
	v_pk_mul_f32 v[6:7], v[4:5], v[4:5] op_sel:[0,1] op_sel_hi:[1,0]
	v_cvt_f64_f32_e64 v[10:11], |v18|
	v_frexp_exp_i32_f64_e32 v7, v[10:11]
	v_subbrev_co_u32_e32 v7, vcc, 0, v7, vcc
	v_cvt_f32_i32_e32 v7, v7
	v_fma_f32 v8, v4, v5, -v6
	v_fmac_f32_e32 v8, v4, v9
	v_fmac_f32_e32 v8, v3, v5
	v_mul_f32_e32 v4, 0x3f317218, v7
	v_fma_f32 v3, v7, s4, -v4
	v_fmamk_f32 v10, v7, 0xb102e308, v3
	v_ldexp_f32 v11, v2, 1
	v_add_f32_e32 v5, v6, v8
	v_pk_add_f32 v[2:3], v[4:5], v[10:11]
	v_mov_b32_e32 v12, v5
	v_mov_b32_e32 v13, v3
	;; [unrolled: 1-line block ×3, first 2 shown]
	v_pk_add_f32 v[6:7], v[12:13], v[6:7] neg_lo:[0,1] neg_hi:[0,1]
	v_mov_b32_e32 v9, v5
	v_pk_add_f32 v[6:7], v[8:9], v[6:7] neg_lo:[0,1] neg_hi:[0,1]
	v_mov_b32_e32 v11, v2
	v_add_f32_e32 v5, v14, v6
	v_add_f32_e32 v5, v5, v7
	v_pk_add_f32 v[6:7], v[2:3], v[4:5] neg_lo:[0,1] neg_hi:[0,1]
	v_pk_add_f32 v[8:9], v[2:3], v[4:5]
	v_mov_b32_e32 v16, v3
	v_mov_b32_e32 v7, v9
	v_pk_add_f32 v[12:13], v[10:11], v[6:7] neg_lo:[0,1] neg_hi:[0,1]
	v_pk_add_f32 v[6:7], v[10:11], v[6:7]
	v_mov_b32_e32 v4, v5
	v_pk_add_f32 v[10:11], v[6:7], v[2:3] op_sel:[1,0] op_sel_hi:[0,1] neg_lo:[0,1] neg_hi:[0,1]
	v_pk_add_f32 v[14:15], v[8:9], v[10:11] op_sel_hi:[1,0] neg_lo:[0,1] neg_hi:[0,1]
	v_mov_b32_e32 v8, v9
	v_mov_b32_e32 v9, v7
	;; [unrolled: 1-line block ×3, first 2 shown]
	v_pk_add_f32 v[8:9], v[8:9], v[16:17] neg_lo:[0,1] neg_hi:[0,1]
	v_mov_b32_e32 v5, v2
	v_pk_add_f32 v[2:3], v[4:5], v[8:9] neg_lo:[0,1] neg_hi:[0,1]
	v_mov_b32_e32 v14, v12
	v_pk_add_f32 v[4:5], v[14:15], v[2:3]
	v_mov_b32_e32 v13, v7
	v_pk_add_f32 v[8:9], v[4:5], v[4:5] op_sel:[0,1] op_sel_hi:[1,0]
	s_mov_b32 s4, 0x7f800000
	v_pk_add_f32 v[6:7], v[6:7], v[8:9] op_sel:[1,0] op_sel_hi:[0,1]
	v_mov_b32_e32 v5, v6
	v_pk_add_f32 v[10:11], v[4:5], v[12:13] neg_lo:[0,1] neg_hi:[0,1]
	v_mov_b32_e32 v3, v8
	v_sub_f32_e32 v4, v4, v10
	v_pk_add_f32 v[2:3], v[2:3], v[10:11] neg_lo:[0,1] neg_hi:[0,1]
	v_sub_f32_e32 v4, v12, v4
	v_add_f32_e32 v2, v2, v4
	v_add_f32_e32 v2, v2, v3
	;; [unrolled: 1-line block ×3, first 2 shown]
	v_sub_f32_e32 v4, v3, v6
	v_sub_f32_e32 v2, v2, v4
	v_mul_f32_e32 v4, v1, v3
	v_fma_f32 v3, v1, v3, -v4
	v_fmac_f32_e32 v3, v1, v2
	v_add_f32_e32 v2, v4, v3
	v_cmp_class_f32_e64 vcc, v4, s6
	v_sub_f32_e32 v5, v2, v4
	v_sub_f32_e32 v3, v3, v5
	v_cndmask_b32_e32 v2, v2, v4, vcc
	v_mov_b32_e32 v4, 0x37000000
	v_cmp_eq_f32_e32 vcc, s5, v2
	v_cmp_class_f32_e64 s[30:31], v18, s6
	s_nop 0
	v_cndmask_b32_e32 v4, 0, v4, vcc
	v_sub_f32_e32 v5, v2, v4
	v_mul_f32_e32 v6, 0x3fb8aa3b, v5
	v_fma_f32 v7, v5, s7, -v6
	v_rndne_f32_e32 v8, v6
	v_fmamk_f32 v7, v5, 0x32a5705f, v7
	v_sub_f32_e32 v6, v6, v8
	v_add_f32_e32 v6, v6, v7
	v_exp_f32_e32 v6, v6
	v_cvt_i32_f32_e32 v7, v8
	v_cmp_neq_f32_e64 vcc, |v2|, s4
	s_mov_b32 s4, 0xc2ce8ed0
	s_nop 0
	v_cndmask_b32_e32 v2, 0, v3, vcc
	v_ldexp_f32 v3, v6, v7
	v_cmp_ngt_f32_e32 vcc, s4, v5
	v_add_f32_e32 v2, v4, v2
	v_mov_b32_e32 v4, 0x7f800000
	v_cndmask_b32_e32 v3, 0, v3, vcc
	v_cmp_nlt_f32_e32 vcc, s5, v5
	v_mov_b32_e32 v5, 0x7fc00000
	s_nop 0
	v_cndmask_b32_e32 v3, v4, v3, vcc
	v_fma_f32 v2, v3, v2, v3
	v_cmp_class_f32_e64 vcc, v3, s6
	v_cmp_gt_f32_e64 s[6:7], 0, v1
	s_nop 0
	v_cndmask_b32_e32 v2, v2, v3, vcc
	v_trunc_f32_e32 v3, v1
	v_cmp_eq_f32_e32 vcc, v3, v1
	v_mul_f32_e32 v3, 0.5, v1
	v_trunc_f32_e32 v6, v3
	v_cmp_neq_f32_e64 s[4:5], v6, v3
	s_and_b64 s[4:5], vcc, s[4:5]
	s_nop 0
	v_cndmask_b32_e64 v3, 1.0, v18, s[4:5]
	v_bfi_b32 v2, s14, v2, v3
	v_cndmask_b32_e32 v3, v5, v2, vcc
	v_cmp_gt_f32_e32 vcc, 0, v18
	s_nop 1
	v_cndmask_b32_e32 v2, v2, v3, vcc
	v_cmp_eq_f32_e32 vcc, 0, v18
	s_xor_b64 s[6:7], s[6:7], vcc
	v_cndmask_b32_e64 v1, v4, 0, s[6:7]
	v_cndmask_b32_e64 v3, 0, v18, s[4:5]
	v_bfi_b32 v1, s14, v1, v3
	s_or_b64 vcc, vcc, s[30:31]
	v_cndmask_b32_e32 v1, v2, v1, vcc
	v_cmp_o_f32_e32 vcc, v18, v18
	s_nop 1
	v_cndmask_b32_e32 v13, v5, v1, vcc
.LBB71_4:
	s_load_dwordx4 s[44:47], s[0:1], 0x70
	v_bfe_u32 v38, v0, 10, 10
	s_lshl_b32 s14, s2, 4
	v_lshlrev_b32_e32 v51, 1, v38
	s_ashr_i32 s35, s34, 31
	s_waitcnt lgkmcnt(0)
	s_mul_i32 s5, s33, s46
	s_ashr_i32 s4, s43, 31
	s_ashr_i32 s7, s5, 31
	v_add_u32_e32 v53, s14, v51
	s_mul_i32 s6, s34, s45
	s_add_u32 s5, s8, s5
	v_and_b32_e32 v52, 0x3ff, v0
	v_mul_hi_u32 v0, v53, s24
	s_addc_u32 s7, s9, s7
	s_ashr_i32 s8, s6, 31
	v_add_u32_e32 v0, v53, v0
	s_add_u32 s6, s5, s6
	v_lshrrev_b32_e32 v0, s25, v0
	s_addc_u32 s7, s7, s8
	s_ashr_i32 s45, s44, 31
	v_mul_lo_u32 v0, v0, s26
	s_lshr_b64 s[8:9], s[44:45], 2
	v_mov_b32_e32 v41, 0
	v_lshlrev_b32_e32 v40, 4, v52
	v_sub_u32_e32 v30, v53, v0
	v_lshl_add_u64 v[8:9], s[6:7], 0, v[40:41]
	v_mad_u64_u32 v[0:1], s[6:7], s8, v30, 0
	v_mov_b32_e32 v2, v1
	s_lshr_b32 s5, s45, 2
	v_mad_u64_u32 v[2:3], s[6:7], s5, v30, v[2:3]
	v_mov_b32_e32 v1, v2
	v_or_b32_e32 v48, 1, v51
	v_lshl_add_u64 v[10:11], v[0:1], 2, v[8:9]
	v_add_u32_e32 v50, s14, v48
	global_load_dwordx4 v[0:3], v[10:11], off
	global_load_dwordx4 v[4:7], v[10:11], off offset:512
	v_mul_hi_u32 v10, v50, s24
	v_add_u32_e32 v10, v50, v10
	v_lshrrev_b32_e32 v10, s25, v10
	v_mul_lo_u32 v10, v10, s26
	v_sub_u32_e32 v14, v50, v10
	v_mad_u64_u32 v[10:11], s[6:7], s8, v14, 0
	v_mov_b32_e32 v12, v11
	v_mad_u64_u32 v[14:15], s[6:7], s5, v14, v[12:13]
	v_mov_b32_e32 v11, v14
	v_lshl_add_u64 v[18:19], v[10:11], 2, v[8:9]
	global_load_dwordx4 v[8:11], v[18:19], off
	global_load_dwordx4 v[14:17], v[18:19], off offset:512
	v_lshlrev_b32_e32 v54, 3, v52
	v_lshlrev_b32_e32 v31, 10, v38
	v_add_u32_e32 v12, 0x2200, v54
	v_lshlrev_b32_e32 v49, 2, v52
	v_add_u32_e32 v18, v12, v31
	v_lshl_add_u32 v12, v48, 9, v12
	s_cmp_eq_u64 s[18:19], 0
	s_waitcnt vmcnt(3)
	v_fma_mixlo_f16 v0, s28, v0, 0
	v_fma_mixlo_f16 v1, s28, v1, 0
	;; [unrolled: 1-line block ×4, first 2 shown]
	s_waitcnt vmcnt(2)
	v_fma_mixlo_f16 v4, s28, v4, 0
	v_fma_mixlo_f16 v5, s28, v5, 0
	;; [unrolled: 1-line block ×4, first 2 shown]
	v_lshlrev_b32_e32 v1, 16, v1
	v_and_b32_e32 v0, 0xffff, v0
	v_lshlrev_b32_e32 v3, 16, v3
	v_and_b32_e32 v2, 0xffff, v2
	v_lshlrev_b32_e32 v5, 16, v5
	s_waitcnt vmcnt(1)
	v_fma_mixlo_f16 v8, s28, v8, 0
	v_fma_mixlo_f16 v9, s28, v9, 0
	s_waitcnt vmcnt(0)
	v_fma_mixlo_f16 v14, s28, v14, 0
	v_fma_mixlo_f16 v15, s28, v15, 0
	;; [unrolled: 1-line block ×6, first 2 shown]
	v_and_b32_e32 v4, 0xffff, v4
	v_lshlrev_b32_e32 v7, 16, v7
	v_and_b32_e32 v6, 0xffff, v6
	v_lshlrev_b32_e32 v9, 16, v9
	;; [unrolled: 2-line block ×5, first 2 shown]
	v_and_b32_e32 v16, 0xffff, v16
	v_or_b32_e32 v0, v1, v0
	v_or3_b32 v1, v3, v2, 0
	v_or_b32_e32 v2, v5, v4
	v_or3_b32 v3, v7, v6, 0
	v_or_b32_e32 v4, v9, v8
	v_or_b32_e32 v6, v15, v14
	v_or3_b32 v5, v11, v10, 0
	v_or3_b32 v7, v17, v16, 0
	;; [unrolled: 1-line block ×6, first 2 shown]
	ds_write2_b64 v18, v[0:1], v[2:3] offset1:32
	ds_write2_b64 v12, v[4:5], v[6:7] offset1:32
	s_waitcnt lgkmcnt(0)
	s_barrier
	s_cbranch_scc1 .LBB71_6
; %bb.5:
	s_load_dword s5, s[0:1], 0xd0
	s_mov_b32 s7, 0
	s_waitcnt lgkmcnt(0)
	s_mul_i32 s5, s5, s33
	s_add_i32 s6, s5, s2
	s_lshl_b64 s[6:7], s[6:7], 2
	s_add_u32 s6, s18, s6
	s_addc_u32 s7, s19, s7
	s_load_dword s38, s[6:7], 0x0
.LBB71_6:
	s_nop 0
	s_load_dwordx2 s[6:7], s[0:1], 0x8c
	s_load_dwordx4 s[44:47], s[0:1], 0x98
	s_load_dwordx2 s[8:9], s[0:1], 0xa8
	s_ashr_i32 s5, s33, 31
	s_ashr_i32 s19, s41, 1
	s_waitcnt lgkmcnt(0)
	s_ashr_i32 s28, s6, 2
	s_mul_hi_u32 s6, s44, s33
	s_mul_i32 s18, s44, s5
	s_add_i32 s6, s6, s18
	s_mul_i32 s18, s45, s33
	s_ashr_i32 s2, s46, 2
	s_add_i32 s6, s6, s18
	s_mul_i32 s18, s44, s33
	s_add_u32 s10, s10, s18
	s_addc_u32 s6, s11, s6
	s_mul_i32 s11, s40, s39
	s_sub_i32 s11, s42, s11
	s_xor_b32 s4, s35, s4
	s_add_i32 s18, s40, 1
	s_sub_i32 s29, s11, s39
	s_cmp_ge_u32 s11, s39
	s_cselect_b32 s18, s18, s40
	s_cselect_b32 s11, s29, s11
	s_add_i32 s29, s18, 1
	s_cmp_ge_u32 s11, s39
	s_cselect_b32 s11, s29, s18
	s_xor_b32 s11, s11, s4
	s_sub_i32 s4, s11, s4
	s_mul_i32 s7, s4, s7
	s_ashr_i32 s11, s7, 31
	s_add_u32 s29, s10, s7
	s_addc_u32 s30, s6, s11
	s_mul_hi_u32 s6, s8, s33
	s_mul_i32 s5, s8, s5
	s_add_i32 s5, s6, s5
	s_mul_i32 s6, s9, s33
	s_add_i32 s5, s5, s6
	s_mul_i32 s6, s8, s33
	s_add_u32 s6, s12, s6
	s_mul_i32 s4, s4, s47
	s_addc_u32 s5, s13, s5
	s_ashr_i32 s7, s4, 31
	s_add_u32 s12, s6, s4
	s_addc_u32 s13, s5, s7
	s_lshl_b32 s18, s3, 5
	s_sub_i32 s31, s38, 32
	s_cmp_ge_i32 s18, s31
	v_lshrrev_b32_e32 v35, 4, v52
	v_and_b32_e32 v12, 60, v49
	v_lshlrev_b32_e32 v42, 2, v49
	v_mul_lo_u32 v8, s2, v38
	v_mbcnt_lo_u32_b32 v34, -1, 0
	s_cbranch_scc1 .LBB71_24
; %bb.7:
	v_add_u32_e32 v0, v35, v51
	v_lshlrev_b32_e32 v1, 2, v12
	s_movk_i32 s4, 0x110
	v_mad_u32_u24 v36, v0, s4, v1
	v_mul_lo_u32 v14, s28, v0
	v_or_b32_e32 v0, 1, v53
	v_mul_hi_u32 v1, s24, v0
	v_add_u32_e32 v1, v0, v1
	v_lshrrev_b32_e32 v1, s25, v1
	v_mul_lo_u32 v1, v1, s26
	v_sub_u32_e32 v0, v0, v1
	v_mul_lo_u32 v46, v0, s19
	v_mov_b32_e32 v0, 0x4200
	s_cmp_lg_u64 s[36:37], 0
	v_lshl_add_u32 v47, v38, 7, v0
	v_lshl_add_u32 v0, s2, 3, v8
	v_mov_b32_e32 v43, 0
	v_lshl_add_u32 v16, s28, 4, v14
	s_cselect_b64 s[6:7], -1, 0
	v_lshl_add_u32 v55, v38, 9, v42
	v_ashrrev_i32_e32 v9, 31, v8
	v_ashrrev_i32_e32 v1, 31, v0
	s_add_u32 s8, s0, 0xd0
	v_ashrrev_i32_e32 v15, 31, v14
	v_add_u32_e32 v37, 0x1100, v36
	v_ashrrev_i32_e32 v17, 31, v16
	v_mul_u32_u24_e32 v39, 0x110, v52
	v_add_u32_e32 v44, 0x2200, v31
	v_mul_lo_u32 v45, v30, s19
	v_add_u32_e32 v56, 0x1000, v55
	s_addc_u32 s9, s1, 0
	v_mov_b32_e32 v5, 0xfeffffff
	v_lshlrev_b32_e32 v18, 2, v12
	v_mov_b32_e32 v19, v43
	s_mov_b32 s39, 0x3f200000
	s_mov_b32 s40, 0x3fb8aa3b
	;; [unrolled: 1-line block ×4, first 2 shown]
	v_mov_b32_e32 v57, 0x3ca908c9
	s_brev_b32 s43, -2
	s_mov_b32 s44, 0x10001
	v_lshlrev_b64 v[20:21], 2, v[8:9]
	v_lshlrev_b64 v[22:23], 2, v[0:1]
	v_mov_b32_e32 v9, 0x7f800000
	v_mbcnt_hi_u32_b32 v58, -1, v34
	v_mov_b32_e32 v25, v43
	v_mov_b32_e32 v24, v43
	;; [unrolled: 1-line block ×11, first 2 shown]
                                        ; implicit-def: $vgpr2
                                        ; implicit-def: $vgpr2
	;; [unrolled: 1-line block ×3, first 2 shown]
.LBB71_8:                               ; =>This Inner Loop Header: Depth=1
	s_mul_hi_i32 s5, s18, s28
	s_mul_i32 s4, s18, s28
	s_lshl_b64 s[4:5], s[4:5], 2
	s_add_u32 s4, s29, s4
	s_addc_u32 s5, s30, s5
	v_lshl_add_u64 v[0:1], v[14:15], 2, s[4:5]
	v_lshl_add_u64 v[0:1], v[0:1], 0, v[18:19]
	;; [unrolled: 1-line block ×4, first 2 shown]
	global_load_dwordx4 v[60:63], v[0:1], off
	global_load_dwordx4 v[64:67], v[2:3], off
	v_mov_b32_e32 v7, 0
	v_mov_b32_e32 v6, 0
	s_waitcnt vmcnt(1)
	ds_write_b128 v36, v[60:63]
	s_waitcnt vmcnt(0)
	ds_write_b128 v37, v[64:67]
	s_waitcnt lgkmcnt(0)
	s_barrier
	ds_read_b128 v[60:63], v39
	ds_read_b128 v[64:67], v44
	ds_read_b128 v[68:71], v44 offset:512
	s_waitcnt lgkmcnt(1)
	;;#ASMSTART
	v_dot2_f32_f16 v7, v60, v64, v7
	;;#ASMEND
	s_nop 0
	;;#ASMSTART
	v_dot2_f32_f16 v7, v61, v65, v7
	;;#ASMEND
	s_nop 0
	;;#ASMSTART
	v_dot2_f32_f16 v7, v62, v66, v7
	;;#ASMEND
	s_nop 0
	;;#ASMSTART
	v_dot2_f32_f16 v7, v63, v67, v7
	;;#ASMEND
	s_waitcnt lgkmcnt(0)
	;;#ASMSTART
	v_dot2_f32_f16 v6, v60, v68, v6
	;;#ASMEND
	s_nop 0
	;;#ASMSTART
	v_dot2_f32_f16 v6, v61, v69, v6
	;;#ASMEND
	s_nop 0
	;;#ASMSTART
	v_dot2_f32_f16 v6, v62, v70, v6
	;;#ASMEND
	s_nop 0
	;;#ASMSTART
	v_dot2_f32_f16 v6, v63, v71, v6
	;;#ASMEND
	ds_read_b128 v[60:63], v39 offset:16
	ds_read_b128 v[64:67], v44 offset:16
	ds_read_b128 v[68:71], v44 offset:528
	s_waitcnt lgkmcnt(1)
	;;#ASMSTART
	v_dot2_f32_f16 v7, v60, v64, v7
	;;#ASMEND
	s_nop 0
	;;#ASMSTART
	v_dot2_f32_f16 v7, v61, v65, v7
	;;#ASMEND
	s_nop 0
	;;#ASMSTART
	v_dot2_f32_f16 v7, v62, v66, v7
	;;#ASMEND
	s_nop 0
	;;#ASMSTART
	v_dot2_f32_f16 v7, v63, v67, v7
	;;#ASMEND
	s_waitcnt lgkmcnt(0)
	;;#ASMSTART
	v_dot2_f32_f16 v6, v60, v68, v6
	;;#ASMEND
	s_nop 0
	;;#ASMSTART
	v_dot2_f32_f16 v6, v61, v69, v6
	;;#ASMEND
	s_nop 0
	;;#ASMSTART
	v_dot2_f32_f16 v6, v62, v70, v6
	;;#ASMEND
	s_nop 0
	;;#ASMSTART
	v_dot2_f32_f16 v6, v63, v71, v6
	;;#ASMEND
	ds_read_b128 v[60:63], v39 offset:32
	ds_read_b128 v[64:67], v44 offset:32
	;; [unrolled: 35-line block ×15, first 2 shown]
	ds_read_b128 v[68:71], v44 offset:752
	s_waitcnt lgkmcnt(1)
	;;#ASMSTART
	v_dot2_f32_f16 v7, v60, v64, v7
	;;#ASMEND
	s_nop 0
	;;#ASMSTART
	v_dot2_f32_f16 v7, v61, v65, v7
	;;#ASMEND
	s_nop 0
	;; [unrolled: 4-line block ×3, first 2 shown]
	;;#ASMSTART
	v_dot2_f32_f16 v7, v63, v67, v7
	;;#ASMEND
	s_waitcnt lgkmcnt(0)
	;;#ASMSTART
	v_dot2_f32_f16 v6, v60, v68, v6
	;;#ASMEND
	s_nop 0
	;;#ASMSTART
	v_dot2_f32_f16 v6, v61, v69, v6
	;;#ASMEND
	s_nop 0
	;; [unrolled: 4-line block ×3, first 2 shown]
	;;#ASMSTART
	v_dot2_f32_f16 v6, v63, v71, v6
	;;#ASMEND
	s_barrier
	global_load_dwordx4 v[60:63], v[0:1], off offset:256
	global_load_dwordx4 v[64:67], v[2:3], off offset:256
	s_waitcnt vmcnt(1)
	ds_write_b128 v36, v[60:63]
	s_waitcnt vmcnt(0)
	ds_write_b128 v37, v[64:67]
	s_waitcnt lgkmcnt(0)
	s_barrier
	ds_read_b128 v[0:3], v39
	ds_read_b128 v[60:63], v44 offset:256
	ds_read_b128 v[64:67], v44 offset:768
	s_waitcnt lgkmcnt(1)
	;;#ASMSTART
	v_dot2_f32_f16 v7, v0, v60, v7
	;;#ASMEND
	s_nop 0
	;;#ASMSTART
	v_dot2_f32_f16 v7, v1, v61, v7
	;;#ASMEND
	s_nop 0
	;;#ASMSTART
	v_dot2_f32_f16 v7, v2, v62, v7
	;;#ASMEND
	s_nop 0
	;;#ASMSTART
	v_dot2_f32_f16 v7, v3, v63, v7
	;;#ASMEND
	s_waitcnt lgkmcnt(0)
	;;#ASMSTART
	v_dot2_f32_f16 v6, v0, v64, v6
	;;#ASMEND
	s_nop 0
	;;#ASMSTART
	v_dot2_f32_f16 v6, v1, v65, v6
	;;#ASMEND
	s_nop 0
	;;#ASMSTART
	v_dot2_f32_f16 v6, v2, v66, v6
	;;#ASMEND
	s_nop 0
	;;#ASMSTART
	v_dot2_f32_f16 v6, v3, v67, v6
	;;#ASMEND
	ds_read_b128 v[0:3], v39 offset:16
	ds_read_b128 v[60:63], v44 offset:272
	ds_read_b128 v[64:67], v44 offset:784
	s_waitcnt lgkmcnt(1)
	;;#ASMSTART
	v_dot2_f32_f16 v7, v0, v60, v7
	;;#ASMEND
	s_nop 0
	;;#ASMSTART
	v_dot2_f32_f16 v7, v1, v61, v7
	;;#ASMEND
	s_nop 0
	;;#ASMSTART
	v_dot2_f32_f16 v7, v2, v62, v7
	;;#ASMEND
	s_nop 0
	;;#ASMSTART
	v_dot2_f32_f16 v7, v3, v63, v7
	;;#ASMEND
	s_waitcnt lgkmcnt(0)
	;;#ASMSTART
	v_dot2_f32_f16 v6, v0, v64, v6
	;;#ASMEND
	s_nop 0
	;;#ASMSTART
	v_dot2_f32_f16 v6, v1, v65, v6
	;;#ASMEND
	s_nop 0
	;;#ASMSTART
	v_dot2_f32_f16 v6, v2, v66, v6
	;;#ASMEND
	s_nop 0
	;;#ASMSTART
	v_dot2_f32_f16 v6, v3, v67, v6
	;;#ASMEND
	ds_read_b128 v[0:3], v39 offset:32
	;; [unrolled: 35-line block ×15, first 2 shown]
	ds_read_b128 v[60:63], v44 offset:496
	ds_read_b128 v[64:67], v44 offset:1008
	s_waitcnt lgkmcnt(1)
	;;#ASMSTART
	v_dot2_f32_f16 v7, v0, v60, v7
	;;#ASMEND
	s_nop 0
	;;#ASMSTART
	v_dot2_f32_f16 v7, v1, v61, v7
	;;#ASMEND
	s_nop 0
	;;#ASMSTART
	v_dot2_f32_f16 v7, v2, v62, v7
	;;#ASMEND
	s_nop 0
	;;#ASMSTART
	v_dot2_f32_f16 v7, v3, v63, v7
	;;#ASMEND
	s_waitcnt lgkmcnt(0)
	;;#ASMSTART
	v_dot2_f32_f16 v6, v0, v64, v6
	;;#ASMEND
	s_nop 0
	;;#ASMSTART
	v_dot2_f32_f16 v6, v1, v65, v6
	;;#ASMEND
	v_cmp_nlt_f32_e64 s[4:5], |v7|, s39
	;;#ASMSTART
	v_dot2_f32_f16 v6, v2, v66, v6
	;;#ASMEND
                                        ; implicit-def: $vgpr1
	s_nop 0
	;;#ASMSTART
	v_dot2_f32_f16 v6, v3, v67, v6
	;;#ASMEND
	s_and_saveexec_b64 s[10:11], s[4:5]
	s_xor_b64 s[4:5], exec, s[10:11]
	s_cbranch_execz .LBB71_10
; %bb.9:                                ;   in Loop: Header=BB71_8 Depth=1
	v_add_f32_e64 v0, |v7|, |v7|
	v_mul_f32_e32 v1, 0x3fb8aa3b, v0
	v_rndne_f32_e32 v2, v1
	v_sub_f32_e32 v3, v1, v2
	v_fma_f32 v1, v0, s40, -v1
	v_fmac_f32_e32 v1, 0x32a5705f, v0
	v_add_f32_e32 v1, v3, v1
	v_cvt_i32_f32_e32 v2, v2
	v_exp_f32_e32 v1, v1
	v_cmp_ngt_f32_e32 vcc, s41, v0
	v_ldexp_f32 v1, v1, v2
	s_nop 0
	v_cndmask_b32_e32 v1, 0, v1, vcc
	v_cmp_nlt_f32_e32 vcc, s42, v0
	s_nop 1
	v_cndmask_b32_e32 v0, v9, v1, vcc
	v_add_f32_e32 v0, 1.0, v0
	v_rcp_f32_e32 v0, v0
	s_nop 0
	v_fma_f32 v1, v0, -2.0, 1.0
.LBB71_10:                              ;   in Loop: Header=BB71_8 Depth=1
	s_andn2_saveexec_b64 s[4:5], s[4:5]
; %bb.11:                               ;   in Loop: Header=BB71_8 Depth=1
	v_mul_f32_e32 v0, v7, v7
	v_fmamk_f32 v1, v0, 0xbbbac73d, v57
	v_fmaak_f32 v1, v0, v1, 0xbd5c1c4e
	v_fmaak_f32 v1, v0, v1, 0x3e088382
	;; [unrolled: 1-line block ×3, first 2 shown]
	v_mul_f32_e64 v1, |v7|, v1
	v_fma_f32 v1, v0, v1, |v7|
; %bb.12:                               ;   in Loop: Header=BB71_8 Depth=1
	s_or_b64 exec, exec, s[4:5]
	v_cndmask_b32_e64 v0, 0, 1, s[6:7]
	v_cmp_ne_u32_e64 s[4:5], 1, v0
	s_andn2_b64 vcc, exec, s[6:7]
	v_add_u32_e32 v11, s18, v52
	s_cbranch_vccnz .LBB71_14
; %bb.13:                               ;   in Loop: Header=BB71_8 Depth=1
	v_add_u32_e32 v2, v11, v45
	v_ashrrev_i32_e32 v3, 31, v2
	v_lshl_add_u64 v[2:3], v[2:3], 1, s[36:37]
	global_load_ushort v0, v[2:3], off
	s_waitcnt vmcnt(0)
	v_cvt_f32_f16_e32 v0, v0
	v_mul_f32_e32 v0, v13, v0
	s_branch .LBB71_15
.LBB71_14:                              ;   in Loop: Header=BB71_8 Depth=1
	v_mov_b32_e32 v0, 0
.LBB71_15:                              ;   in Loop: Header=BB71_8 Depth=1
	v_and_b32_e32 v2, 0x60, v58
	v_add_u32_e32 v3, 32, v2
	v_xor_b32_e32 v2, 16, v58
	v_bfi_b32 v1, s43, v1, v7
	v_cmp_lt_i32_e32 vcc, v2, v3
	v_fmac_f32_e32 v0, s15, v1
	v_add_f32_e32 v1, 0x40051340, v0
	v_cndmask_b32_e32 v2, v58, v2, vcc
	v_lshlrev_b32_e32 v10, 2, v2
	v_max_f32_e32 v2, v5, v5
	v_max_f32_e32 v1, v2, v1
	ds_bpermute_b32 v2, v10, v1
	v_xor_b32_e32 v7, 8, v58
	v_cmp_lt_i32_e32 vcc, v7, v3
	v_cmp_nlt_f32_e64 s[10:11], |v6|, s39
                                        ; implicit-def: $vgpr62
	s_waitcnt lgkmcnt(0)
	v_max_f32_e32 v2, v2, v2
	v_cndmask_b32_e32 v7, v58, v7, vcc
	v_lshlrev_b32_e32 v60, 2, v7
	v_max_f32_e32 v1, v1, v2
	ds_bpermute_b32 v2, v60, v1
	v_xor_b32_e32 v7, 4, v58
	v_cmp_lt_i32_e32 vcc, v7, v3
	s_waitcnt lgkmcnt(0)
	v_max_f32_e32 v2, v2, v2
	v_cndmask_b32_e32 v7, v58, v7, vcc
	v_lshlrev_b32_e32 v7, 2, v7
	v_max_f32_e32 v1, v1, v2
	ds_bpermute_b32 v59, v7, v1
	v_xor_b32_e32 v2, 2, v58
	v_cmp_lt_i32_e32 vcc, v2, v3
	;; [unrolled: 8-line block ×3, first 2 shown]
	s_waitcnt lgkmcnt(0)
	v_max_f32_e32 v3, v61, v61
	v_cndmask_b32_e32 v1, v58, v1, vcc
	v_lshlrev_b32_e32 v1, 2, v1
	v_max_f32_e32 v3, v59, v3
	ds_bpermute_b32 v61, v1, v3
	s_and_saveexec_b64 s[46:47], s[10:11]
	s_xor_b64 s[10:11], exec, s[46:47]
	s_cbranch_execnz .LBB71_19
; %bb.16:                               ;   in Loop: Header=BB71_8 Depth=1
	s_andn2_saveexec_b64 s[10:11], s[10:11]
	s_cbranch_execnz .LBB71_20
.LBB71_17:                              ;   in Loop: Header=BB71_8 Depth=1
	s_or_b64 exec, exec, s[10:11]
	s_and_b64 vcc, exec, s[4:5]
	s_cbranch_vccnz .LBB71_21
.LBB71_18:                              ;   in Loop: Header=BB71_8 Depth=1
	v_add_u32_e32 v64, v11, v46
	v_ashrrev_i32_e32 v65, 31, v64
	v_lshl_add_u64 v[64:65], v[64:65], 1, s[36:37]
	global_load_ushort v11, v[64:65], off
	s_waitcnt vmcnt(0)
	v_cvt_f32_f16_e32 v11, v11
	v_mul_f32_e32 v59, v13, v11
	s_branch .LBB71_22
.LBB71_19:                              ;   in Loop: Header=BB71_8 Depth=1
	v_add_f32_e64 v59, |v6|, |v6|
	v_mul_f32_e32 v62, 0x3fb8aa3b, v59
	v_rndne_f32_e32 v63, v62
	v_sub_f32_e32 v64, v62, v63
	v_fma_f32 v62, v59, s40, -v62
	v_fmac_f32_e32 v62, 0x32a5705f, v59
	v_add_f32_e32 v62, v64, v62
	v_cvt_i32_f32_e32 v63, v63
	v_exp_f32_e32 v62, v62
	v_cmp_ngt_f32_e32 vcc, s41, v59
	v_ldexp_f32 v62, v62, v63
	s_nop 0
	v_cndmask_b32_e32 v62, 0, v62, vcc
	v_cmp_nlt_f32_e32 vcc, s42, v59
	s_nop 1
	v_cndmask_b32_e32 v59, v9, v62, vcc
	v_add_f32_e32 v59, 1.0, v59
	v_rcp_f32_e32 v59, v59
	s_nop 0
	v_fma_f32 v62, v59, -2.0, 1.0
	s_andn2_saveexec_b64 s[10:11], s[10:11]
	s_cbranch_execz .LBB71_17
.LBB71_20:                              ;   in Loop: Header=BB71_8 Depth=1
	v_mul_f32_e32 v59, v6, v6
	v_fmamk_f32 v62, v59, 0xbbbac73d, v57
	v_fmaak_f32 v62, v59, v62, 0xbd5c1c4e
	v_fmaak_f32 v62, v59, v62, 0x3e088382
	;; [unrolled: 1-line block ×3, first 2 shown]
	v_mul_f32_e64 v62, |v6|, v62
	v_fma_f32 v62, v59, v62, |v6|
	s_or_b64 exec, exec, s[10:11]
	s_and_b64 vcc, exec, s[4:5]
	s_cbranch_vccz .LBB71_18
.LBB71_21:                              ;   in Loop: Header=BB71_8 Depth=1
	v_mov_b32_e32 v59, 0
.LBB71_22:                              ;   in Loop: Header=BB71_8 Depth=1
	v_bfi_b32 v6, s43, v62, v6
	v_fmac_f32_e32 v59, s15, v6
	v_add_f32_e32 v6, 0x40051340, v59
	v_max_f32_e32 v11, v4, v4
	v_max_f32_e32 v6, v11, v6
	ds_bpermute_b32 v10, v10, v6
	s_mul_hi_i32 s5, s18, s2
	s_mul_i32 s4, s18, s2
	s_lshl_b64 s[4:5], s[4:5], 2
	s_add_u32 s4, s12, s4
	s_waitcnt lgkmcnt(0)
	v_max_f32_e32 v10, v10, v10
	v_max_f32_e32 v6, v6, v10
	ds_bpermute_b32 v10, v60, v6
	s_addc_u32 s5, s13, s5
	v_max_f32_e32 v68, v61, v61
	s_waitcnt lgkmcnt(0)
	s_barrier
	v_max_f32_e32 v10, v10, v10
	v_max_f32_e32 v10, v6, v10
	ds_bpermute_b32 v11, v7, v10
	v_lshl_add_u64 v[6:7], s[4:5], 0, v[20:21]
	v_lshl_add_u64 v[6:7], v[6:7], 0, v[42:43]
	s_waitcnt lgkmcnt(0)
	v_max_f32_e32 v3, v3, v3
	v_max_f32_e32 v11, v11, v11
	;; [unrolled: 1-line block ×3, first 2 shown]
	v_lshl_add_u64 v[10:11], s[4:5], 0, v[22:23]
	v_lshl_add_u64 v[10:11], v[10:11], 0, v[42:43]
	global_load_dwordx4 v[60:63], v[6:7], off
	global_load_dwordx4 v[64:67], v[10:11], off
	ds_bpermute_b32 v2, v2, v69
	v_max_f32_e32 v10, v3, v68
	v_sub_f32_e32 v3, v5, v10
	v_mul_f32_e32 v5, 0x3fb8aa3b, v3
	v_fma_f32 v6, v3, s40, -v5
	s_waitcnt lgkmcnt(0)
	v_max_f32_e32 v2, v2, v2
	v_max_f32_e32 v2, v69, v2
	ds_bpermute_b32 v1, v1, v2
	v_rndne_f32_e32 v7, v5
	v_fmac_f32_e32 v6, 0x32a5705f, v3
	v_sub_f32_e32 v5, v5, v7
	v_add_f32_e32 v5, v5, v6
	v_exp_f32_e32 v5, v5
	v_cvt_i32_f32_e32 v6, v7
	s_waitcnt lgkmcnt(0)
	v_max_f32_e32 v1, v1, v1
	v_max_f32_e32 v11, v2, v1
	v_sub_f32_e32 v2, v0, v10
	v_mul_f32_e32 v0, 0x3fb8aa3b, v2
	v_ldexp_f32 v1, v5, v6
	v_fma_f32 v5, v2, s40, -v0
	v_rndne_f32_e32 v6, v0
	v_fmac_f32_e32 v5, 0x32a5705f, v2
	v_sub_f32_e32 v0, v0, v6
	v_add_f32_e32 v0, v0, v5
	v_exp_f32_e32 v5, v0
	v_cvt_i32_f32_e32 v6, v6
	v_cmp_ngt_f32_e32 vcc, s41, v3
	v_add_u32_e32 v96, 0x800, v54
	s_or_b32 s4, s18, 16
	v_cndmask_b32_e32 v0, 0, v1, vcc
	v_cmp_nlt_f32_e32 vcc, s42, v3
	v_ldexp_f32 v1, v5, v6
	s_mul_hi_i32 s5, s4, s2
	v_cndmask_b32_e32 v0, v9, v0, vcc
	v_cvt_f16_f32_e32 v3, v0
	v_cmp_ngt_f32_e32 vcc, s41, v2
	s_mul_i32 s4, s4, s2
	s_lshl_b64 s[4:5], s[4:5], 2
	v_cndmask_b32_e32 v1, 0, v1, vcc
	v_cmp_nlt_f32_e32 vcc, s42, v2
	v_mul_u32_u24_e32 v68, 0x10001, v3
	v_pk_mul_f16 v72, v27, v68
	v_cndmask_b32_e32 v2, v9, v1, vcc
	v_sub_f32_e32 v1, v4, v11
	v_mul_f32_e32 v3, 0x3fb8aa3b, v1
	v_fma_f32 v4, v1, s40, -v3
	v_rndne_f32_e32 v5, v3
	v_fmac_f32_e32 v4, 0x32a5705f, v1
	v_sub_f32_e32 v3, v3, v5
	v_add_f32_e32 v3, v3, v4
	v_exp_f32_e32 v3, v3
	v_cvt_i32_f32_e32 v4, v5
	v_cmp_ngt_f32_e32 vcc, s41, v1
	v_pk_mul_f16 v29, v29, v68
	v_pk_mul_f16 v28, v28, v68
	v_ldexp_f32 v3, v3, v4
	v_sub_f32_e32 v4, v59, v11
	v_mul_f32_e32 v5, 0x3fb8aa3b, v4
	v_fma_f32 v6, v4, s40, -v5
	v_rndne_f32_e32 v7, v5
	v_fmac_f32_e32 v6, 0x32a5705f, v4
	v_sub_f32_e32 v5, v5, v7
	v_add_f32_e32 v5, v5, v6
	v_exp_f32_e32 v5, v5
	v_cvt_i32_f32_e32 v6, v7
	v_cndmask_b32_e32 v3, 0, v3, vcc
	v_cmp_nlt_f32_e32 vcc, s42, v1
	s_add_u32 s4, s12, s4
	s_addc_u32 s5, s13, s5
	v_cndmask_b32_e32 v1, v9, v3, vcc
	v_ldexp_f32 v3, v5, v6
	v_cvt_f16_f32_e32 v5, v1
	v_cmp_ngt_f32_e32 vcc, s41, v4
	v_add_u32_e32 v103, 0x1000, v54
	v_add_u32_e32 v106, 0x1800, v54
	v_cndmask_b32_e32 v3, 0, v3, vcc
	v_cmp_nlt_f32_e32 vcc, s42, v4
	v_mul_u32_u24_e32 v59, 0x10001, v5
	v_pk_mul_f16 v69, v26, v59
	v_cndmask_b32_e32 v3, v9, v3, vcc
	v_pk_fma_f32 v[40:41], v[40:41], v[0:1], v[2:3]
	v_add_u32_e32 v0, v47, v49
	v_cvt_pk_f16_f32 v1, v2, v3
	v_pk_mul_f16 v70, v24, v59
	v_pk_mul_f16 v73, v25, v59
	ds_write_b32 v0, v1
	s_waitcnt vmcnt(1)
	ds_write_b128 v55, v[60:63]
	s_waitcnt vmcnt(0)
	ds_write_b128 v56, v[64:67]
	s_waitcnt lgkmcnt(0)
	s_barrier
	ds_read_b128 v[24:27], v47
	ds_read2_b64 v[60:63], v54 offset1:32
	ds_read_b128 v[64:67], v47 offset:16
	ds_read_b128 v[4:7], v47 offset:32
	ds_read_b128 v[0:3], v47 offset:48
	s_waitcnt lgkmcnt(4)
	v_mul_u32_u24_sdwa v74, v24, s44 dst_sel:DWORD dst_unused:UNUSED_PAD src0_sel:WORD_0 src1_sel:DWORD
	v_mul_u32_u24_sdwa v24, v24, s44 dst_sel:DWORD dst_unused:UNUSED_PAD src0_sel:WORD_1 src1_sel:DWORD
	s_waitcnt lgkmcnt(3)
	v_pk_mul_f16 v71, v60, v74
	v_pk_mul_f16 v60, v60, v24
	v_pk_fma_f16 v33, v33, v68, v71
	v_pk_fma_f16 v32, v32, v59, v60
	;; [unrolled: 1-line block ×4, first 2 shown]
	ds_read2_b64 v[68:71], v54 offset0:64 offset1:96
	v_pk_fma_f16 v24, v63, v24, v73
	v_mul_u32_u24_sdwa v73, v25, s44 dst_sel:DWORD dst_unused:UNUSED_PAD src0_sel:WORD_0 src1_sel:DWORD
	v_mul_u32_u24_sdwa v25, v25, s44 dst_sel:DWORD dst_unused:UNUSED_PAD src0_sel:WORD_1 src1_sel:DWORD
	v_pk_fma_f16 v29, v61, v74, v29
	v_pk_fma_f16 v28, v62, v74, v28
	;; [unrolled: 1-line block ×3, first 2 shown]
	s_waitcnt lgkmcnt(0)
	v_pk_fma_f16 v33, v68, v73, v33
	v_pk_fma_f16 v32, v68, v25, v32
	;; [unrolled: 1-line block ×3, first 2 shown]
	ds_read2_b64 v[60:63], v54 offset0:128 offset1:160
	v_pk_fma_f16 v59, v69, v25, v59
	v_pk_fma_f16 v24, v71, v25, v24
	v_mul_u32_u24_sdwa v25, v26, s44 dst_sel:DWORD dst_unused:UNUSED_PAD src0_sel:WORD_0 src1_sel:DWORD
	v_mul_u32_u24_sdwa v26, v26, s44 dst_sel:DWORD dst_unused:UNUSED_PAD src0_sel:WORD_1 src1_sel:DWORD
	v_pk_fma_f16 v29, v69, v73, v29
	v_pk_fma_f16 v28, v70, v73, v28
	;; [unrolled: 1-line block ×3, first 2 shown]
	s_waitcnt lgkmcnt(0)
	v_pk_fma_f16 v33, v60, v25, v33
	v_pk_fma_f16 v32, v60, v26, v32
	;; [unrolled: 1-line block ×3, first 2 shown]
	ds_read2_b64 v[68:71], v54 offset0:192 offset1:224
	v_pk_fma_f16 v29, v61, v25, v29
	v_pk_fma_f16 v59, v61, v26, v59
	;; [unrolled: 1-line block ×5, first 2 shown]
	v_mul_u32_u24_sdwa v63, v27, s44 dst_sel:DWORD dst_unused:UNUSED_PAD src0_sel:WORD_0 src1_sel:DWORD
	v_mul_u32_u24_sdwa v72, v27, s44 dst_sel:DWORD dst_unused:UNUSED_PAD src0_sel:WORD_1 src1_sel:DWORD
	ds_read2_b64 v[24:27], v96 offset1:32
	s_waitcnt lgkmcnt(1)
	v_pk_fma_f16 v28, v70, v63, v28
	v_pk_fma_f16 v60, v70, v72, v60
	v_mul_u32_u24_sdwa v70, v64, s44 dst_sel:DWORD dst_unused:UNUSED_PAD src0_sel:WORD_0 src1_sel:DWORD
	v_mul_u32_u24_sdwa v64, v64, s44 dst_sel:DWORD dst_unused:UNUSED_PAD src0_sel:WORD_1 src1_sel:DWORD
	v_pk_fma_f16 v33, v68, v63, v33
	v_pk_fma_f16 v32, v68, v72, v32
	;; [unrolled: 1-line block ×6, first 2 shown]
	s_waitcnt lgkmcnt(0)
	v_pk_fma_f16 v28, v26, v70, v28
	v_pk_fma_f16 v26, v26, v64, v60
	ds_read2_b64 v[60:63], v96 offset0:64 offset1:96
	v_pk_fma_f16 v33, v24, v70, v33
	v_pk_fma_f16 v24, v24, v64, v32
	;; [unrolled: 1-line block ×5, first 2 shown]
	v_mul_u32_u24_sdwa v64, v65, s44 dst_sel:DWORD dst_unused:UNUSED_PAD src0_sel:WORD_0 src1_sel:DWORD
	v_mul_u32_u24_sdwa v65, v65, s44 dst_sel:DWORD dst_unused:UNUSED_PAD src0_sel:WORD_1 src1_sel:DWORD
	v_pk_fma_f16 v32, v27, v70, v68
	s_waitcnt lgkmcnt(0)
	v_pk_fma_f16 v33, v60, v64, v33
	v_pk_fma_f16 v60, v60, v65, v24
	;; [unrolled: 1-line block ×6, first 2 shown]
	ds_read2_b64 v[24:27], v96 offset0:128 offset1:160
	v_pk_fma_f16 v32, v63, v64, v32
	v_pk_fma_f16 v59, v63, v65, v59
	v_mul_u32_u24_sdwa v64, v66, s44 dst_sel:DWORD dst_unused:UNUSED_PAD src0_sel:WORD_0 src1_sel:DWORD
	v_mul_u32_u24_sdwa v65, v66, s44 dst_sel:DWORD dst_unused:UNUSED_PAD src0_sel:WORD_1 src1_sel:DWORD
	s_waitcnt lgkmcnt(0)
	v_pk_fma_f16 v33, v24, v64, v33
	v_pk_fma_f16 v24, v24, v65, v60
	;; [unrolled: 1-line block ×6, first 2 shown]
	ds_read2_b64 v[60:63], v96 offset0:192 offset1:224
	v_pk_fma_f16 v32, v27, v64, v32
	v_mul_u32_u24_sdwa v64, v67, s44 dst_sel:DWORD dst_unused:UNUSED_PAD src0_sel:WORD_0 src1_sel:DWORD
	v_pk_fma_f16 v59, v27, v65, v59
	v_mul_u32_u24_sdwa v65, v67, s44 dst_sel:DWORD dst_unused:UNUSED_PAD src0_sel:WORD_1 src1_sel:DWORD
	s_waitcnt lgkmcnt(0)
	v_pk_fma_f16 v99, v61, v64, v29
	v_pk_fma_f16 v101, v62, v64, v28
	v_lshl_add_u64 v[28:29], s[4:5], 0, v[20:21]
	v_pk_fma_f16 v97, v60, v64, v33
	v_pk_fma_f16 v104, v63, v64, v32
	v_lshl_add_u64 v[28:29], v[28:29], 0, v[42:43]
	v_lshl_add_u64 v[32:33], s[4:5], 0, v[22:23]
	v_pk_fma_f16 v98, v60, v65, v24
	v_pk_fma_f16 v100, v61, v65, v25
	;; [unrolled: 1-line block ×3, first 2 shown]
	ds_read2_b64 v[24:27], v103 offset1:32
	v_pk_fma_f16 v59, v63, v65, v59
	ds_read2_b64 v[60:63], v103 offset0:64 offset1:96
	ds_read2_b64 v[64:67], v103 offset0:128 offset1:160
	;; [unrolled: 1-line block ×3, first 2 shown]
	ds_read2_b64 v[72:75], v106 offset1:32
	ds_read2_b64 v[76:79], v106 offset0:64 offset1:96
	ds_read2_b64 v[80:83], v106 offset0:128 offset1:160
	ds_read2_b64 v[84:87], v106 offset0:192 offset1:224
	s_waitcnt lgkmcnt(0)
	s_barrier
	v_lshl_add_u64 v[32:33], v[32:33], 0, v[42:43]
	global_load_dwordx4 v[88:91], v[28:29], off
	global_load_dwordx4 v[92:95], v[32:33], off
	v_mul_u32_u24_sdwa v105, v4, s44 dst_sel:DWORD dst_unused:UNUSED_PAD src0_sel:WORD_0 src1_sel:DWORD
	v_mul_u32_u24_sdwa v4, v4, s44 dst_sel:DWORD dst_unused:UNUSED_PAD src0_sel:WORD_1 src1_sel:DWORD
	v_pk_fma_f16 v28, v24, v105, v97
	v_pk_fma_f16 v24, v24, v4, v98
	v_pk_fma_f16 v29, v25, v105, v99
	v_pk_fma_f16 v25, v25, v4, v100
	v_pk_fma_f16 v32, v26, v105, v101
	v_pk_fma_f16 v26, v26, v4, v102
	v_pk_fma_f16 v33, v27, v105, v104
	v_pk_fma_f16 v4, v27, v4, v59
	v_mul_u32_u24_sdwa v27, v5, s44 dst_sel:DWORD dst_unused:UNUSED_PAD src0_sel:WORD_0 src1_sel:DWORD
	v_mul_u32_u24_sdwa v5, v5, s44 dst_sel:DWORD dst_unused:UNUSED_PAD src0_sel:WORD_1 src1_sel:DWORD
	v_pk_fma_f16 v28, v60, v27, v28
	v_pk_fma_f16 v24, v60, v5, v24
	v_pk_fma_f16 v29, v61, v27, v29
	v_pk_fma_f16 v25, v61, v5, v25
	v_pk_fma_f16 v32, v62, v27, v32
	v_pk_fma_f16 v26, v62, v5, v26
	v_pk_fma_f16 v27, v63, v27, v33
	v_pk_fma_f16 v4, v63, v5, v4
	;; [unrolled: 10-line block ×8, first 2 shown]
	s_waitcnt vmcnt(1)
	ds_write_b128 v55, v[88:91]
	s_waitcnt vmcnt(0)
	ds_write_b128 v56, v[92:95]
	s_waitcnt lgkmcnt(0)
	s_barrier
	ds_read_b128 v[0:3], v47 offset:64
	ds_read2_b64 v[4:7], v54 offset1:32
	ds_read_b128 v[24:27], v47 offset:80
	ds_read_b128 v[60:63], v47 offset:96
	ds_read_b128 v[64:67], v47 offset:112
	s_waitcnt lgkmcnt(4)
	v_mul_u32_u24_sdwa v74, v0, s44 dst_sel:DWORD dst_unused:UNUSED_PAD src0_sel:WORD_0 src1_sel:DWORD
	v_mul_u32_u24_sdwa v0, v0, s44 dst_sel:DWORD dst_unused:UNUSED_PAD src0_sel:WORD_1 src1_sel:DWORD
	s_waitcnt lgkmcnt(3)
	v_pk_fma_f16 v28, v4, v74, v28
	v_pk_fma_f16 v4, v4, v0, v29
	v_pk_fma_f16 v29, v5, v74, v32
	v_pk_fma_f16 v32, v6, v74, v59
	v_pk_fma_f16 v6, v6, v0, v68
	ds_read2_b64 v[68:71], v54 offset0:64 offset1:96
	v_pk_fma_f16 v5, v5, v0, v33
	v_mul_u32_u24_sdwa v59, v1, s44 dst_sel:DWORD dst_unused:UNUSED_PAD src0_sel:WORD_0 src1_sel:DWORD
	v_mul_u32_u24_sdwa v1, v1, s44 dst_sel:DWORD dst_unused:UNUSED_PAD src0_sel:WORD_1 src1_sel:DWORD
	v_pk_fma_f16 v33, v7, v74, v72
	v_pk_fma_f16 v0, v7, v0, v73
	s_waitcnt lgkmcnt(0)
	v_pk_fma_f16 v28, v68, v59, v28
	v_pk_fma_f16 v68, v68, v1, v4
	;; [unrolled: 1-line block ×6, first 2 shown]
	ds_read2_b64 v[4:7], v54 offset0:128 offset1:160
	v_pk_fma_f16 v0, v71, v1, v0
	v_mul_u32_u24_sdwa v1, v2, s44 dst_sel:DWORD dst_unused:UNUSED_PAD src0_sel:WORD_0 src1_sel:DWORD
	v_mul_u32_u24_sdwa v2, v2, s44 dst_sel:DWORD dst_unused:UNUSED_PAD src0_sel:WORD_1 src1_sel:DWORD
	v_pk_fma_f16 v33, v71, v59, v33
	s_waitcnt lgkmcnt(0)
	v_pk_fma_f16 v28, v4, v1, v28
	v_pk_fma_f16 v4, v4, v2, v68
	;; [unrolled: 1-line block ×6, first 2 shown]
	ds_read2_b64 v[68:71], v54 offset0:192 offset1:224
	v_pk_fma_f16 v33, v7, v1, v33
	v_pk_fma_f16 v7, v7, v2, v0
	v_mul_u32_u24_sdwa v59, v3, s44 dst_sel:DWORD dst_unused:UNUSED_PAD src0_sel:WORD_0 src1_sel:DWORD
	v_mul_u32_u24_sdwa v72, v3, s44 dst_sel:DWORD dst_unused:UNUSED_PAD src0_sel:WORD_1 src1_sel:DWORD
	ds_read2_b64 v[0:3], v96 offset1:32
	s_waitcnt lgkmcnt(1)
	v_pk_fma_f16 v28, v68, v59, v28
	v_pk_fma_f16 v4, v68, v72, v4
	v_pk_fma_f16 v29, v69, v59, v29
	v_pk_fma_f16 v5, v69, v72, v5
	v_pk_fma_f16 v32, v70, v59, v32
	v_pk_fma_f16 v6, v70, v72, v6
	v_mul_u32_u24_sdwa v68, v24, s44 dst_sel:DWORD dst_unused:UNUSED_PAD src0_sel:WORD_0 src1_sel:DWORD
	v_mul_u32_u24_sdwa v24, v24, s44 dst_sel:DWORD dst_unused:UNUSED_PAD src0_sel:WORD_1 src1_sel:DWORD
	v_pk_fma_f16 v33, v71, v59, v33
	v_pk_fma_f16 v59, v71, v72, v7
	s_waitcnt lgkmcnt(0)
	v_pk_fma_f16 v28, v0, v68, v28
	v_pk_fma_f16 v0, v0, v24, v4
	v_pk_fma_f16 v29, v1, v68, v29
	v_pk_fma_f16 v1, v1, v24, v5
	v_pk_fma_f16 v32, v2, v68, v32
	v_pk_fma_f16 v2, v2, v24, v6
	ds_read2_b64 v[4:7], v96 offset0:64 offset1:96
	v_pk_fma_f16 v24, v3, v24, v59
	v_mul_u32_u24_sdwa v59, v25, s44 dst_sel:DWORD dst_unused:UNUSED_PAD src0_sel:WORD_0 src1_sel:DWORD
	v_mul_u32_u24_sdwa v25, v25, s44 dst_sel:DWORD dst_unused:UNUSED_PAD src0_sel:WORD_1 src1_sel:DWORD
	v_pk_fma_f16 v33, v3, v68, v33
	s_waitcnt lgkmcnt(0)
	v_pk_fma_f16 v28, v4, v59, v28
	v_pk_fma_f16 v4, v4, v25, v0
	v_pk_fma_f16 v29, v5, v59, v29
	v_pk_fma_f16 v5, v5, v25, v1
	v_pk_fma_f16 v32, v6, v59, v32
	v_pk_fma_f16 v6, v6, v25, v2
	ds_read2_b64 v[0:3], v96 offset0:128 offset1:160
	v_pk_fma_f16 v24, v7, v25, v24
	v_mul_u32_u24_sdwa v25, v26, s44 dst_sel:DWORD dst_unused:UNUSED_PAD src0_sel:WORD_0 src1_sel:DWORD
	v_mul_u32_u24_sdwa v26, v26, s44 dst_sel:DWORD dst_unused:UNUSED_PAD src0_sel:WORD_1 src1_sel:DWORD
	;; [unrolled: 12-line block ×3, first 2 shown]
	v_pk_fma_f16 v25, v3, v25, v33
	s_waitcnt lgkmcnt(0)
	v_pk_fma_f16 v28, v4, v26, v28
	v_pk_fma_f16 v4, v4, v27, v0
	;; [unrolled: 1-line block ×6, first 2 shown]
	ds_read2_b64 v[0:3], v103 offset1:32
	v_pk_fma_f16 v25, v7, v26, v25
	v_pk_fma_f16 v24, v7, v27, v24
	v_mul_u32_u24_sdwa v26, v60, s44 dst_sel:DWORD dst_unused:UNUSED_PAD src0_sel:WORD_0 src1_sel:DWORD
	v_mul_u32_u24_sdwa v27, v60, s44 dst_sel:DWORD dst_unused:UNUSED_PAD src0_sel:WORD_1 src1_sel:DWORD
	s_waitcnt lgkmcnt(0)
	v_pk_fma_f16 v28, v0, v26, v28
	v_pk_fma_f16 v0, v0, v27, v4
	v_pk_fma_f16 v29, v1, v26, v29
	v_pk_fma_f16 v1, v1, v27, v5
	v_pk_fma_f16 v32, v2, v26, v32
	v_pk_fma_f16 v2, v2, v27, v6
	ds_read2_b64 v[4:7], v103 offset0:64 offset1:96
	v_pk_fma_f16 v25, v3, v26, v25
	v_pk_fma_f16 v24, v3, v27, v24
	v_mul_u32_u24_sdwa v26, v61, s44 dst_sel:DWORD dst_unused:UNUSED_PAD src0_sel:WORD_0 src1_sel:DWORD
	v_mul_u32_u24_sdwa v27, v61, s44 dst_sel:DWORD dst_unused:UNUSED_PAD src0_sel:WORD_1 src1_sel:DWORD
	s_waitcnt lgkmcnt(0)
	v_pk_fma_f16 v28, v4, v26, v28
	v_pk_fma_f16 v4, v4, v27, v0
	v_pk_fma_f16 v29, v5, v26, v29
	v_pk_fma_f16 v5, v5, v27, v1
	v_pk_fma_f16 v32, v6, v26, v32
	v_pk_fma_f16 v6, v6, v27, v2
	ds_read2_b64 v[0:3], v103 offset0:128 offset1:160
	;; [unrolled: 12-line block ×3, first 2 shown]
	v_pk_fma_f16 v25, v3, v26, v25
	v_pk_fma_f16 v24, v3, v27, v24
	v_mul_u32_u24_sdwa v26, v63, s44 dst_sel:DWORD dst_unused:UNUSED_PAD src0_sel:WORD_0 src1_sel:DWORD
	v_mul_u32_u24_sdwa v27, v63, s44 dst_sel:DWORD dst_unused:UNUSED_PAD src0_sel:WORD_1 src1_sel:DWORD
	s_waitcnt lgkmcnt(0)
	v_pk_fma_f16 v28, v4, v26, v28
	v_pk_fma_f16 v4, v4, v27, v0
	;; [unrolled: 1-line block ×6, first 2 shown]
	ds_read2_b64 v[0:3], v106 offset1:32
	v_pk_fma_f16 v25, v7, v26, v25
	v_pk_fma_f16 v24, v7, v27, v24
	v_mul_u32_u24_sdwa v26, v64, s44 dst_sel:DWORD dst_unused:UNUSED_PAD src0_sel:WORD_0 src1_sel:DWORD
	v_mul_u32_u24_sdwa v27, v64, s44 dst_sel:DWORD dst_unused:UNUSED_PAD src0_sel:WORD_1 src1_sel:DWORD
	s_waitcnt lgkmcnt(0)
	v_pk_fma_f16 v28, v0, v26, v28
	v_pk_fma_f16 v0, v0, v27, v4
	v_pk_fma_f16 v29, v1, v26, v29
	v_pk_fma_f16 v1, v1, v27, v5
	v_pk_fma_f16 v32, v2, v26, v32
	v_pk_fma_f16 v2, v2, v27, v6
	ds_read2_b64 v[4:7], v106 offset0:64 offset1:96
	v_pk_fma_f16 v25, v3, v26, v25
	v_pk_fma_f16 v24, v3, v27, v24
	v_mul_u32_u24_sdwa v26, v65, s44 dst_sel:DWORD dst_unused:UNUSED_PAD src0_sel:WORD_0 src1_sel:DWORD
	v_mul_u32_u24_sdwa v27, v65, s44 dst_sel:DWORD dst_unused:UNUSED_PAD src0_sel:WORD_1 src1_sel:DWORD
	s_waitcnt lgkmcnt(0)
	v_pk_fma_f16 v28, v4, v26, v28
	v_pk_fma_f16 v4, v4, v27, v0
	v_pk_fma_f16 v29, v5, v26, v29
	v_pk_fma_f16 v5, v5, v27, v1
	v_pk_fma_f16 v32, v6, v26, v32
	v_pk_fma_f16 v6, v6, v27, v2
	ds_read2_b64 v[0:3], v106 offset0:128 offset1:160
	;; [unrolled: 12-line block ×3, first 2 shown]
	s_waitcnt lgkmcnt(0)
	s_barrier
	s_load_dword s4, s[8:9], 0x4
	v_pk_fma_f16 v25, v3, v26, v25
	v_pk_fma_f16 v3, v3, v27, v24
	v_mul_u32_u24_sdwa v27, v67, s44 dst_sel:DWORD dst_unused:UNUSED_PAD src0_sel:WORD_0 src1_sel:DWORD
	v_mul_u32_u24_sdwa v60, v67, s44 dst_sel:DWORD dst_unused:UNUSED_PAD src0_sel:WORD_1 src1_sel:DWORD
	s_waitcnt lgkmcnt(0)
	s_lshl_b32 s4, s4, 5
	s_add_i32 s18, s4, s18
	v_pk_fma_f16 v33, v4, v27, v28
	v_pk_fma_f16 v32, v4, v60, v0
	;; [unrolled: 1-line block ×7, first 2 shown]
	s_cmp_lt_i32 s18, s31
	v_pk_fma_f16 v25, v7, v60, v3
	s_cbranch_scc0 .LBB71_25
; %bb.23:                               ;   in Loop: Header=BB71_8 Depth=1
	v_mov_b32_e32 v5, v10
	v_mov_b32_e32 v4, v11
	s_branch .LBB71_8
.LBB71_24:
	v_mov_b32_e32 v10, 0xfeffffff
	v_mov_b32_e32 v11, v10
	;; [unrolled: 1-line block ×11, first 2 shown]
.LBB71_25:
	s_cmp_gt_i32 s38, s18
	s_cbranch_scc1 .LBB71_27
; %bb.26:
	v_mbcnt_hi_u32_b32 v55, -1, v34
	v_and_b32_e32 v0, 0x60, v55
	v_add_u32_e32 v56, 32, v0
	v_xor_b32_e32 v57, 16, v55
	v_xor_b32_e32 v58, 8, v55
	;; [unrolled: 1-line block ×5, first 2 shown]
	s_cbranch_execz .LBB71_28
	s_branch .LBB71_47
.LBB71_27:
                                        ; implicit-def: $vgpr55
                                        ; implicit-def: $vgpr56
                                        ; implicit-def: $vgpr57
                                        ; implicit-def: $vgpr58
                                        ; implicit-def: $vgpr59
                                        ; implicit-def: $vgpr60
                                        ; implicit-def: $vgpr61
.LBB71_28:
	s_mul_hi_i32 s5, s18, s28
	s_mul_i32 s4, s18, s28
	s_sub_i32 s10, s38, s18
	s_lshl_b64 s[4:5], s[4:5], 2
	v_add_u32_e32 v15, v35, v51
	s_mov_b64 s[6:7], src_private_base
	s_add_u32 s8, s29, s4
	v_mul_lo_u32 v0, s28, v15
	s_mov_b32 s4, 0
	s_addc_u32 s9, s30, s5
	v_ashrrev_i32_e32 v1, 31, v0
	s_mov_b32 s6, s4
	v_lshlrev_b32_e32 v2, 2, v12
	v_mov_b32_e32 v3, 0
	s_mov_b32 s5, s4
	v_mov_b32_e32 v18, s6
	v_lshl_add_u64 v[4:5], v[0:1], 2, s[8:9]
	v_mov_b32_e32 v17, s5
	v_mov_b32_e32 v16, s4
	v_lshl_add_u64 v[6:7], v[4:5], 0, v[2:3]
	v_mov_b32_e32 v9, s7
	v_cmp_gt_i32_e64 s[4:5], s10, v15
	v_mov_b32_e32 v14, 0
	scratch_store_dword off, v3, off
	scratch_store_dwordx3 off, v[16:18], off offset:4
	v_cndmask_b32_e64 v5, v9, v7, s[4:5]
	v_cndmask_b32_e64 v4, v14, v6, s[4:5]
	flat_load_dwordx4 v[20:23], v[4:5]
	v_lshl_add_u32 v0, s28, 4, v0
	s_movk_i32 s6, 0x110
	v_ashrrev_i32_e32 v1, 31, v0
	v_mad_u32_u24 v12, v15, s6, v2
	v_add_u32_e32 v15, 16, v15
	v_lshl_add_u64 v[0:1], v[0:1], 2, s[8:9]
	v_lshl_add_u64 v[4:5], v[0:1], 0, v[2:3]
	v_cmp_gt_i32_e32 vcc, s10, v15
	scratch_store_dword off, v3, off
	scratch_store_dwordx3 off, v[16:18], off offset:4
	v_cndmask_b32_e32 v1, v9, v5, vcc
	v_cndmask_b32_e32 v0, v14, v4, vcc
	v_mul_u32_u24_e32 v2, 0x110, v52
	s_mov_b64 s[6:7], 0x100
	v_lshl_add_u64 v[6:7], v[6:7], 0, s[6:7]
	v_cndmask_b32_e64 v7, v9, v7, s[4:5]
	v_cndmask_b32_e64 v6, v14, v6, s[4:5]
	v_lshl_add_u64 v[4:5], v[4:5], 0, s[6:7]
	v_cndmask_b32_e32 v5, v9, v5, vcc
	v_cndmask_b32_e32 v4, v14, v4, vcc
	s_mov_b32 s4, 0x3f200000
	s_waitcnt vmcnt(0) lgkmcnt(0)
	ds_write_b128 v12, v[20:23]
	flat_load_dwordx4 v[20:23], v[0:1]
	v_mov_b32_e32 v0, v3
	v_mov_b32_e32 v1, v3
	s_waitcnt vmcnt(0) lgkmcnt(0)
	ds_write_b128 v12, v[20:23] offset:4352
	s_waitcnt lgkmcnt(0)
	s_barrier
	ds_read_b128 v[20:23], v2
	ds_read_b128 v[44:47], v31 offset:8704
	ds_read_b128 v[56:59], v31 offset:9216
	s_waitcnt lgkmcnt(1)
	;;#ASMSTART
	v_dot2_f32_f16 v0, v20, v44, v0
	;;#ASMEND
	s_nop 0
	;;#ASMSTART
	v_dot2_f32_f16 v0, v21, v45, v0
	;;#ASMEND
	s_nop 0
	;;#ASMSTART
	v_dot2_f32_f16 v0, v22, v46, v0
	;;#ASMEND
	s_nop 0
	;;#ASMSTART
	v_dot2_f32_f16 v0, v23, v47, v0
	;;#ASMEND
	s_waitcnt lgkmcnt(0)
	;;#ASMSTART
	v_dot2_f32_f16 v1, v20, v56, v1
	;;#ASMEND
	s_nop 0
	;;#ASMSTART
	v_dot2_f32_f16 v1, v21, v57, v1
	;;#ASMEND
	s_nop 0
	;;#ASMSTART
	v_dot2_f32_f16 v1, v22, v58, v1
	;;#ASMEND
	s_nop 0
	;;#ASMSTART
	v_dot2_f32_f16 v1, v23, v59, v1
	;;#ASMEND
	ds_read_b128 v[20:23], v2 offset:16
	ds_read_b128 v[44:47], v31 offset:8720
	ds_read_b128 v[56:59], v31 offset:9232
	s_waitcnt lgkmcnt(1)
	;;#ASMSTART
	v_dot2_f32_f16 v0, v20, v44, v0
	;;#ASMEND
	s_nop 0
	;;#ASMSTART
	v_dot2_f32_f16 v0, v21, v45, v0
	;;#ASMEND
	s_nop 0
	;;#ASMSTART
	v_dot2_f32_f16 v0, v22, v46, v0
	;;#ASMEND
	s_nop 0
	;;#ASMSTART
	v_dot2_f32_f16 v0, v23, v47, v0
	;;#ASMEND
	s_waitcnt lgkmcnt(0)
	;;#ASMSTART
	v_dot2_f32_f16 v1, v20, v56, v1
	;;#ASMEND
	s_nop 0
	;;#ASMSTART
	v_dot2_f32_f16 v1, v21, v57, v1
	;;#ASMEND
	s_nop 0
	;;#ASMSTART
	v_dot2_f32_f16 v1, v22, v58, v1
	;;#ASMEND
	s_nop 0
	;;#ASMSTART
	v_dot2_f32_f16 v1, v23, v59, v1
	;;#ASMEND
	ds_read_b128 v[20:23], v2 offset:32
	;; [unrolled: 35-line block ×15, first 2 shown]
	ds_read_b128 v[44:47], v31 offset:8944
	ds_read_b128 v[56:59], v31 offset:9456
	s_waitcnt lgkmcnt(1)
	;;#ASMSTART
	v_dot2_f32_f16 v0, v20, v44, v0
	;;#ASMEND
	s_nop 0
	;;#ASMSTART
	v_dot2_f32_f16 v0, v21, v45, v0
	;;#ASMEND
	s_nop 0
	;; [unrolled: 4-line block ×3, first 2 shown]
	;;#ASMSTART
	v_dot2_f32_f16 v0, v23, v47, v0
	;;#ASMEND
	s_waitcnt lgkmcnt(0)
	;;#ASMSTART
	v_dot2_f32_f16 v1, v20, v56, v1
	;;#ASMEND
	s_nop 0
	;;#ASMSTART
	v_dot2_f32_f16 v1, v21, v57, v1
	;;#ASMEND
	s_nop 0
	;; [unrolled: 4-line block ×3, first 2 shown]
	;;#ASMSTART
	v_dot2_f32_f16 v1, v23, v59, v1
	;;#ASMEND
	s_barrier
	scratch_store_dword off, v3, off
	scratch_store_dwordx3 off, v[16:18], off offset:4
	flat_load_dwordx4 v[20:23], v[6:7]
	s_nop 0
	scratch_store_dword off, v3, off
	scratch_store_dwordx3 off, v[16:18], off offset:4
	s_waitcnt vmcnt(0) lgkmcnt(0)
	ds_write_b128 v12, v[20:23]
	flat_load_dwordx4 v[4:7], v[4:5]
	s_waitcnt vmcnt(0) lgkmcnt(0)
	ds_write_b128 v12, v[4:7] offset:4352
	s_waitcnt lgkmcnt(0)
	s_barrier
	ds_read_b128 v[4:7], v2
	ds_read_b128 v[14:17], v31 offset:8960
	ds_read_b128 v[18:21], v31 offset:9472
	s_waitcnt lgkmcnt(1)
	;;#ASMSTART
	v_dot2_f32_f16 v0, v4, v14, v0
	;;#ASMEND
	s_nop 0
	;;#ASMSTART
	v_dot2_f32_f16 v0, v5, v15, v0
	;;#ASMEND
	s_nop 0
	;;#ASMSTART
	v_dot2_f32_f16 v0, v6, v16, v0
	;;#ASMEND
	s_nop 0
	;;#ASMSTART
	v_dot2_f32_f16 v0, v7, v17, v0
	;;#ASMEND
	s_waitcnt lgkmcnt(0)
	;;#ASMSTART
	v_dot2_f32_f16 v1, v4, v18, v1
	;;#ASMEND
	s_nop 0
	;;#ASMSTART
	v_dot2_f32_f16 v1, v5, v19, v1
	;;#ASMEND
	s_nop 0
	;;#ASMSTART
	v_dot2_f32_f16 v1, v6, v20, v1
	;;#ASMEND
	s_nop 0
	;;#ASMSTART
	v_dot2_f32_f16 v1, v7, v21, v1
	;;#ASMEND
	ds_read_b128 v[4:7], v2 offset:16
	ds_read_b128 v[14:17], v31 offset:8976
	ds_read_b128 v[18:21], v31 offset:9488
	s_waitcnt lgkmcnt(1)
	;;#ASMSTART
	v_dot2_f32_f16 v0, v4, v14, v0
	;;#ASMEND
	s_nop 0
	;;#ASMSTART
	v_dot2_f32_f16 v0, v5, v15, v0
	;;#ASMEND
	s_nop 0
	;;#ASMSTART
	v_dot2_f32_f16 v0, v6, v16, v0
	;;#ASMEND
	s_nop 0
	;;#ASMSTART
	v_dot2_f32_f16 v0, v7, v17, v0
	;;#ASMEND
	s_waitcnt lgkmcnt(0)
	;;#ASMSTART
	v_dot2_f32_f16 v1, v4, v18, v1
	;;#ASMEND
	s_nop 0
	;;#ASMSTART
	v_dot2_f32_f16 v1, v5, v19, v1
	;;#ASMEND
	s_nop 0
	;;#ASMSTART
	v_dot2_f32_f16 v1, v6, v20, v1
	;;#ASMEND
	s_nop 0
	;;#ASMSTART
	v_dot2_f32_f16 v1, v7, v21, v1
	;;#ASMEND
	ds_read_b128 v[4:7], v2 offset:32
	ds_read_b128 v[14:17], v31 offset:8992
	ds_read_b128 v[18:21], v31 offset:9504
	s_waitcnt lgkmcnt(1)
	;;#ASMSTART
	v_dot2_f32_f16 v0, v4, v14, v0
	;;#ASMEND
	s_nop 0
	;;#ASMSTART
	v_dot2_f32_f16 v0, v5, v15, v0
	;;#ASMEND
	s_nop 0
	;;#ASMSTART
	v_dot2_f32_f16 v0, v6, v16, v0
	;;#ASMEND
	s_nop 0
	;;#ASMSTART
	v_dot2_f32_f16 v0, v7, v17, v0
	;;#ASMEND
	s_waitcnt lgkmcnt(0)
	;;#ASMSTART
	v_dot2_f32_f16 v1, v4, v18, v1
	;;#ASMEND
	s_nop 0
	;;#ASMSTART
	v_dot2_f32_f16 v1, v5, v19, v1
	;;#ASMEND
	s_nop 0
	;;#ASMSTART
	v_dot2_f32_f16 v1, v6, v20, v1
	;;#ASMEND
	s_nop 0
	;;#ASMSTART
	v_dot2_f32_f16 v1, v7, v21, v1
	;;#ASMEND
	ds_read_b128 v[4:7], v2 offset:48
	ds_read_b128 v[14:17], v31 offset:9008
	ds_read_b128 v[18:21], v31 offset:9520
	s_waitcnt lgkmcnt(1)
	;;#ASMSTART
	v_dot2_f32_f16 v0, v4, v14, v0
	;;#ASMEND
	s_nop 0
	;;#ASMSTART
	v_dot2_f32_f16 v0, v5, v15, v0
	;;#ASMEND
	s_nop 0
	;;#ASMSTART
	v_dot2_f32_f16 v0, v6, v16, v0
	;;#ASMEND
	s_nop 0
	;;#ASMSTART
	v_dot2_f32_f16 v0, v7, v17, v0
	;;#ASMEND
	s_waitcnt lgkmcnt(0)
	;;#ASMSTART
	v_dot2_f32_f16 v1, v4, v18, v1
	;;#ASMEND
	s_nop 0
	;;#ASMSTART
	v_dot2_f32_f16 v1, v5, v19, v1
	;;#ASMEND
	s_nop 0
	;;#ASMSTART
	v_dot2_f32_f16 v1, v6, v20, v1
	;;#ASMEND
	s_nop 0
	;;#ASMSTART
	v_dot2_f32_f16 v1, v7, v21, v1
	;;#ASMEND
	ds_read_b128 v[4:7], v2 offset:64
	ds_read_b128 v[14:17], v31 offset:9024
	ds_read_b128 v[18:21], v31 offset:9536
	s_waitcnt lgkmcnt(1)
	;;#ASMSTART
	v_dot2_f32_f16 v0, v4, v14, v0
	;;#ASMEND
	s_nop 0
	;;#ASMSTART
	v_dot2_f32_f16 v0, v5, v15, v0
	;;#ASMEND
	s_nop 0
	;;#ASMSTART
	v_dot2_f32_f16 v0, v6, v16, v0
	;;#ASMEND
	s_nop 0
	;;#ASMSTART
	v_dot2_f32_f16 v0, v7, v17, v0
	;;#ASMEND
	s_waitcnt lgkmcnt(0)
	;;#ASMSTART
	v_dot2_f32_f16 v1, v4, v18, v1
	;;#ASMEND
	s_nop 0
	;;#ASMSTART
	v_dot2_f32_f16 v1, v5, v19, v1
	;;#ASMEND
	s_nop 0
	;;#ASMSTART
	v_dot2_f32_f16 v1, v6, v20, v1
	;;#ASMEND
	s_nop 0
	;;#ASMSTART
	v_dot2_f32_f16 v1, v7, v21, v1
	;;#ASMEND
	ds_read_b128 v[4:7], v2 offset:80
	ds_read_b128 v[14:17], v31 offset:9040
	ds_read_b128 v[18:21], v31 offset:9552
	s_waitcnt lgkmcnt(1)
	;;#ASMSTART
	v_dot2_f32_f16 v0, v4, v14, v0
	;;#ASMEND
	s_nop 0
	;;#ASMSTART
	v_dot2_f32_f16 v0, v5, v15, v0
	;;#ASMEND
	s_nop 0
	;;#ASMSTART
	v_dot2_f32_f16 v0, v6, v16, v0
	;;#ASMEND
	s_nop 0
	;;#ASMSTART
	v_dot2_f32_f16 v0, v7, v17, v0
	;;#ASMEND
	s_waitcnt lgkmcnt(0)
	;;#ASMSTART
	v_dot2_f32_f16 v1, v4, v18, v1
	;;#ASMEND
	s_nop 0
	;;#ASMSTART
	v_dot2_f32_f16 v1, v5, v19, v1
	;;#ASMEND
	s_nop 0
	;;#ASMSTART
	v_dot2_f32_f16 v1, v6, v20, v1
	;;#ASMEND
	s_nop 0
	;;#ASMSTART
	v_dot2_f32_f16 v1, v7, v21, v1
	;;#ASMEND
	ds_read_b128 v[4:7], v2 offset:96
	ds_read_b128 v[14:17], v31 offset:9056
	ds_read_b128 v[18:21], v31 offset:9568
	s_waitcnt lgkmcnt(1)
	;;#ASMSTART
	v_dot2_f32_f16 v0, v4, v14, v0
	;;#ASMEND
	s_nop 0
	;;#ASMSTART
	v_dot2_f32_f16 v0, v5, v15, v0
	;;#ASMEND
	s_nop 0
	;;#ASMSTART
	v_dot2_f32_f16 v0, v6, v16, v0
	;;#ASMEND
	s_nop 0
	;;#ASMSTART
	v_dot2_f32_f16 v0, v7, v17, v0
	;;#ASMEND
	s_waitcnt lgkmcnt(0)
	;;#ASMSTART
	v_dot2_f32_f16 v1, v4, v18, v1
	;;#ASMEND
	s_nop 0
	;;#ASMSTART
	v_dot2_f32_f16 v1, v5, v19, v1
	;;#ASMEND
	s_nop 0
	;;#ASMSTART
	v_dot2_f32_f16 v1, v6, v20, v1
	;;#ASMEND
	s_nop 0
	;;#ASMSTART
	v_dot2_f32_f16 v1, v7, v21, v1
	;;#ASMEND
	ds_read_b128 v[4:7], v2 offset:112
	ds_read_b128 v[14:17], v31 offset:9072
	ds_read_b128 v[18:21], v31 offset:9584
	s_waitcnt lgkmcnt(1)
	;;#ASMSTART
	v_dot2_f32_f16 v0, v4, v14, v0
	;;#ASMEND
	s_nop 0
	;;#ASMSTART
	v_dot2_f32_f16 v0, v5, v15, v0
	;;#ASMEND
	s_nop 0
	;;#ASMSTART
	v_dot2_f32_f16 v0, v6, v16, v0
	;;#ASMEND
	s_nop 0
	;;#ASMSTART
	v_dot2_f32_f16 v0, v7, v17, v0
	;;#ASMEND
	s_waitcnt lgkmcnt(0)
	;;#ASMSTART
	v_dot2_f32_f16 v1, v4, v18, v1
	;;#ASMEND
	s_nop 0
	;;#ASMSTART
	v_dot2_f32_f16 v1, v5, v19, v1
	;;#ASMEND
	s_nop 0
	;;#ASMSTART
	v_dot2_f32_f16 v1, v6, v20, v1
	;;#ASMEND
	s_nop 0
	;;#ASMSTART
	v_dot2_f32_f16 v1, v7, v21, v1
	;;#ASMEND
	ds_read_b128 v[4:7], v2 offset:128
	ds_read_b128 v[14:17], v31 offset:9088
	ds_read_b128 v[18:21], v31 offset:9600
	s_waitcnt lgkmcnt(1)
	;;#ASMSTART
	v_dot2_f32_f16 v0, v4, v14, v0
	;;#ASMEND
	s_nop 0
	;;#ASMSTART
	v_dot2_f32_f16 v0, v5, v15, v0
	;;#ASMEND
	s_nop 0
	;;#ASMSTART
	v_dot2_f32_f16 v0, v6, v16, v0
	;;#ASMEND
	s_nop 0
	;;#ASMSTART
	v_dot2_f32_f16 v0, v7, v17, v0
	;;#ASMEND
	s_waitcnt lgkmcnt(0)
	;;#ASMSTART
	v_dot2_f32_f16 v1, v4, v18, v1
	;;#ASMEND
	s_nop 0
	;;#ASMSTART
	v_dot2_f32_f16 v1, v5, v19, v1
	;;#ASMEND
	s_nop 0
	;;#ASMSTART
	v_dot2_f32_f16 v1, v6, v20, v1
	;;#ASMEND
	s_nop 0
	;;#ASMSTART
	v_dot2_f32_f16 v1, v7, v21, v1
	;;#ASMEND
	ds_read_b128 v[4:7], v2 offset:144
	ds_read_b128 v[14:17], v31 offset:9104
	ds_read_b128 v[18:21], v31 offset:9616
	s_waitcnt lgkmcnt(1)
	;;#ASMSTART
	v_dot2_f32_f16 v0, v4, v14, v0
	;;#ASMEND
	s_nop 0
	;;#ASMSTART
	v_dot2_f32_f16 v0, v5, v15, v0
	;;#ASMEND
	s_nop 0
	;;#ASMSTART
	v_dot2_f32_f16 v0, v6, v16, v0
	;;#ASMEND
	s_nop 0
	;;#ASMSTART
	v_dot2_f32_f16 v0, v7, v17, v0
	;;#ASMEND
	s_waitcnt lgkmcnt(0)
	;;#ASMSTART
	v_dot2_f32_f16 v1, v4, v18, v1
	;;#ASMEND
	s_nop 0
	;;#ASMSTART
	v_dot2_f32_f16 v1, v5, v19, v1
	;;#ASMEND
	s_nop 0
	;;#ASMSTART
	v_dot2_f32_f16 v1, v6, v20, v1
	;;#ASMEND
	s_nop 0
	;;#ASMSTART
	v_dot2_f32_f16 v1, v7, v21, v1
	;;#ASMEND
	ds_read_b128 v[4:7], v2 offset:160
	ds_read_b128 v[14:17], v31 offset:9120
	ds_read_b128 v[18:21], v31 offset:9632
	s_waitcnt lgkmcnt(1)
	;;#ASMSTART
	v_dot2_f32_f16 v0, v4, v14, v0
	;;#ASMEND
	s_nop 0
	;;#ASMSTART
	v_dot2_f32_f16 v0, v5, v15, v0
	;;#ASMEND
	s_nop 0
	;;#ASMSTART
	v_dot2_f32_f16 v0, v6, v16, v0
	;;#ASMEND
	s_nop 0
	;;#ASMSTART
	v_dot2_f32_f16 v0, v7, v17, v0
	;;#ASMEND
	s_waitcnt lgkmcnt(0)
	;;#ASMSTART
	v_dot2_f32_f16 v1, v4, v18, v1
	;;#ASMEND
	s_nop 0
	;;#ASMSTART
	v_dot2_f32_f16 v1, v5, v19, v1
	;;#ASMEND
	s_nop 0
	;;#ASMSTART
	v_dot2_f32_f16 v1, v6, v20, v1
	;;#ASMEND
	s_nop 0
	;;#ASMSTART
	v_dot2_f32_f16 v1, v7, v21, v1
	;;#ASMEND
	ds_read_b128 v[4:7], v2 offset:176
	ds_read_b128 v[14:17], v31 offset:9136
	ds_read_b128 v[18:21], v31 offset:9648
	s_waitcnt lgkmcnt(1)
	;;#ASMSTART
	v_dot2_f32_f16 v0, v4, v14, v0
	;;#ASMEND
	s_nop 0
	;;#ASMSTART
	v_dot2_f32_f16 v0, v5, v15, v0
	;;#ASMEND
	s_nop 0
	;;#ASMSTART
	v_dot2_f32_f16 v0, v6, v16, v0
	;;#ASMEND
	s_nop 0
	;;#ASMSTART
	v_dot2_f32_f16 v0, v7, v17, v0
	;;#ASMEND
	s_waitcnt lgkmcnt(0)
	;;#ASMSTART
	v_dot2_f32_f16 v1, v4, v18, v1
	;;#ASMEND
	s_nop 0
	;;#ASMSTART
	v_dot2_f32_f16 v1, v5, v19, v1
	;;#ASMEND
	s_nop 0
	;;#ASMSTART
	v_dot2_f32_f16 v1, v6, v20, v1
	;;#ASMEND
	s_nop 0
	;;#ASMSTART
	v_dot2_f32_f16 v1, v7, v21, v1
	;;#ASMEND
	ds_read_b128 v[4:7], v2 offset:192
	ds_read_b128 v[14:17], v31 offset:9152
	ds_read_b128 v[18:21], v31 offset:9664
	s_waitcnt lgkmcnt(1)
	;;#ASMSTART
	v_dot2_f32_f16 v0, v4, v14, v0
	;;#ASMEND
	s_nop 0
	;;#ASMSTART
	v_dot2_f32_f16 v0, v5, v15, v0
	;;#ASMEND
	s_nop 0
	;;#ASMSTART
	v_dot2_f32_f16 v0, v6, v16, v0
	;;#ASMEND
	s_nop 0
	;;#ASMSTART
	v_dot2_f32_f16 v0, v7, v17, v0
	;;#ASMEND
	s_waitcnt lgkmcnt(0)
	;;#ASMSTART
	v_dot2_f32_f16 v1, v4, v18, v1
	;;#ASMEND
	s_nop 0
	;;#ASMSTART
	v_dot2_f32_f16 v1, v5, v19, v1
	;;#ASMEND
	s_nop 0
	;;#ASMSTART
	v_dot2_f32_f16 v1, v6, v20, v1
	;;#ASMEND
	s_nop 0
	;;#ASMSTART
	v_dot2_f32_f16 v1, v7, v21, v1
	;;#ASMEND
	ds_read_b128 v[4:7], v2 offset:208
	ds_read_b128 v[14:17], v31 offset:9168
	ds_read_b128 v[18:21], v31 offset:9680
	s_waitcnt lgkmcnt(1)
	;;#ASMSTART
	v_dot2_f32_f16 v0, v4, v14, v0
	;;#ASMEND
	s_nop 0
	;;#ASMSTART
	v_dot2_f32_f16 v0, v5, v15, v0
	;;#ASMEND
	s_nop 0
	;;#ASMSTART
	v_dot2_f32_f16 v0, v6, v16, v0
	;;#ASMEND
	s_nop 0
	;;#ASMSTART
	v_dot2_f32_f16 v0, v7, v17, v0
	;;#ASMEND
	s_waitcnt lgkmcnt(0)
	;;#ASMSTART
	v_dot2_f32_f16 v1, v4, v18, v1
	;;#ASMEND
	s_nop 0
	;;#ASMSTART
	v_dot2_f32_f16 v1, v5, v19, v1
	;;#ASMEND
	s_nop 0
	;;#ASMSTART
	v_dot2_f32_f16 v1, v6, v20, v1
	;;#ASMEND
	s_nop 0
	;;#ASMSTART
	v_dot2_f32_f16 v1, v7, v21, v1
	;;#ASMEND
	ds_read_b128 v[4:7], v2 offset:224
	ds_read_b128 v[14:17], v31 offset:9184
	ds_read_b128 v[18:21], v31 offset:9696
	s_waitcnt lgkmcnt(1)
	;;#ASMSTART
	v_dot2_f32_f16 v0, v4, v14, v0
	;;#ASMEND
	s_nop 0
	;;#ASMSTART
	v_dot2_f32_f16 v0, v5, v15, v0
	;;#ASMEND
	s_nop 0
	;;#ASMSTART
	v_dot2_f32_f16 v0, v6, v16, v0
	;;#ASMEND
	s_nop 0
	;;#ASMSTART
	v_dot2_f32_f16 v0, v7, v17, v0
	;;#ASMEND
	s_waitcnt lgkmcnt(0)
	;;#ASMSTART
	v_dot2_f32_f16 v1, v4, v18, v1
	;;#ASMEND
	s_nop 0
	;;#ASMSTART
	v_dot2_f32_f16 v1, v5, v19, v1
	;;#ASMEND
	s_nop 0
	;;#ASMSTART
	v_dot2_f32_f16 v1, v6, v20, v1
	;;#ASMEND
	s_nop 0
	;;#ASMSTART
	v_dot2_f32_f16 v1, v7, v21, v1
	;;#ASMEND
	ds_read_b128 v[2:5], v2 offset:240
	ds_read_b128 v[14:17], v31 offset:9200
	ds_read_b128 v[18:21], v31 offset:9712
	s_waitcnt lgkmcnt(1)
	;;#ASMSTART
	v_dot2_f32_f16 v0, v2, v14, v0
	;;#ASMEND
	s_nop 0
	;;#ASMSTART
	v_dot2_f32_f16 v0, v3, v15, v0
	;;#ASMEND
	s_nop 0
	;; [unrolled: 4-line block ×3, first 2 shown]
	;;#ASMSTART
	v_dot2_f32_f16 v0, v5, v17, v0
	;;#ASMEND
	s_waitcnt lgkmcnt(0)
	;;#ASMSTART
	v_dot2_f32_f16 v1, v2, v18, v1
	;;#ASMEND
	s_nop 0
	;;#ASMSTART
	v_dot2_f32_f16 v1, v3, v19, v1
	;;#ASMEND
	v_cmp_nlt_f32_e64 s[4:5], |v0|, s4
	;;#ASMSTART
	v_dot2_f32_f16 v1, v4, v20, v1
	;;#ASMEND
                                        ; implicit-def: $vgpr3
	s_nop 0
	;;#ASMSTART
	v_dot2_f32_f16 v1, v5, v21, v1
	;;#ASMEND
	s_and_saveexec_b64 s[6:7], s[4:5]
	s_xor_b64 s[4:5], exec, s[6:7]
	s_cbranch_execz .LBB71_30
; %bb.29:
	v_add_f32_e64 v2, |v0|, |v0|
	v_mul_f32_e32 v3, 0x3fb8aa3b, v2
	s_mov_b32 s6, 0x3fb8aa3b
	v_rndne_f32_e32 v4, v3
	v_sub_f32_e32 v5, v3, v4
	v_fma_f32 v3, v2, s6, -v3
	v_fmamk_f32 v3, v2, 0x32a5705f, v3
	v_add_f32_e32 v3, v5, v3
	v_exp_f32_e32 v3, v3
	v_cvt_i32_f32_e32 v4, v4
	s_mov_b32 s6, 0xc2ce8ed0
	v_cmp_ngt_f32_e32 vcc, s6, v2
	s_mov_b32 s6, 0x42b17218
	v_ldexp_f32 v3, v3, v4
	v_cndmask_b32_e32 v3, 0, v3, vcc
	v_mov_b32_e32 v4, 0x7f800000
	v_cmp_nlt_f32_e32 vcc, s6, v2
	s_nop 1
	v_cndmask_b32_e32 v2, v4, v3, vcc
	v_add_f32_e32 v2, 1.0, v2
	v_rcp_f32_e32 v2, v2
	s_nop 0
	v_fma_f32 v3, v2, -2.0, 1.0
.LBB71_30:
	s_andn2_saveexec_b64 s[4:5], s[4:5]
; %bb.31:
	v_mul_f32_e32 v2, v0, v0
	v_mov_b32_e32 v3, 0x3ca908c9
	v_fmac_f32_e32 v3, 0xbbbac73d, v2
	v_fmaak_f32 v3, v2, v3, 0xbd5c1c4e
	v_fmaak_f32 v3, v2, v3, 0x3e088382
	;; [unrolled: 1-line block ×3, first 2 shown]
	v_mul_f32_e64 v3, |v0|, v3
	v_fma_f32 v3, v2, v3, |v0|
; %bb.32:
	s_or_b64 exec, exec, s[4:5]
	s_cmp_lg_u64 s[36:37], 0
	s_brev_b32 s4, -2
	v_bfi_b32 v0, s4, v3, v0
	s_cselect_b64 s[4:5], -1, 0
	v_cndmask_b32_e64 v3, 0, 1, s[4:5]
	v_cmp_gt_i32_e64 s[6:7], s10, v52
	v_add_u32_e32 v2, s18, v52
	v_mul_f32_e32 v0, s15, v0
	v_cmp_ne_u32_e64 s[4:5], 1, v3
	v_mov_b64_e32 v[4:5], v[10:11]
	v_mov_b32_e32 v3, v10
	s_and_saveexec_b64 s[8:9], s[6:7]
	s_cbranch_execz .LBB71_37
; %bb.33:
	s_and_b64 vcc, exec, s[4:5]
	s_cbranch_vccnz .LBB71_35
; %bb.34:
	v_mad_u64_u32 v[4:5], s[28:29], v30, s19, v[2:3]
	v_ashrrev_i32_e32 v5, 31, v4
	v_lshl_add_u64 v[4:5], v[4:5], 1, s[36:37]
	global_load_ushort v3, v[4:5], off
	s_waitcnt vmcnt(0)
	v_cvt_f32_f16_e32 v3, v3
	v_mul_f32_e32 v3, v13, v3
	s_branch .LBB71_36
.LBB71_35:
	v_mov_b32_e32 v3, 0
.LBB71_36:
	v_add_f32_e32 v0, v0, v3
	v_add_f32_e32 v3, 0x40051340, v0
	v_max_f32_e32 v4, v10, v10
	v_max_f32_e32 v3, v4, v3
	v_mov_b64_e32 v[4:5], v[10:11]
.LBB71_37:
	s_or_b64 exec, exec, s[8:9]
	v_mbcnt_hi_u32_b32 v55, -1, v34
	v_and_b32_e32 v4, 0x60, v55
	v_add_u32_e32 v56, 32, v4
	v_xor_b32_e32 v57, 16, v55
	v_cmp_lt_i32_e32 vcc, v57, v56
	v_xor_b32_e32 v58, 8, v55
	v_xor_b32_e32 v59, 4, v55
	v_cndmask_b32_e32 v4, v55, v57, vcc
	v_lshlrev_b32_e32 v7, 2, v4
	ds_bpermute_b32 v4, v7, v3
	v_cmp_lt_i32_e32 vcc, v58, v56
	v_max_f32_e32 v3, v3, v3
	v_xor_b32_e32 v60, 2, v55
	v_cndmask_b32_e32 v6, v55, v58, vcc
	s_waitcnt lgkmcnt(0)
	v_max_f32_e32 v4, v4, v4
	v_lshlrev_b32_e32 v9, 2, v6
	v_max_f32_e32 v3, v3, v4
	ds_bpermute_b32 v4, v9, v3
	v_cmp_lt_i32_e32 vcc, v59, v56
	v_xor_b32_e32 v61, 1, v55
	s_mov_b32 s8, 0x3f200000
	v_cndmask_b32_e32 v6, v55, v59, vcc
	s_waitcnt lgkmcnt(0)
	v_max_f32_e32 v4, v4, v4
	v_lshlrev_b32_e32 v6, 2, v6
	v_max_f32_e32 v3, v3, v4
	ds_bpermute_b32 v12, v6, v3
	v_cmp_lt_i32_e32 vcc, v60, v56
	v_cmp_nlt_f32_e64 s[8:9], |v1|, s8
                                        ; implicit-def: $vgpr15
	s_waitcnt lgkmcnt(0)
	v_max_f32_e32 v12, v12, v12
	v_cndmask_b32_e32 v4, v55, v60, vcc
	v_lshlrev_b32_e32 v4, 2, v4
	v_max_f32_e32 v12, v3, v12
	ds_bpermute_b32 v14, v4, v12
	v_cmp_lt_i32_e32 vcc, v61, v56
	s_waitcnt lgkmcnt(0)
	v_max_f32_e32 v14, v14, v14
	v_cndmask_b32_e32 v3, v55, v61, vcc
	v_lshlrev_b32_e32 v3, 2, v3
	v_max_f32_e32 v12, v12, v14
	ds_bpermute_b32 v14, v3, v12
	s_and_saveexec_b64 s[28:29], s[8:9]
	s_xor_b64 s[8:9], exec, s[28:29]
	s_cbranch_execz .LBB71_39
; %bb.38:
	v_add_f32_e64 v15, |v1|, |v1|
	v_mul_f32_e32 v16, 0x3fb8aa3b, v15
	s_mov_b32 s11, 0x3fb8aa3b
	v_rndne_f32_e32 v17, v16
	v_sub_f32_e32 v18, v16, v17
	v_fma_f32 v16, v15, s11, -v16
	v_fmamk_f32 v16, v15, 0x32a5705f, v16
	v_add_f32_e32 v16, v18, v16
	v_exp_f32_e32 v16, v16
	v_cvt_i32_f32_e32 v17, v17
	s_mov_b32 s11, 0xc2ce8ed0
	v_cmp_ngt_f32_e32 vcc, s11, v15
	s_mov_b32 s11, 0x42b17218
	v_ldexp_f32 v16, v16, v17
	v_cndmask_b32_e32 v16, 0, v16, vcc
	v_mov_b32_e32 v17, 0x7f800000
	v_cmp_nlt_f32_e32 vcc, s11, v15
	s_nop 1
	v_cndmask_b32_e32 v15, v17, v16, vcc
	v_add_f32_e32 v15, 1.0, v15
	v_rcp_f32_e32 v15, v15
	s_nop 0
	v_fma_f32 v15, v15, -2.0, 1.0
.LBB71_39:
	s_andn2_saveexec_b64 s[8:9], s[8:9]
; %bb.40:
	v_mul_f32_e32 v15, v1, v1
	v_mov_b32_e32 v16, 0x3ca908c9
	v_fmac_f32_e32 v16, 0xbbbac73d, v15
	v_fmaak_f32 v16, v15, v16, 0xbd5c1c4e
	v_fmaak_f32 v16, v15, v16, 0x3e088382
	;; [unrolled: 1-line block ×3, first 2 shown]
	v_mul_f32_e64 v16, |v1|, v16
	v_fma_f32 v15, v15, v16, |v1|
; %bb.41:
	s_or_b64 exec, exec, s[8:9]
	s_brev_b32 s8, -2
	s_waitcnt lgkmcnt(0)
	v_max_f32_e32 v14, v14, v14
	v_max_f32_e32 v12, v12, v12
	v_bfi_b32 v1, s8, v15, v1
	v_max_f32_e32 v44, v12, v14
	v_mul_f32_e32 v1, s15, v1
	s_and_saveexec_b64 s[8:9], s[6:7]
	s_cbranch_execz .LBB71_46
; %bb.42:
	s_and_b64 vcc, exec, s[4:5]
	s_cbranch_vccnz .LBB71_44
; %bb.43:
	v_or_b32_e32 v12, 1, v53
	v_mul_hi_u32 v14, s24, v12
	v_add_u32_e32 v14, v12, v14
	v_lshrrev_b32_e32 v14, s25, v14
	v_mul_lo_u32 v14, v14, s26
	v_sub_u32_e32 v12, v12, v14
	v_mad_u64_u32 v[14:15], s[4:5], v12, s19, v[2:3]
	v_ashrrev_i32_e32 v15, 31, v14
	v_lshl_add_u64 v[14:15], v[14:15], 1, s[36:37]
	global_load_ushort v2, v[14:15], off
	s_waitcnt vmcnt(0)
	v_cvt_f32_f16_e32 v2, v2
	v_mul_f32_e32 v2, v13, v2
	s_branch .LBB71_45
.LBB71_44:
	v_mov_b32_e32 v2, 0
.LBB71_45:
	v_add_f32_e32 v1, v1, v2
	v_add_f32_e32 v2, 0x40051340, v1
	v_max_f32_e32 v5, v5, v5
	v_max_f32_e32 v5, v5, v2
.LBB71_46:
	s_or_b64 exec, exec, s[8:9]
	ds_bpermute_b32 v2, v7, v5
	v_max_f32_e32 v5, v5, v5
	v_sub_f32_e32 v0, v0, v44
	s_mov_b32 s8, 0x3fb8aa3b
	s_mov_b32 s9, 0xc2ce8ed0
	s_waitcnt lgkmcnt(0)
	v_max_f32_e32 v2, v2, v2
	v_max_f32_e32 v2, v5, v2
	ds_bpermute_b32 v5, v9, v2
	v_cmp_ngt_f32_e32 vcc, s9, v0
	s_mov_b32 s11, 0x42b17218
	v_lshlrev_b32_e32 v62, 7, v38
	s_mov_b64 s[6:7], src_private_base
	s_waitcnt lgkmcnt(0)
	v_max_f32_e32 v5, v5, v5
	v_max_f32_e32 v2, v2, v5
	ds_bpermute_b32 v5, v6, v2
	v_mul_f32_e32 v6, 0x3fb8aa3b, v0
	v_fma_f32 v7, v0, s8, -v6
	v_rndne_f32_e32 v9, v6
	v_fmac_f32_e32 v7, 0x32a5705f, v0
	s_waitcnt lgkmcnt(0)
	v_max_f32_e32 v5, v5, v5
	v_max_f32_e32 v2, v2, v5
	ds_bpermute_b32 v4, v4, v2
	v_sub_f32_e32 v5, v6, v9
	v_add_f32_e32 v5, v5, v7
	v_cvt_i32_f32_e32 v6, v9
	v_exp_f32_e32 v5, v5
	s_waitcnt lgkmcnt(0)
	v_max_f32_e32 v4, v4, v4
	v_max_f32_e32 v2, v2, v4
	ds_bpermute_b32 v3, v3, v2
	v_ldexp_f32 v4, v5, v6
	v_mov_b32_e32 v7, 0x7f800000
	v_ashrrev_i32_e32 v9, 31, v8
	v_lshlrev_b64 v[36:37], 2, v[8:9]
	s_waitcnt lgkmcnt(0)
	v_max_f32_e32 v3, v3, v3
	v_max_f32_e32 v45, v2, v3
	v_sub_f32_e32 v1, v1, v45
	v_mul_f32_e32 v3, 0x3fb8aa3b, v1
	v_cndmask_b32_e32 v2, 0, v4, vcc
	v_fma_f32 v4, v1, s8, -v3
	v_rndne_f32_e32 v5, v3
	v_fmac_f32_e32 v4, 0x32a5705f, v1
	v_sub_f32_e32 v3, v3, v5
	v_add_f32_e32 v3, v3, v4
	v_exp_f32_e32 v3, v3
	v_cvt_i32_f32_e32 v4, v5
	v_cmp_nlt_f32_e32 vcc, s11, v0
	v_cmp_ngt_f32_e64 s[4:5], s9, v1
	s_nop 0
	v_cndmask_b32_e32 v0, v7, v2, vcc
	v_cmp_gt_u32_e32 vcc, s10, v52
	s_barrier
	s_nop 0
	v_cndmask_b32_e32 v6, 0, v0, vcc
	v_ldexp_f32 v0, v3, v4
	v_cndmask_b32_e64 v0, 0, v0, s[4:5]
	v_cmp_nlt_f32_e64 s[4:5], s11, v1
	v_mov_b32_e32 v43, 0
	v_mov_b32_e32 v68, s7
	v_cndmask_b32_e64 v0, v7, v0, s[4:5]
	s_movk_i32 s4, 0x4200
	v_cndmask_b32_e32 v12, 0, v0, vcc
	v_add3_u32 v0, v62, s4, v49
	s_mul_hi_i32 s5, s18, s2
	s_mul_i32 s4, s18, s2
	s_lshl_b64 s[4:5], s[4:5], 2
	s_add_u32 s24, s12, s4
	s_mov_b32 s4, 0
	v_cvt_pk_f16_f32 v1, v6, v12
	s_addc_u32 s25, s13, s5
	s_mov_b32 s6, s4
	ds_write_b32 v0, v1
	s_mov_b32 s5, s4
	v_mov_b32_e32 v86, s6
	v_lshl_add_u64 v[0:1], s[24:25], 0, v[36:37]
	v_mov_b32_e32 v85, s5
	v_mov_b32_e32 v84, s4
	v_lshl_add_u64 v[0:1], v[0:1], 0, v[42:43]
	v_cmp_gt_i32_e32 vcc, s10, v38
	v_mov_b32_e32 v69, 0
	scratch_store_dword off, v43, off
	scratch_store_dwordx3 off, v[84:86], off offset:4
	v_cndmask_b32_e32 v1, v68, v1, vcc
	v_cndmask_b32_e32 v0, v69, v0, vcc
	flat_load_dwordx4 v[0:3], v[0:1]
	v_lshl_add_u32 v4, s2, 3, v8
	v_ashrrev_i32_e32 v5, 31, v4
	v_lshlrev_b64 v[46:47], 2, v[4:5]
	v_add_u32_e32 v70, 8, v38
	v_lshl_add_u64 v[4:5], s[24:25], 0, v[46:47]
	v_lshl_add_u32 v65, v38, 9, v42
	v_cmp_gt_i32_e32 vcc, s10, v70
	v_lshl_add_u64 v[4:5], v[4:5], 0, v[42:43]
	scratch_store_dword off, v43, off
	scratch_store_dwordx3 off, v[84:86], off offset:4
	v_cndmask_b32_e32 v5, v68, v5, vcc
	v_cndmask_b32_e32 v4, v69, v4, vcc
	s_mov_b32 s6, 0x10001
	v_lshl_add_u32 v66, v70, 9, v42
	v_add_u32_e32 v63, 0x800, v54
	v_add_u32_e32 v64, 0x1000, v54
	s_waitcnt vmcnt(0) lgkmcnt(0)
	ds_write_b128 v65, v[0:3]
	flat_load_dwordx4 v[0:3], v[4:5]
	v_sub_f32_e32 v4, v10, v44
	v_mul_f32_e32 v5, 0x3fb8aa3b, v4
	v_fma_f32 v8, v4, s8, -v5
	v_rndne_f32_e32 v9, v5
	v_fmac_f32_e32 v8, 0x32a5705f, v4
	v_sub_f32_e32 v5, v5, v9
	v_add_f32_e32 v5, v5, v8
	v_cvt_i32_f32_e32 v9, v9
	v_exp_f32_e32 v5, v5
	v_cmp_ngt_f32_e32 vcc, s9, v4
	v_cmp_nlt_f32_e64 s[4:5], s11, v4
	v_ldexp_f32 v4, v5, v9
	v_cndmask_b32_e32 v4, 0, v4, vcc
	v_cndmask_b32_e64 v4, v7, v4, s[4:5]
	v_cvt_f16_f32_e32 v5, v4
	v_fma_f32 v40, v40, v4, v6
	v_sub_f32_e32 v4, v11, v45
	v_cmp_ngt_f32_e32 vcc, s9, v4
	v_mul_u32_u24_e32 v34, 0x10001, v5
	v_mul_f32_e32 v5, 0x3fb8aa3b, v4
	v_fma_f32 v6, v4, s8, -v5
	v_rndne_f32_e32 v8, v5
	v_fmac_f32_e32 v6, 0x32a5705f, v4
	v_sub_f32_e32 v5, v5, v8
	v_add_f32_e32 v5, v5, v6
	v_cvt_i32_f32_e32 v8, v8
	v_exp_f32_e32 v5, v5
	v_cmp_nlt_f32_e64 s[4:5], s11, v4
	v_pk_mul_f16 v13, v29, v34
	v_pk_mul_f16 v14, v28, v34
	v_ldexp_f32 v4, v5, v8
	v_cndmask_b32_e32 v4, 0, v4, vcc
	v_cndmask_b32_e64 v4, v7, v4, s[4:5]
	v_cvt_f16_f32_e32 v5, v4
	s_or_b32 s4, s18, 16
	v_pk_mul_f16 v15, v27, v34
	v_fma_f32 v41, v41, v4, v12
	v_mul_u32_u24_e32 v35, 0x10001, v5
	v_pk_mul_f16 v12, v26, v35
	v_pk_mul_f16 v39, v24, v35
	;; [unrolled: 1-line block ×3, first 2 shown]
	s_mul_hi_i32 s5, s4, s2
	s_mul_i32 s4, s4, s2
	s_lshl_b64 s[4:5], s[4:5], 2
	s_add_u32 s4, s12, s4
	s_addc_u32 s5, s13, s5
	s_add_i32 s10, s10, -16
	v_lshl_add_u64 v[36:37], s[4:5], 0, v[36:37]
	v_lshl_add_u64 v[36:37], v[36:37], 0, v[42:43]
	v_cmp_gt_i32_e32 vcc, s10, v38
	v_lshl_add_u64 v[46:47], s[4:5], 0, v[46:47]
	v_lshl_add_u64 v[46:47], v[46:47], 0, v[42:43]
	s_waitcnt vmcnt(0) lgkmcnt(0)
	ds_write_b128 v66, v[0:3]
	s_waitcnt lgkmcnt(0)
	s_barrier
	ds_read2_b64 v[0:3], v54 offset1:32
	ds_read_b128 v[8:11], v62 offset:16896
	ds_read_b128 v[16:19], v62 offset:16912
	;; [unrolled: 1-line block ×4, first 2 shown]
	ds_read2_b64 v[20:23], v54 offset0:64 offset1:96
	ds_read2_b64 v[92:95], v54 offset0:128 offset1:160
	;; [unrolled: 1-line block ×3, first 2 shown]
	ds_read2_b64 v[100:103], v63 offset1:32
	ds_read2_b64 v[28:31], v63 offset0:64 offset1:96
	ds_read2_b64 v[4:7], v63 offset0:128 offset1:160
	s_waitcnt lgkmcnt(9)
	v_mul_u32_u24_sdwa v71, v8, s6 dst_sel:DWORD dst_unused:UNUSED_PAD src0_sel:WORD_0 src1_sel:DWORD
	v_mul_u32_u24_sdwa v72, v8, s6 dst_sel:DWORD dst_unused:UNUSED_PAD src0_sel:WORD_1 src1_sel:DWORD
	v_pk_fma_f16 v75, v1, v71, v13
	v_pk_fma_f16 v76, v2, v71, v14
	;; [unrolled: 1-line block ×3, first 2 shown]
	v_pk_mul_f16 v71, v0, v71
	v_pk_mul_f16 v0, v0, v72
	v_mul_u32_u24_sdwa v73, v9, s6 dst_sel:DWORD dst_unused:UNUSED_PAD src0_sel:WORD_0 src1_sel:DWORD
	v_mul_u32_u24_sdwa v74, v9, s6 dst_sel:DWORD dst_unused:UNUSED_PAD src0_sel:WORD_1 src1_sel:DWORD
	v_pk_fma_f16 v80, v1, v72, v12
	v_pk_fma_f16 v39, v2, v72, v39
	v_pk_fma_f16 v67, v3, v72, v67
	v_pk_fma_f16 v33, v33, v34, v71
	v_pk_fma_f16 v32, v32, v35, v0
	v_mul_u32_u24_sdwa v77, v10, s6 dst_sel:DWORD dst_unused:UNUSED_PAD src0_sel:WORD_0 src1_sel:DWORD
	v_mul_u32_u24_sdwa v78, v10, s6 dst_sel:DWORD dst_unused:UNUSED_PAD src0_sel:WORD_1 src1_sel:DWORD
	s_waitcnt lgkmcnt(5)
	v_pk_fma_f16 v35, v21, v73, v75
	v_pk_fma_f16 v71, v22, v73, v76
	v_pk_fma_f16 v72, v23, v73, v79
	v_pk_fma_f16 v33, v20, v73, v33
	v_pk_fma_f16 v21, v21, v74, v80
	v_pk_fma_f16 v22, v22, v74, v39
	v_pk_fma_f16 v23, v23, v74, v67
	v_pk_fma_f16 v20, v20, v74, v32
	v_mul_u32_u24_sdwa v83, v11, s6 dst_sel:DWORD dst_unused:UNUSED_PAD src0_sel:WORD_0 src1_sel:DWORD
	v_mul_u32_u24_sdwa v87, v11, s6 dst_sel:DWORD dst_unused:UNUSED_PAD src0_sel:WORD_1 src1_sel:DWORD
	s_waitcnt lgkmcnt(4)
	v_pk_fma_f16 v32, v93, v77, v35
	v_pk_fma_f16 v35, v94, v77, v71
	v_pk_fma_f16 v39, v95, v77, v72
	;; [unrolled: 11-line block ×4, first 2 shown]
	v_pk_fma_f16 v95, v102, v104, v22
	v_pk_fma_f16 v96, v103, v34, v39
	;; [unrolled: 1-line block ×5, first 2 shown]
	v_add_u32_e32 v67, 0x1800, v54
	v_cndmask_b32_e32 v93, v68, v37, vcc
	v_cndmask_b32_e32 v92, v69, v36, vcc
	v_cmp_gt_i32_e32 vcc, s10, v70
	ds_read2_b64 v[8:11], v63 offset0:192 offset1:224
	ds_read2_b64 v[12:15], v64 offset1:32
	ds_read2_b64 v[0:3], v64 offset0:64 offset1:96
	v_mul_u32_u24_sdwa v81, v18, s6 dst_sel:DWORD dst_unused:UNUSED_PAD src0_sel:WORD_0 src1_sel:DWORD
	v_mul_u32_u24_sdwa v82, v18, s6 dst_sel:DWORD dst_unused:UNUSED_PAD src0_sel:WORD_1 src1_sel:DWORD
	v_mul_u32_u24_sdwa v75, v19, s6 dst_sel:DWORD dst_unused:UNUSED_PAD src0_sel:WORD_0 src1_sel:DWORD
	v_mul_u32_u24_sdwa v76, v19, s6 dst_sel:DWORD dst_unused:UNUSED_PAD src0_sel:WORD_1 src1_sel:DWORD
	ds_read2_b64 v[16:19], v64 offset0:128 offset1:160
	v_mul_u32_u24_sdwa v79, v88, s6 dst_sel:DWORD dst_unused:UNUSED_PAD src0_sel:WORD_0 src1_sel:DWORD
	v_mul_u32_u24_sdwa v80, v88, s6 dst_sel:DWORD dst_unused:UNUSED_PAD src0_sel:WORD_1 src1_sel:DWORD
	v_mul_u32_u24_sdwa v73, v89, s6 dst_sel:DWORD dst_unused:UNUSED_PAD src0_sel:WORD_0 src1_sel:DWORD
	v_mul_u32_u24_sdwa v74, v89, s6 dst_sel:DWORD dst_unused:UNUSED_PAD src0_sel:WORD_1 src1_sel:DWORD
	v_mul_u32_u24_sdwa v71, v90, s6 dst_sel:DWORD dst_unused:UNUSED_PAD src0_sel:WORD_0 src1_sel:DWORD
	v_mul_u32_u24_sdwa v72, v90, s6 dst_sel:DWORD dst_unused:UNUSED_PAD src0_sel:WORD_1 src1_sel:DWORD
	ds_read2_b64 v[20:23], v64 offset0:192 offset1:224
	v_mul_u32_u24_sdwa v77, v91, s6 dst_sel:DWORD dst_unused:UNUSED_PAD src0_sel:WORD_0 src1_sel:DWORD
	v_mul_u32_u24_sdwa v78, v91, s6 dst_sel:DWORD dst_unused:UNUSED_PAD src0_sel:WORD_1 src1_sel:DWORD
	ds_read2_b64 v[32:35], v67 offset1:32
	ds_read2_b64 v[36:39], v67 offset0:64 offset1:96
	v_cndmask_b32_e32 v47, v68, v47, vcc
	v_cndmask_b32_e32 v46, v69, v46, vcc
	ds_read2_b64 v[88:91], v67 offset0:128 offset1:160
	s_waitcnt lgkmcnt(9)
	v_pk_fma_f16 v42, v29, v105, v83
	v_pk_fma_f16 v68, v30, v105, v94
	;; [unrolled: 1-line block ×8, first 2 shown]
	ds_read2_b64 v[28:31], v67 offset0:192 offset1:224
	s_waitcnt lgkmcnt(0)
	s_barrier
	scratch_store_dword off, v43, off
	scratch_store_dwordx3 off, v[84:86], off offset:4
	flat_load_dwordx4 v[92:95], v[92:93]
	s_nop 0
	scratch_store_dword off, v43, off
	scratch_store_dwordx3 off, v[84:86], off offset:4
	v_mul_u32_u24_sdwa v43, v24, s6 dst_sel:DWORD dst_unused:UNUSED_PAD src0_sel:WORD_0 src1_sel:DWORD
	v_pk_fma_f16 v42, v5, v81, v42
	v_mul_u32_u24_sdwa v84, v24, s6 dst_sel:DWORD dst_unused:UNUSED_PAD src0_sel:WORD_1 src1_sel:DWORD
	v_mul_u32_u24_sdwa v85, v25, s6 dst_sel:DWORD dst_unused:UNUSED_PAD src0_sel:WORD_1 src1_sel:DWORD
	v_mul_u32_u24_sdwa v86, v26, s6 dst_sel:DWORD dst_unused:UNUSED_PAD src0_sel:WORD_0 src1_sel:DWORD
	v_pk_fma_f16 v5, v5, v82, v83
	v_pk_fma_f16 v42, v9, v75, v42
	;; [unrolled: 1-line block ×3, first 2 shown]
	s_waitcnt vmcnt(0) lgkmcnt(0)
	ds_write_b128 v65, v[92:95]
	v_mul_u32_u24_sdwa v65, v25, s6 dst_sel:DWORD dst_unused:UNUSED_PAD src0_sel:WORD_0 src1_sel:DWORD
	v_mul_u32_u24_sdwa v92, v26, s6 dst_sel:DWORD dst_unused:UNUSED_PAD src0_sel:WORD_1 src1_sel:DWORD
	v_mul_u32_u24_sdwa v93, v27, s6 dst_sel:DWORD dst_unused:UNUSED_PAD src0_sel:WORD_0 src1_sel:DWORD
	v_mul_u32_u24_sdwa v94, v27, s6 dst_sel:DWORD dst_unused:UNUSED_PAD src0_sel:WORD_1 src1_sel:DWORD
	flat_load_dwordx4 v[24:27], v[46:47]
	v_pk_fma_f16 v46, v6, v81, v68
	v_pk_fma_f16 v6, v6, v82, v87
	;; [unrolled: 1-line block ×76, first 2 shown]
	s_waitcnt vmcnt(0) lgkmcnt(0)
	ds_write_b128 v66, v[24:27]
	s_waitcnt lgkmcnt(0)
	s_barrier
	ds_read2_b64 v[0:3], v54 offset1:32
	ds_read_b128 v[4:7], v62 offset:16960
	ds_read_b128 v[8:11], v62 offset:16976
	ds_read_b128 v[12:15], v62 offset:16992
	ds_read_b128 v[16:19], v62 offset:17008
	ds_read2_b64 v[20:23], v54 offset0:64 offset1:96
	s_waitcnt lgkmcnt(4)
	v_mul_u32_u24_sdwa v24, v4, s6 dst_sel:DWORD dst_unused:UNUSED_PAD src0_sel:WORD_0 src1_sel:DWORD
	v_mul_u32_u24_sdwa v4, v4, s6 dst_sel:DWORD dst_unused:UNUSED_PAD src0_sel:WORD_1 src1_sel:DWORD
	v_mul_u32_u24_sdwa v25, v5, s6 dst_sel:DWORD dst_unused:UNUSED_PAD src0_sel:WORD_0 src1_sel:DWORD
	v_mul_u32_u24_sdwa v5, v5, s6 dst_sel:DWORD dst_unused:UNUSED_PAD src0_sel:WORD_1 src1_sel:DWORD
	v_pk_fma_f16 v26, v0, v24, v35
	v_pk_fma_f16 v0, v0, v4, v28
	;; [unrolled: 1-line block ×8, first 2 shown]
	s_waitcnt lgkmcnt(0)
	v_pk_fma_f16 v26, v20, v25, v26
	v_pk_fma_f16 v20, v20, v5, v0
	;; [unrolled: 1-line block ×6, first 2 shown]
	ds_read2_b64 v[0:3], v54 offset0:128 offset1:160
	v_pk_fma_f16 v4, v23, v5, v4
	v_mul_u32_u24_sdwa v5, v6, s6 dst_sel:DWORD dst_unused:UNUSED_PAD src0_sel:WORD_0 src1_sel:DWORD
	v_mul_u32_u24_sdwa v6, v6, s6 dst_sel:DWORD dst_unused:UNUSED_PAD src0_sel:WORD_1 src1_sel:DWORD
	v_pk_fma_f16 v24, v23, v25, v24
	s_waitcnt lgkmcnt(0)
	v_pk_fma_f16 v25, v0, v5, v26
	v_pk_fma_f16 v0, v0, v6, v20
	v_pk_fma_f16 v26, v1, v5, v27
	v_pk_fma_f16 v1, v1, v6, v21
	v_pk_fma_f16 v27, v2, v5, v28
	v_pk_fma_f16 v2, v2, v6, v22
	ds_read2_b64 v[20:23], v54 offset0:192 offset1:224
	v_pk_fma_f16 v4, v3, v6, v4
	v_mul_u32_u24_sdwa v6, v7, s6 dst_sel:DWORD dst_unused:UNUSED_PAD src0_sel:WORD_0 src1_sel:DWORD
	v_mul_u32_u24_sdwa v7, v7, s6 dst_sel:DWORD dst_unused:UNUSED_PAD src0_sel:WORD_1 src1_sel:DWORD
	v_pk_fma_f16 v5, v3, v5, v24
	s_waitcnt lgkmcnt(0)
	v_pk_fma_f16 v24, v20, v6, v25
	v_pk_fma_f16 v20, v20, v7, v0
	;; [unrolled: 1-line block ×6, first 2 shown]
	ds_read2_b64 v[0:3], v63 offset1:32
	v_pk_fma_f16 v27, v23, v6, v5
	v_pk_fma_f16 v23, v23, v7, v4
	ds_read2_b64 v[4:7], v63 offset0:64 offset1:96
	v_mul_u32_u24_sdwa v28, v8, s6 dst_sel:DWORD dst_unused:UNUSED_PAD src0_sel:WORD_0 src1_sel:DWORD
	v_mul_u32_u24_sdwa v8, v8, s6 dst_sel:DWORD dst_unused:UNUSED_PAD src0_sel:WORD_1 src1_sel:DWORD
	s_waitcnt lgkmcnt(1)
	v_pk_fma_f16 v24, v0, v28, v24
	v_pk_fma_f16 v0, v0, v8, v20
	;; [unrolled: 1-line block ×7, first 2 shown]
	v_mul_u32_u24_sdwa v23, v9, s6 dst_sel:DWORD dst_unused:UNUSED_PAD src0_sel:WORD_0 src1_sel:DWORD
	v_mul_u32_u24_sdwa v9, v9, s6 dst_sel:DWORD dst_unused:UNUSED_PAD src0_sel:WORD_1 src1_sel:DWORD
	v_pk_fma_f16 v22, v3, v28, v27
	s_waitcnt lgkmcnt(0)
	v_pk_fma_f16 v24, v4, v23, v24
	v_pk_fma_f16 v4, v4, v9, v0
	v_pk_fma_f16 v20, v5, v23, v20
	v_pk_fma_f16 v5, v5, v9, v1
	v_pk_fma_f16 v21, v6, v23, v21
	v_pk_fma_f16 v6, v6, v9, v2
	ds_read2_b64 v[0:3], v63 offset0:128 offset1:160
	v_pk_fma_f16 v8, v7, v9, v8
	v_mul_u32_u24_sdwa v9, v10, s6 dst_sel:DWORD dst_unused:UNUSED_PAD src0_sel:WORD_0 src1_sel:DWORD
	v_mul_u32_u24_sdwa v10, v10, s6 dst_sel:DWORD dst_unused:UNUSED_PAD src0_sel:WORD_1 src1_sel:DWORD
	v_pk_fma_f16 v22, v7, v23, v22
	s_waitcnt lgkmcnt(0)
	v_pk_fma_f16 v23, v0, v9, v24
	v_pk_fma_f16 v0, v0, v10, v4
	;; [unrolled: 1-line block ×6, first 2 shown]
	ds_read2_b64 v[4:7], v63 offset0:192 offset1:224
	v_pk_fma_f16 v8, v3, v10, v8
	v_mul_u32_u24_sdwa v10, v11, s6 dst_sel:DWORD dst_unused:UNUSED_PAD src0_sel:WORD_0 src1_sel:DWORD
	v_mul_u32_u24_sdwa v11, v11, s6 dst_sel:DWORD dst_unused:UNUSED_PAD src0_sel:WORD_1 src1_sel:DWORD
	v_pk_fma_f16 v9, v3, v9, v22
	s_waitcnt lgkmcnt(0)
	v_pk_fma_f16 v22, v4, v10, v23
	v_pk_fma_f16 v4, v4, v11, v0
	;; [unrolled: 1-line block ×6, first 2 shown]
	ds_read2_b64 v[0:3], v64 offset1:32
	v_pk_fma_f16 v9, v7, v10, v9
	v_pk_fma_f16 v8, v7, v11, v8
	v_mul_u32_u24_sdwa v10, v12, s6 dst_sel:DWORD dst_unused:UNUSED_PAD src0_sel:WORD_0 src1_sel:DWORD
	v_mul_u32_u24_sdwa v11, v12, s6 dst_sel:DWORD dst_unused:UNUSED_PAD src0_sel:WORD_1 src1_sel:DWORD
	s_waitcnt lgkmcnt(0)
	v_pk_fma_f16 v12, v0, v10, v22
	v_pk_fma_f16 v0, v0, v11, v4
	v_pk_fma_f16 v20, v1, v10, v20
	v_pk_fma_f16 v1, v1, v11, v5
	v_pk_fma_f16 v21, v2, v10, v21
	v_pk_fma_f16 v2, v2, v11, v6
	ds_read2_b64 v[4:7], v64 offset0:64 offset1:96
	v_pk_fma_f16 v9, v3, v10, v9
	v_pk_fma_f16 v8, v3, v11, v8
	v_mul_u32_u24_sdwa v10, v13, s6 dst_sel:DWORD dst_unused:UNUSED_PAD src0_sel:WORD_0 src1_sel:DWORD
	v_mul_u32_u24_sdwa v11, v13, s6 dst_sel:DWORD dst_unused:UNUSED_PAD src0_sel:WORD_1 src1_sel:DWORD
	s_waitcnt lgkmcnt(0)
	v_pk_fma_f16 v12, v4, v10, v12
	v_pk_fma_f16 v4, v4, v11, v0
	v_pk_fma_f16 v13, v5, v10, v20
	v_pk_fma_f16 v5, v5, v11, v1
	v_pk_fma_f16 v20, v6, v10, v21
	v_pk_fma_f16 v6, v6, v11, v2
	ds_read2_b64 v[0:3], v64 offset0:128 offset1:160
	;; [unrolled: 12-line block ×3, first 2 shown]
	v_pk_fma_f16 v9, v3, v10, v9
	v_pk_fma_f16 v8, v3, v11, v8
	v_mul_u32_u24_sdwa v10, v15, s6 dst_sel:DWORD dst_unused:UNUSED_PAD src0_sel:WORD_0 src1_sel:DWORD
	v_mul_u32_u24_sdwa v11, v15, s6 dst_sel:DWORD dst_unused:UNUSED_PAD src0_sel:WORD_1 src1_sel:DWORD
	s_waitcnt lgkmcnt(0)
	v_pk_fma_f16 v12, v4, v10, v12
	v_pk_fma_f16 v4, v4, v11, v0
	;; [unrolled: 1-line block ×6, first 2 shown]
	ds_read2_b64 v[0:3], v67 offset1:32
	v_pk_fma_f16 v9, v7, v10, v9
	v_pk_fma_f16 v8, v7, v11, v8
	v_mul_u32_u24_sdwa v10, v16, s6 dst_sel:DWORD dst_unused:UNUSED_PAD src0_sel:WORD_0 src1_sel:DWORD
	v_mul_u32_u24_sdwa v11, v16, s6 dst_sel:DWORD dst_unused:UNUSED_PAD src0_sel:WORD_1 src1_sel:DWORD
	s_waitcnt lgkmcnt(0)
	v_pk_fma_f16 v12, v0, v10, v12
	v_pk_fma_f16 v0, v0, v11, v4
	v_pk_fma_f16 v13, v1, v10, v13
	v_pk_fma_f16 v1, v1, v11, v5
	v_pk_fma_f16 v14, v2, v10, v14
	v_pk_fma_f16 v2, v2, v11, v6
	ds_read2_b64 v[4:7], v67 offset0:64 offset1:96
	v_pk_fma_f16 v9, v3, v10, v9
	v_pk_fma_f16 v8, v3, v11, v8
	v_mul_u32_u24_sdwa v10, v17, s6 dst_sel:DWORD dst_unused:UNUSED_PAD src0_sel:WORD_0 src1_sel:DWORD
	v_mul_u32_u24_sdwa v11, v17, s6 dst_sel:DWORD dst_unused:UNUSED_PAD src0_sel:WORD_1 src1_sel:DWORD
	s_waitcnt lgkmcnt(0)
	v_pk_fma_f16 v12, v4, v10, v12
	v_pk_fma_f16 v4, v4, v11, v0
	v_pk_fma_f16 v13, v5, v10, v13
	v_pk_fma_f16 v5, v5, v11, v1
	v_pk_fma_f16 v14, v6, v10, v14
	v_pk_fma_f16 v6, v6, v11, v2
	ds_read2_b64 v[0:3], v67 offset0:128 offset1:160
	;; [unrolled: 12-line block ×3, first 2 shown]
	v_pk_fma_f16 v9, v3, v10, v9
	v_pk_fma_f16 v3, v3, v11, v8
	v_mul_u32_u24_sdwa v8, v19, s6 dst_sel:DWORD dst_unused:UNUSED_PAD src0_sel:WORD_0 src1_sel:DWORD
	v_mul_u32_u24_sdwa v10, v19, s6 dst_sel:DWORD dst_unused:UNUSED_PAD src0_sel:WORD_1 src1_sel:DWORD
	s_waitcnt lgkmcnt(0)
	v_pk_fma_f16 v33, v4, v8, v12
	v_pk_fma_f16 v32, v4, v10, v0
	;; [unrolled: 1-line block ×8, first 2 shown]
	v_mov_b64_e32 v[10:11], v[44:45]
	s_barrier
.LBB71_47:
	v_cmp_lt_i32_e32 vcc, v57, v56
	s_cmp_eq_u64 s[16:17], 0
	s_cselect_b64 s[4:5], -1, 0
	v_cndmask_b32_e32 v0, v55, v57, vcc
	v_lshlrev_b32_e32 v1, 2, v0
	ds_bpermute_b32 v0, v1, v40
	ds_bpermute_b32 v1, v1, v41
	v_cmp_lt_i32_e32 vcc, v58, v56
	s_cmp_lg_u32 s3, 0
	s_cselect_b64 s[6:7], -1, 0
	v_cndmask_b32_e32 v2, v55, v58, vcc
	v_lshlrev_b32_e32 v3, 2, v2
	s_waitcnt lgkmcnt(0)
	v_pk_add_f32 v[0:1], v[40:41], v[0:1]
	ds_bpermute_b32 v2, v3, v0
	ds_bpermute_b32 v3, v3, v1
	v_cmp_lt_i32_e32 vcc, v59, v56
	s_or_b64 s[4:5], s[6:7], s[4:5]
	s_waitcnt lgkmcnt(0)
	v_pk_add_f32 v[0:1], v[0:1], v[2:3]
	v_cndmask_b32_e32 v4, v55, v59, vcc
	v_lshlrev_b32_e32 v4, 2, v4
	ds_bpermute_b32 v2, v4, v0
	ds_bpermute_b32 v3, v4, v1
	v_cmp_lt_i32_e32 vcc, v60, v56
	s_waitcnt lgkmcnt(0)
	v_pk_add_f32 v[0:1], v[0:1], v[2:3]
	v_cndmask_b32_e32 v4, v55, v60, vcc
	v_lshlrev_b32_e32 v4, 2, v4
	ds_bpermute_b32 v2, v4, v0
	ds_bpermute_b32 v3, v4, v1
	v_cmp_lt_i32_e32 vcc, v61, v56
	s_waitcnt lgkmcnt(0)
	v_pk_add_f32 v[0:1], v[0:1], v[2:3]
	v_cndmask_b32_e32 v4, v55, v61, vcc
	v_lshlrev_b32_e32 v4, 2, v4
	ds_bpermute_b32 v2, v4, v0
	ds_bpermute_b32 v3, v4, v1
	s_and_b64 vcc, exec, s[4:5]
	s_waitcnt lgkmcnt(0)
	v_pk_add_f32 v[0:1], v[0:1], v[2:3]
	s_cbranch_vccnz .LBB71_49
; %bb.48:
	s_lshl_b64 s[4:5], s[34:35], 2
	s_add_u32 s4, s16, s4
	s_addc_u32 s5, s17, s5
	v_mov_b32_e32 v2, 0
	global_load_dword v4, v2, s[4:5]
	v_max_f32_e32 v2, v10, v10
	v_max_f32_e32 v3, v11, v11
	s_mov_b32 s2, 0x3fb8aa3b
	s_mov_b32 s4, 0xc2ce8ed0
	;; [unrolled: 1-line block ×3, first 2 shown]
	v_mov_b32_e32 v7, 0x7f800000
	s_waitcnt vmcnt(0)
	v_max_f32_e32 v5, v4, v4
	v_max_f32_e32 v2, v2, v5
	;; [unrolled: 1-line block ×3, first 2 shown]
	v_sub_f32_e32 v5, v10, v2
	v_sub_f32_e32 v6, v4, v2
	;; [unrolled: 1-line block ×3, first 2 shown]
	v_mul_f32_e32 v4, 0x3fb8aa3b, v5
	v_sub_f32_e32 v8, v11, v3
	v_mul_f32_e32 v10, 0x3fb8aa3b, v6
	v_fma_f32 v13, v5, s2, -v4
	v_rndne_f32_e32 v14, v4
	v_mul_f32_e32 v11, 0x3fb8aa3b, v8
	v_fma_f32 v15, v6, s2, -v10
	v_rndne_f32_e32 v16, v10
	v_fmac_f32_e32 v13, 0x32a5705f, v5
	v_sub_f32_e32 v4, v4, v14
	v_mul_f32_e32 v12, 0x3fb8aa3b, v9
	v_fma_f32 v17, v8, s2, -v11
	v_rndne_f32_e32 v18, v11
	v_fmac_f32_e32 v15, 0x32a5705f, v6
	v_sub_f32_e32 v10, v10, v16
	v_add_f32_e32 v4, v4, v13
	v_fma_f32 v19, v9, s2, -v12
	v_rndne_f32_e32 v20, v12
	v_cvt_i32_f32_e32 v14, v14
	v_fmac_f32_e32 v17, 0x32a5705f, v8
	v_sub_f32_e32 v11, v11, v18
	v_add_f32_e32 v10, v10, v15
	v_exp_f32_e32 v4, v4
	v_cvt_i32_f32_e32 v16, v16
	v_fmac_f32_e32 v19, 0x32a5705f, v9
	v_sub_f32_e32 v12, v12, v20
	v_add_f32_e32 v11, v11, v17
	v_exp_f32_e32 v10, v10
	v_cvt_i32_f32_e32 v18, v18
	v_add_f32_e32 v12, v12, v19
	v_exp_f32_e32 v11, v11
	v_cvt_i32_f32_e32 v20, v20
	v_exp_f32_e32 v12, v12
	v_ldexp_f32 v4, v4, v14
	v_cmp_ngt_f32_e32 vcc, s4, v5
	v_ldexp_f32 v10, v10, v16
	v_ldexp_f32 v11, v11, v18
	v_cndmask_b32_e32 v4, 0, v4, vcc
	v_cmp_ngt_f32_e32 vcc, s4, v6
	v_ldexp_f32 v12, v12, v20
	s_nop 0
	v_cndmask_b32_e32 v10, 0, v10, vcc
	v_cmp_ngt_f32_e32 vcc, s4, v8
	s_nop 1
	v_cndmask_b32_e32 v11, 0, v11, vcc
	v_cmp_ngt_f32_e32 vcc, s4, v9
	s_nop 1
	v_cndmask_b32_e32 v12, 0, v12, vcc
	v_cmp_nlt_f32_e32 vcc, s5, v5
	s_nop 1
	v_cndmask_b32_e32 v4, v7, v4, vcc
	v_cmp_nlt_f32_e32 vcc, s5, v6
	;; [unrolled: 3-line block ×3, first 2 shown]
	v_cvt_f16_f32_e32 v8, v4
	s_nop 0
	v_cndmask_b32_e32 v5, v7, v11, vcc
	v_cvt_f16_f32_e32 v10, v5
	v_cmp_nlt_f32_e32 vcc, s5, v9
	s_nop 1
	v_cndmask_b32_e32 v7, v7, v12, vcc
	v_pk_fma_f32 v[0:1], v[0:1], v[4:5], v[6:7]
	v_mul_u32_u24_e32 v4, 0x10001, v8
	v_mul_u32_u24_e32 v5, 0x10001, v10
	v_pk_mul_f16 v33, v33, v4
	v_pk_mul_f16 v29, v29, v4
	;; [unrolled: 1-line block ×8, first 2 shown]
	v_mov_b64_e32 v[10:11], v[2:3]
.LBB71_49:
	v_cmp_gt_i32_e32 vcc, s26, v53
	s_and_saveexec_b64 s[4:5], vcc
	s_cbranch_execz .LBB71_59
; %bb.50:
	s_load_dword s2, s[0:1], 0xd4
	v_mov_b32_e32 v2, 1.0
	s_waitcnt lgkmcnt(0)
	s_cmp_lg_u32 s2, 1
	s_cselect_b64 s[4:5], -1, 0
	s_cmp_eq_u32 s2, 1
	s_cselect_b64 s[0:1], -1, 0
	s_and_b64 vcc, exec, s[4:5]
	s_cbranch_vccnz .LBB71_52
; %bb.51:
	v_div_scale_f32 v2, s[6:7], v0, v0, 1.0
	v_rcp_f32_e32 v3, v2
	v_div_scale_f32 v4, vcc, 1.0, v0, 1.0
	v_fma_f32 v5, -v2, v3, 1.0
	v_fmac_f32_e32 v3, v5, v3
	v_mul_f32_e32 v5, v4, v3
	v_fma_f32 v6, -v2, v5, v4
	v_fmac_f32_e32 v5, v6, v3
	v_fma_f32 v2, -v2, v5, v4
	v_div_fmas_f32 v2, v2, v3, v5
	v_div_fixup_f32 v2, v2, v0, 1.0
.LBB71_52:
	s_mul_i32 s8, s33, s26
	s_add_i32 s8, s8, s14
	v_add_u32_e32 v3, s8, v51
	v_mul_lo_u32 v3, v3, s27
	v_add_u32_e32 v3, s34, v3
	v_cvt_f32_f16_sdwa v7, v33 dst_sel:DWORD dst_unused:UNUSED_PAD src0_sel:WORD_1
	v_cvt_f32_f16_e32 v6, v33
	v_cvt_f32_f16_sdwa v9, v29 dst_sel:DWORD dst_unused:UNUSED_PAD src0_sel:WORD_1
	v_cvt_f32_f16_e32 v8, v29
	v_mul_lo_u32 v3, s2, v3
	v_add_u32_e32 v4, s3, v3
	v_lshl_add_u32 v12, v4, 8, v49
	v_mov_b32_e32 v13, 0
	v_lshl_add_u64 v[14:15], v[12:13], 2, s[20:21]
	v_pk_mul_f32 v[6:7], v[2:3], v[6:7] op_sel_hi:[0,1]
	v_pk_mul_f32 v[8:9], v[2:3], v[8:9] op_sel_hi:[0,1]
	global_store_dwordx4 v[14:15], v[6:9], off
	v_cmp_eq_u32_e32 vcc, 0, v52
	v_add_u32_e32 v12, 0x80, v12
	v_cvt_f32_f16_sdwa v7, v28 dst_sel:DWORD dst_unused:UNUSED_PAD src0_sel:WORD_1
	v_cvt_f32_f16_e32 v6, v28
	v_cvt_f32_f16_sdwa v9, v27 dst_sel:DWORD dst_unused:UNUSED_PAD src0_sel:WORD_1
	v_cvt_f32_f16_e32 v8, v27
	v_lshl_add_u64 v[12:13], v[12:13], 2, s[20:21]
	v_pk_mul_f32 v[6:7], v[2:3], v[6:7] op_sel_hi:[0,1]
	s_and_b64 s[4:5], vcc, s[4:5]
	v_pk_mul_f32 v[8:9], v[2:3], v[8:9] op_sel_hi:[0,1]
	global_store_dwordx4 v[12:13], v[6:9], off
	s_and_saveexec_b64 s[6:7], s[4:5]
	s_cbranch_execz .LBB71_54
; %bb.53:
	v_ashrrev_i32_e32 v5, 31, v4
	v_lshl_add_u64 v[2:3], v[4:5], 3, s[22:23]
	v_mov_b32_e32 v4, v10
	v_mov_b32_e32 v5, v0
	global_store_dwordx2 v[2:3], v[4:5], off
.LBB71_54:
	s_or_b64 exec, exec, s[6:7]
	v_cmp_gt_i32_e32 vcc, s26, v50
	s_and_b64 exec, exec, vcc
	s_cbranch_execz .LBB71_59
; %bb.55:
	s_andn2_b64 vcc, exec, s[0:1]
	v_mov_b32_e32 v0, 1.0
	s_cbranch_vccnz .LBB71_57
; %bb.56:
	v_div_scale_f32 v0, s[0:1], v1, v1, 1.0
	v_rcp_f32_e32 v2, v0
	v_div_scale_f32 v3, vcc, 1.0, v1, 1.0
	v_fma_f32 v4, -v0, v2, 1.0
	v_fmac_f32_e32 v2, v4, v2
	v_mul_f32_e32 v4, v3, v2
	v_fma_f32 v5, -v0, v4, v3
	v_fmac_f32_e32 v4, v5, v2
	v_fma_f32 v0, -v0, v4, v3
	v_div_fmas_f32 v0, v0, v2, v4
	v_div_fixup_f32 v0, v0, v1, 1.0
.LBB71_57:
	v_add_u32_e32 v2, s8, v48
	v_mul_lo_u32 v2, v2, s27
	v_add_u32_e32 v2, s34, v2
	v_cvt_f32_f16_sdwa v5, v32 dst_sel:DWORD dst_unused:UNUSED_PAD src0_sel:WORD_1
	v_cvt_f32_f16_e32 v4, v32
	v_cvt_f32_f16_sdwa v7, v26 dst_sel:DWORD dst_unused:UNUSED_PAD src0_sel:WORD_1
	v_cvt_f32_f16_e32 v6, v26
	v_mul_lo_u32 v2, s2, v2
	v_add_u32_e32 v2, s3, v2
	v_lshl_add_u32 v8, v2, 8, v49
	v_mov_b32_e32 v9, 0
	v_lshl_add_u64 v[12:13], v[8:9], 2, s[20:21]
	v_pk_mul_f32 v[4:5], v[0:1], v[4:5] op_sel_hi:[0,1]
	v_pk_mul_f32 v[6:7], v[0:1], v[6:7] op_sel_hi:[0,1]
	global_store_dwordx4 v[12:13], v[4:7], off
	v_add_u32_e32 v8, 0x80, v8
	v_lshl_add_u64 v[8:9], v[8:9], 2, s[20:21]
	v_cvt_f32_f16_sdwa v5, v24 dst_sel:DWORD dst_unused:UNUSED_PAD src0_sel:WORD_1
	v_cvt_f32_f16_e32 v4, v24
	v_cvt_f32_f16_sdwa v7, v25 dst_sel:DWORD dst_unused:UNUSED_PAD src0_sel:WORD_1
	v_cvt_f32_f16_e32 v6, v25
	v_pk_mul_f32 v[4:5], v[0:1], v[4:5] op_sel_hi:[0,1]
	v_pk_mul_f32 v[6:7], v[0:1], v[6:7] op_sel_hi:[0,1]
	global_store_dwordx4 v[8:9], v[4:7], off
	s_and_b64 exec, exec, s[4:5]
	s_cbranch_execz .LBB71_59
; %bb.58:
	v_ashrrev_i32_e32 v3, 31, v2
	v_lshl_add_u64 v[2:3], v[2:3], 3, s[22:23]
	v_mov_b32_e32 v0, v11
	global_store_dwordx2 v[2:3], v[0:1], off
.LBB71_59:
	s_endpgm
	.section	.rodata,"a",@progbits
	.p2align	6, 0x0
	.amdhsa_kernel _ZL15flash_attn_tileILi256ELi256ELi16ELi1ELb1EEvPKcS1_S1_S1_S1_PKiPfP15HIP_vector_typeIfLj2EEffffjfiS5_IjLj3EEiiiiiiiiiiiliiliiiiil
		.amdhsa_group_segment_fixed_size 17920
		.amdhsa_private_segment_fixed_size 32
		.amdhsa_kernarg_size 464
		.amdhsa_user_sgpr_count 2
		.amdhsa_user_sgpr_dispatch_ptr 0
		.amdhsa_user_sgpr_queue_ptr 0
		.amdhsa_user_sgpr_kernarg_segment_ptr 1
		.amdhsa_user_sgpr_dispatch_id 0
		.amdhsa_user_sgpr_kernarg_preload_length 0
		.amdhsa_user_sgpr_kernarg_preload_offset 0
		.amdhsa_user_sgpr_private_segment_size 0
		.amdhsa_uses_dynamic_stack 0
		.amdhsa_enable_private_segment 1
		.amdhsa_system_sgpr_workgroup_id_x 1
		.amdhsa_system_sgpr_workgroup_id_y 1
		.amdhsa_system_sgpr_workgroup_id_z 1
		.amdhsa_system_sgpr_workgroup_info 0
		.amdhsa_system_vgpr_workitem_id 1
		.amdhsa_next_free_vgpr 107
		.amdhsa_next_free_sgpr 48
		.amdhsa_accum_offset 108
		.amdhsa_reserve_vcc 1
		.amdhsa_float_round_mode_32 0
		.amdhsa_float_round_mode_16_64 0
		.amdhsa_float_denorm_mode_32 3
		.amdhsa_float_denorm_mode_16_64 3
		.amdhsa_dx10_clamp 1
		.amdhsa_ieee_mode 1
		.amdhsa_fp16_overflow 0
		.amdhsa_tg_split 0
		.amdhsa_exception_fp_ieee_invalid_op 0
		.amdhsa_exception_fp_denorm_src 0
		.amdhsa_exception_fp_ieee_div_zero 0
		.amdhsa_exception_fp_ieee_overflow 0
		.amdhsa_exception_fp_ieee_underflow 0
		.amdhsa_exception_fp_ieee_inexact 0
		.amdhsa_exception_int_div_zero 0
	.end_amdhsa_kernel
	.section	.text._ZL15flash_attn_tileILi256ELi256ELi16ELi1ELb1EEvPKcS1_S1_S1_S1_PKiPfP15HIP_vector_typeIfLj2EEffffjfiS5_IjLj3EEiiiiiiiiiiiliiliiiiil,"axG",@progbits,_ZL15flash_attn_tileILi256ELi256ELi16ELi1ELb1EEvPKcS1_S1_S1_S1_PKiPfP15HIP_vector_typeIfLj2EEffffjfiS5_IjLj3EEiiiiiiiiiiiliiliiiiil,comdat
.Lfunc_end71:
	.size	_ZL15flash_attn_tileILi256ELi256ELi16ELi1ELb1EEvPKcS1_S1_S1_S1_PKiPfP15HIP_vector_typeIfLj2EEffffjfiS5_IjLj3EEiiiiiiiiiiiliiliiiiil, .Lfunc_end71-_ZL15flash_attn_tileILi256ELi256ELi16ELi1ELb1EEvPKcS1_S1_S1_S1_PKiPfP15HIP_vector_typeIfLj2EEffffjfiS5_IjLj3EEiiiiiiiiiiiliiliiiiil
                                        ; -- End function
	.set _ZL15flash_attn_tileILi256ELi256ELi16ELi1ELb1EEvPKcS1_S1_S1_S1_PKiPfP15HIP_vector_typeIfLj2EEffffjfiS5_IjLj3EEiiiiiiiiiiiliiliiiiil.num_vgpr, 107
	.set _ZL15flash_attn_tileILi256ELi256ELi16ELi1ELb1EEvPKcS1_S1_S1_S1_PKiPfP15HIP_vector_typeIfLj2EEffffjfiS5_IjLj3EEiiiiiiiiiiiliiliiiiil.num_agpr, 0
	.set _ZL15flash_attn_tileILi256ELi256ELi16ELi1ELb1EEvPKcS1_S1_S1_S1_PKiPfP15HIP_vector_typeIfLj2EEffffjfiS5_IjLj3EEiiiiiiiiiiiliiliiiiil.numbered_sgpr, 48
	.set _ZL15flash_attn_tileILi256ELi256ELi16ELi1ELb1EEvPKcS1_S1_S1_S1_PKiPfP15HIP_vector_typeIfLj2EEffffjfiS5_IjLj3EEiiiiiiiiiiiliiliiiiil.num_named_barrier, 0
	.set _ZL15flash_attn_tileILi256ELi256ELi16ELi1ELb1EEvPKcS1_S1_S1_S1_PKiPfP15HIP_vector_typeIfLj2EEffffjfiS5_IjLj3EEiiiiiiiiiiiliiliiiiil.private_seg_size, 32
	.set _ZL15flash_attn_tileILi256ELi256ELi16ELi1ELb1EEvPKcS1_S1_S1_S1_PKiPfP15HIP_vector_typeIfLj2EEffffjfiS5_IjLj3EEiiiiiiiiiiiliiliiiiil.uses_vcc, 1
	.set _ZL15flash_attn_tileILi256ELi256ELi16ELi1ELb1EEvPKcS1_S1_S1_S1_PKiPfP15HIP_vector_typeIfLj2EEffffjfiS5_IjLj3EEiiiiiiiiiiiliiliiiiil.uses_flat_scratch, 0
	.set _ZL15flash_attn_tileILi256ELi256ELi16ELi1ELb1EEvPKcS1_S1_S1_S1_PKiPfP15HIP_vector_typeIfLj2EEffffjfiS5_IjLj3EEiiiiiiiiiiiliiliiiiil.has_dyn_sized_stack, 0
	.set _ZL15flash_attn_tileILi256ELi256ELi16ELi1ELb1EEvPKcS1_S1_S1_S1_PKiPfP15HIP_vector_typeIfLj2EEffffjfiS5_IjLj3EEiiiiiiiiiiiliiliiiiil.has_recursion, 0
	.set _ZL15flash_attn_tileILi256ELi256ELi16ELi1ELb1EEvPKcS1_S1_S1_S1_PKiPfP15HIP_vector_typeIfLj2EEffffjfiS5_IjLj3EEiiiiiiiiiiiliiliiiiil.has_indirect_call, 0
	.section	.AMDGPU.csdata,"",@progbits
; Kernel info:
; codeLenInByte = 26168
; TotalNumSgprs: 54
; NumVgprs: 107
; NumAgprs: 0
; TotalNumVgprs: 107
; ScratchSize: 32
; MemoryBound: 0
; FloatMode: 240
; IeeeMode: 1
; LDSByteSize: 17920 bytes/workgroup (compile time only)
; SGPRBlocks: 6
; VGPRBlocks: 13
; NumSGPRsForWavesPerEU: 54
; NumVGPRsForWavesPerEU: 107
; AccumOffset: 108
; Occupancy: 4
; WaveLimiterHint : 1
; COMPUTE_PGM_RSRC2:SCRATCH_EN: 1
; COMPUTE_PGM_RSRC2:USER_SGPR: 2
; COMPUTE_PGM_RSRC2:TRAP_HANDLER: 0
; COMPUTE_PGM_RSRC2:TGID_X_EN: 1
; COMPUTE_PGM_RSRC2:TGID_Y_EN: 1
; COMPUTE_PGM_RSRC2:TGID_Z_EN: 1
; COMPUTE_PGM_RSRC2:TIDIG_COMP_CNT: 1
; COMPUTE_PGM_RSRC3_GFX90A:ACCUM_OFFSET: 26
; COMPUTE_PGM_RSRC3_GFX90A:TG_SPLIT: 0
	.section	.text._ZL15flash_attn_tileILi256ELi256ELi8ELi1ELb1EEvPKcS1_S1_S1_S1_PKiPfP15HIP_vector_typeIfLj2EEffffjfiS5_IjLj3EEiiiiiiiiiiiliiliiiiil,"axG",@progbits,_ZL15flash_attn_tileILi256ELi256ELi8ELi1ELb1EEvPKcS1_S1_S1_S1_PKiPfP15HIP_vector_typeIfLj2EEffffjfiS5_IjLj3EEiiiiiiiiiiiliiliiiiil,comdat
	.globl	_ZL15flash_attn_tileILi256ELi256ELi8ELi1ELb1EEvPKcS1_S1_S1_S1_PKiPfP15HIP_vector_typeIfLj2EEffffjfiS5_IjLj3EEiiiiiiiiiiiliiliiiiil ; -- Begin function _ZL15flash_attn_tileILi256ELi256ELi8ELi1ELb1EEvPKcS1_S1_S1_S1_PKiPfP15HIP_vector_typeIfLj2EEffffjfiS5_IjLj3EEiiiiiiiiiiiliiliiiiil
	.p2align	8
	.type	_ZL15flash_attn_tileILi256ELi256ELi8ELi1ELb1EEvPKcS1_S1_S1_S1_PKiPfP15HIP_vector_typeIfLj2EEffffjfiS5_IjLj3EEiiiiiiiiiiiliiliiiiil,@function
_ZL15flash_attn_tileILi256ELi256ELi8ELi1ELb1EEvPKcS1_S1_S1_S1_PKiPfP15HIP_vector_typeIfLj2EEffffjfiS5_IjLj3EEiiiiiiiiiiiliiliiiiil: ; @_ZL15flash_attn_tileILi256ELi256ELi8ELi1ELb1EEvPKcS1_S1_S1_S1_PKiPfP15HIP_vector_typeIfLj2EEffffjfiS5_IjLj3EEiiiiiiiiiiiliiliiiiil
; %bb.0:
	s_load_dwordx4 s[24:27], s[0:1], 0x5c
	s_load_dwordx2 s[38:39], s[0:1], 0x80
	s_load_dwordx2 s[40:41], s[0:1], 0xb8
	s_mov_b64 s[36:37], 0
	s_waitcnt lgkmcnt(0)
	v_cvt_f32_u32_e32 v1, s27
	s_sub_i32 s5, 0, s27
	v_rcp_iflag_f32_e32 v1, v1
	s_nop 0
	v_mul_f32_e32 v1, 0x4f7ffffe, v1
	v_cvt_u32_f32_e32 v1, v1
	s_nop 0
	v_readfirstlane_b32 s6, v1
	s_mul_i32 s5, s5, s6
	s_mul_hi_u32 s5, s6, s5
	s_add_i32 s6, s6, s5
	s_mul_hi_u32 s5, s4, s6
	s_mul_i32 s6, s5, s27
	s_sub_i32 s6, s4, s6
	s_add_i32 s7, s5, 1
	s_sub_i32 s8, s6, s27
	s_cmp_ge_u32 s6, s27
	s_cselect_b32 s5, s7, s5
	s_cselect_b32 s6, s8, s6
	s_add_i32 s7, s5, 1
	s_cmp_ge_u32 s6, s27
	s_cselect_b32 s33, s7, s5
	s_abs_i32 s5, s39
	v_cvt_f32_u32_e32 v1, s5
	s_mul_i32 s8, s33, s27
	s_sub_i32 s9, 0, s5
	s_sub_i32 s34, s4, s8
	v_rcp_iflag_f32_e32 v1, v1
	s_abs_i32 s7, s27
	s_xor_b32 s6, s27, s39
	s_ashr_i32 s6, s6, 31
	v_mul_f32_e32 v1, 0x4f7ffffe, v1
	v_cvt_u32_f32_e32 v1, v1
	s_nop 0
	v_readfirstlane_b32 s4, v1
	s_mul_i32 s9, s9, s4
	s_mul_hi_u32 s8, s4, s9
	s_add_i32 s4, s4, s8
	s_mul_hi_u32 s4, s7, s4
	s_mul_i32 s8, s4, s5
	s_sub_i32 s7, s7, s8
	s_add_i32 s9, s4, 1
	s_sub_i32 s8, s7, s5
	s_cmp_ge_u32 s7, s5
	s_cselect_b32 s4, s9, s4
	s_cselect_b32 s7, s8, s7
	s_add_i32 s8, s4, 1
	s_cmp_ge_u32 s7, s5
	s_cselect_b32 s4, s8, s4
	s_xor_b32 s4, s4, s6
	s_sub_i32 s43, s4, s6
	s_abs_i32 s39, s43
	v_cvt_f32_u32_e32 v1, s39
	s_load_dwordx16 s[8:23], s[0:1], 0x0
	s_sub_i32 s4, 0, s39
	s_abs_i32 s42, s34
	v_rcp_iflag_f32_e32 v1, v1
	s_nop 0
	v_mul_f32_e32 v1, 0x4f7ffffe, v1
	v_cvt_u32_f32_e32 v1, v1
	s_nop 0
	v_readfirstlane_b32 s5, v1
	s_mul_i32 s4, s4, s5
	s_mul_hi_u32 s4, s5, s4
	s_add_i32 s4, s5, s4
	s_waitcnt lgkmcnt(0)
	s_cmp_eq_u64 s[14:15], 0
	s_cbranch_scc1 .LBB72_2
; %bb.1:
	s_abs_i32 s5, s40
	v_cvt_f32_u32_e32 v1, s5
	s_sub_i32 s30, 0, s5
	s_abs_i32 s29, s33
	s_ashr_i32 s28, s33, 31
	v_rcp_iflag_f32_e32 v1, v1
	s_load_dwordx2 s[6:7], s[0:1], 0xc8
	v_mul_f32_e32 v1, 0x4f7ffffe, v1
	v_cvt_u32_f32_e32 v1, v1
	s_nop 0
	v_readfirstlane_b32 s31, v1
	s_mul_i32 s30, s30, s31
	s_mul_hi_u32 s30, s31, s30
	s_add_i32 s31, s31, s30
	s_mul_hi_u32 s30, s29, s31
	s_mul_i32 s30, s30, s5
	s_sub_i32 s29, s29, s30
	s_sub_i32 s30, s29, s5
	s_cmp_ge_u32 s29, s5
	s_cselect_b32 s29, s30, s29
	s_sub_i32 s30, s29, s5
	s_cmp_ge_u32 s29, s5
	s_cselect_b32 s5, s30, s29
	s_xor_b32 s5, s5, s28
	s_sub_i32 s5, s5, s28
	s_ashr_i32 s28, s5, 31
	s_waitcnt lgkmcnt(0)
	s_mul_hi_u32 s29, s6, s5
	s_mul_i32 s28, s6, s28
	s_mul_i32 s7, s7, s5
	s_add_i32 s28, s29, s28
	s_add_i32 s28, s28, s7
	s_mul_i32 s5, s6, s5
	s_add_u32 s36, s14, s5
	s_addc_u32 s37, s15, s28
.LBB72_2:
	s_load_dwordx4 s[28:31], s[0:1], 0x40
	s_load_dwordx2 s[14:15], s[0:1], 0x50
	s_mul_hi_u32 s40, s42, s4
	v_mov_b32_e32 v45, 1.0
	s_waitcnt lgkmcnt(0)
	v_cmp_le_f32_e64 s[4:5], s29, 0
	s_and_b64 vcc, exec, s[4:5]
	s_cbranch_vccnz .LBB72_4
; %bb.3:
	v_mov_b32_e32 v1, s14
	v_sub_co_u32_e32 v1, vcc, s34, v1
	v_mov_b32_e32 v2, s31
	v_mov_b32_e32 v3, s30
	s_add_i32 s4, s34, 1
	v_lshlrev_b32_e32 v1, 1, v1
	v_cndmask_b32_e32 v2, v2, v3, vcc
	v_or_b32_e32 v1, 1, v1
	v_mov_b32_e32 v3, s4
	v_cndmask_b32_e32 v1, v1, v3, vcc
	v_cvt_f32_i32_e32 v1, v1
	v_cmp_neq_f32_e32 vcc, 1.0, v2
	s_mov_b32 s4, 0x3f2aaaab
	s_movk_i32 s6, 0x204
	v_cndmask_b32_e32 v1, 1.0, v1, vcc
	v_cmp_neq_f32_e32 vcc, 0, v1
	s_mov_b32 s5, 0x42b17218
	s_mov_b32 s7, 0x3fb8aa3b
	v_cndmask_b32_e32 v18, 1.0, v2, vcc
	v_frexp_mant_f32_e64 v2, |v18|
	v_cmp_gt_f32_e32 vcc, s4, v2
	s_mov_b32 s4, 0x3f317218
	s_brev_b32 s14, -2
	v_cndmask_b32_e64 v3, 1.0, 2.0, vcc
	v_mul_f32_e32 v2, v2, v3
	v_add_f32_e32 v5, 1.0, v2
	v_rcp_f32_e32 v10, v5
	v_add_f32_e32 v3, -1.0, v5
	v_sub_f32_e32 v7, v2, v3
	v_add_f32_e32 v3, -1.0, v2
	v_mul_f32_e32 v11, v3, v10
	v_mul_f32_e32 v4, v5, v11
	v_fma_f32 v6, v11, v5, -v4
	v_fmac_f32_e32 v6, v11, v7
	v_add_f32_e32 v2, v4, v6
	v_sub_f32_e32 v5, v3, v2
	v_pk_add_f32 v[8:9], v[2:3], v[4:5] neg_lo:[0,1] neg_hi:[0,1]
	v_mov_b32_e32 v7, v2
	v_pk_add_f32 v[2:3], v[8:9], v[6:7] neg_lo:[0,1] neg_hi:[0,1]
	v_mov_b32_e32 v6, 0x3e91f4c4
	v_add_f32_e32 v2, v2, v3
	v_add_f32_e32 v2, v5, v2
	v_mul_f32_e32 v3, v10, v2
	v_add_f32_e32 v2, v11, v3
	v_sub_f32_e32 v4, v2, v11
	v_sub_f32_e32 v12, v3, v4
	v_mul_f32_e32 v3, v2, v2
	v_fma_f32 v5, v2, v2, -v3
	v_add_f32_e32 v4, v12, v12
	v_fmac_f32_e32 v5, v2, v4
	v_add_f32_e32 v4, v3, v5
	v_fmac_f32_e32 v6, 0x3e76c4e1, v4
	v_fmaak_f32 v6, v4, v6, 0x3ecccdef
	v_sub_f32_e32 v3, v4, v3
	v_sub_f32_e32 v13, v5, v3
	v_mul_f32_e32 v3, v4, v6
	v_fma_f32 v5, v4, v6, -v3
	v_fmac_f32_e32 v5, v13, v6
	v_add_f32_e32 v6, v3, v5
	v_add_f32_e32 v7, 0x3f2aaaaa, v6
	v_sub_f32_e32 v3, v6, v3
	v_sub_f32_e32 v3, v5, v3
	v_add_f32_e32 v5, 0xbf2aaaaa, v7
	v_add_f32_e32 v3, 0x31739010, v3
	v_sub_f32_e32 v5, v6, v5
	v_pk_mul_f32 v[8:9], v[2:3], v[4:5]
	v_pk_add_f32 v[10:11], v[2:3], v[4:5]
	v_fma_f32 v6, v4, v2, -v8
	v_fmac_f32_e32 v6, v4, v12
	v_mov_b32_e32 v9, v11
	v_fmac_f32_e32 v6, v13, v2
	v_pk_add_f32 v[4:5], v[8:9], v[6:7]
	v_ldexp_f32 v14, v12, 1
	v_sub_f32_e32 v3, v4, v8
	v_sub_f32_e32 v3, v6, v3
	v_sub_f32_e32 v6, v7, v5
	v_add_f32_e32 v9, v11, v6
	v_pk_mul_f32 v[6:7], v[4:5], v[4:5] op_sel:[0,1] op_sel_hi:[1,0]
	v_cvt_f64_f32_e64 v[10:11], |v18|
	v_frexp_exp_i32_f64_e32 v7, v[10:11]
	v_subbrev_co_u32_e32 v7, vcc, 0, v7, vcc
	v_cvt_f32_i32_e32 v7, v7
	v_fma_f32 v8, v4, v5, -v6
	v_fmac_f32_e32 v8, v4, v9
	v_fmac_f32_e32 v8, v3, v5
	v_mul_f32_e32 v4, 0x3f317218, v7
	v_fma_f32 v3, v7, s4, -v4
	v_fmamk_f32 v10, v7, 0xb102e308, v3
	v_ldexp_f32 v11, v2, 1
	v_add_f32_e32 v5, v6, v8
	v_pk_add_f32 v[2:3], v[4:5], v[10:11]
	v_mov_b32_e32 v12, v5
	v_mov_b32_e32 v13, v3
	;; [unrolled: 1-line block ×3, first 2 shown]
	v_pk_add_f32 v[6:7], v[12:13], v[6:7] neg_lo:[0,1] neg_hi:[0,1]
	v_mov_b32_e32 v9, v5
	v_pk_add_f32 v[6:7], v[8:9], v[6:7] neg_lo:[0,1] neg_hi:[0,1]
	v_mov_b32_e32 v11, v2
	v_add_f32_e32 v5, v14, v6
	v_add_f32_e32 v5, v5, v7
	v_pk_add_f32 v[6:7], v[2:3], v[4:5] neg_lo:[0,1] neg_hi:[0,1]
	v_pk_add_f32 v[8:9], v[2:3], v[4:5]
	v_mov_b32_e32 v16, v3
	v_mov_b32_e32 v7, v9
	v_pk_add_f32 v[12:13], v[10:11], v[6:7] neg_lo:[0,1] neg_hi:[0,1]
	v_pk_add_f32 v[6:7], v[10:11], v[6:7]
	v_mov_b32_e32 v4, v5
	v_pk_add_f32 v[10:11], v[6:7], v[2:3] op_sel:[1,0] op_sel_hi:[0,1] neg_lo:[0,1] neg_hi:[0,1]
	v_pk_add_f32 v[14:15], v[8:9], v[10:11] op_sel_hi:[1,0] neg_lo:[0,1] neg_hi:[0,1]
	v_mov_b32_e32 v8, v9
	v_mov_b32_e32 v9, v7
	;; [unrolled: 1-line block ×3, first 2 shown]
	v_pk_add_f32 v[8:9], v[8:9], v[16:17] neg_lo:[0,1] neg_hi:[0,1]
	v_mov_b32_e32 v5, v2
	v_pk_add_f32 v[2:3], v[4:5], v[8:9] neg_lo:[0,1] neg_hi:[0,1]
	v_mov_b32_e32 v14, v12
	v_pk_add_f32 v[4:5], v[14:15], v[2:3]
	v_mov_b32_e32 v13, v7
	v_pk_add_f32 v[8:9], v[4:5], v[4:5] op_sel:[0,1] op_sel_hi:[1,0]
	s_mov_b32 s4, 0x7f800000
	v_pk_add_f32 v[6:7], v[6:7], v[8:9] op_sel:[1,0] op_sel_hi:[0,1]
	v_mov_b32_e32 v5, v6
	v_pk_add_f32 v[10:11], v[4:5], v[12:13] neg_lo:[0,1] neg_hi:[0,1]
	v_mov_b32_e32 v3, v8
	v_sub_f32_e32 v4, v4, v10
	v_pk_add_f32 v[2:3], v[2:3], v[10:11] neg_lo:[0,1] neg_hi:[0,1]
	v_sub_f32_e32 v4, v12, v4
	v_add_f32_e32 v2, v2, v4
	v_add_f32_e32 v2, v2, v3
	;; [unrolled: 1-line block ×3, first 2 shown]
	v_sub_f32_e32 v4, v3, v6
	v_sub_f32_e32 v2, v2, v4
	v_mul_f32_e32 v4, v1, v3
	v_fma_f32 v3, v1, v3, -v4
	v_fmac_f32_e32 v3, v1, v2
	v_add_f32_e32 v2, v4, v3
	v_cmp_class_f32_e64 vcc, v4, s6
	v_sub_f32_e32 v5, v2, v4
	v_sub_f32_e32 v3, v3, v5
	v_cndmask_b32_e32 v2, v2, v4, vcc
	v_mov_b32_e32 v4, 0x37000000
	v_cmp_eq_f32_e32 vcc, s5, v2
	v_cmp_class_f32_e64 s[30:31], v18, s6
	s_nop 0
	v_cndmask_b32_e32 v4, 0, v4, vcc
	v_sub_f32_e32 v5, v2, v4
	v_mul_f32_e32 v6, 0x3fb8aa3b, v5
	v_fma_f32 v7, v5, s7, -v6
	v_rndne_f32_e32 v8, v6
	v_fmamk_f32 v7, v5, 0x32a5705f, v7
	v_sub_f32_e32 v6, v6, v8
	v_add_f32_e32 v6, v6, v7
	v_exp_f32_e32 v6, v6
	v_cvt_i32_f32_e32 v7, v8
	v_cmp_neq_f32_e64 vcc, |v2|, s4
	s_mov_b32 s4, 0xc2ce8ed0
	s_nop 0
	v_cndmask_b32_e32 v2, 0, v3, vcc
	v_ldexp_f32 v3, v6, v7
	v_cmp_ngt_f32_e32 vcc, s4, v5
	v_add_f32_e32 v2, v4, v2
	v_mov_b32_e32 v4, 0x7f800000
	v_cndmask_b32_e32 v3, 0, v3, vcc
	v_cmp_nlt_f32_e32 vcc, s5, v5
	v_mov_b32_e32 v5, 0x7fc00000
	s_nop 0
	v_cndmask_b32_e32 v3, v4, v3, vcc
	v_fma_f32 v2, v3, v2, v3
	v_cmp_class_f32_e64 vcc, v3, s6
	v_cmp_gt_f32_e64 s[6:7], 0, v1
	s_nop 0
	v_cndmask_b32_e32 v2, v2, v3, vcc
	v_trunc_f32_e32 v3, v1
	v_cmp_eq_f32_e32 vcc, v3, v1
	v_mul_f32_e32 v3, 0.5, v1
	v_trunc_f32_e32 v6, v3
	v_cmp_neq_f32_e64 s[4:5], v6, v3
	s_and_b64 s[4:5], vcc, s[4:5]
	s_nop 0
	v_cndmask_b32_e64 v3, 1.0, v18, s[4:5]
	v_bfi_b32 v2, s14, v2, v3
	v_cndmask_b32_e32 v3, v5, v2, vcc
	v_cmp_gt_f32_e32 vcc, 0, v18
	s_nop 1
	v_cndmask_b32_e32 v2, v2, v3, vcc
	v_cmp_eq_f32_e32 vcc, 0, v18
	s_xor_b64 s[6:7], s[6:7], vcc
	v_cndmask_b32_e64 v1, v4, 0, s[6:7]
	v_cndmask_b32_e64 v3, 0, v18, s[4:5]
	v_bfi_b32 v1, s14, v1, v3
	s_or_b64 vcc, vcc, s[30:31]
	v_cndmask_b32_e32 v1, v2, v1, vcc
	v_cmp_o_f32_e32 vcc, v18, v18
	s_nop 1
	v_cndmask_b32_e32 v45, v5, v1, vcc
.LBB72_4:
	s_load_dwordx4 s[44:47], s[0:1], 0x70
	v_bfe_u32 v41, v0, 10, 10
	s_ashr_i32 s35, s34, 31
	s_ashr_i32 s4, s43, 31
	v_lshl_add_u32 v38, s2, 3, v41
	s_waitcnt lgkmcnt(0)
	s_mul_i32 s5, s33, s46
	s_ashr_i32 s7, s5, 31
	s_mul_i32 s6, s34, s45
	s_add_u32 s5, s8, s5
	v_mul_hi_u32 v1, s24, v38
	s_addc_u32 s7, s9, s7
	s_ashr_i32 s8, s6, 31
	v_add_u32_e32 v1, v38, v1
	s_add_u32 s6, s5, s6
	v_lshrrev_b32_e32 v1, s25, v1
	s_addc_u32 s7, s7, s8
	v_mul_lo_u32 v1, v1, s26
	s_ashr_i32 s45, s44, 31
	v_sub_u32_e32 v13, v38, v1
	s_lshr_b64 s[8:9], s[44:45], 2
	v_mad_u64_u32 v[2:3], s[8:9], s8, v13, 0
	v_mov_b32_e32 v4, v3
	s_lshr_b32 s5, s45, 2
	v_mad_u64_u32 v[4:5], s[8:9], s5, v13, v[4:5]
	v_mov_b32_e32 v3, v4
	v_and_b32_e32 v12, 0x3ff, v0
	v_mov_b32_e32 v9, 0
	v_lshl_add_u64 v[0:1], v[2:3], 2, s[6:7]
	v_lshlrev_b32_e32 v8, 4, v12
	v_lshl_add_u64 v[10:11], v[0:1], 0, v[8:9]
	global_load_dwordx4 v[0:3], v[10:11], off
	global_load_dwordx4 v[4:7], v[10:11], off offset:512
	v_lshlrev_b32_e32 v11, 9, v41
	v_lshlrev_b32_e32 v40, 3, v12
	v_add_u32_e32 v47, 0x4400, v11
	v_lshlrev_b32_e32 v39, 2, v12
	v_add_u32_e32 v8, v47, v40
	s_cmp_eq_u64 s[18:19], 0
	s_waitcnt vmcnt(1)
	v_fma_mixlo_f16 v0, s28, v0, 0
	v_fma_mixlo_f16 v1, s28, v1, 0
	;; [unrolled: 1-line block ×4, first 2 shown]
	s_waitcnt vmcnt(0)
	v_fma_mixlo_f16 v4, s28, v4, 0
	v_fma_mixlo_f16 v5, s28, v5, 0
	;; [unrolled: 1-line block ×4, first 2 shown]
	v_lshlrev_b32_e32 v1, 16, v1
	v_and_b32_e32 v0, 0xffff, v0
	v_lshlrev_b32_e32 v3, 16, v3
	v_and_b32_e32 v2, 0xffff, v2
	;; [unrolled: 2-line block ×4, first 2 shown]
	v_or_b32_e32 v0, v1, v0
	v_or3_b32 v1, v3, v2, 0
	v_or_b32_e32 v2, v5, v4
	v_or3_b32 v3, v7, v6, 0
	v_or3_b32 v0, 0, 0, v0
	;; [unrolled: 1-line block ×3, first 2 shown]
	ds_write2_b64 v8, v[0:1], v[2:3] offset1:32
	s_waitcnt lgkmcnt(0)
	s_barrier
	s_cbranch_scc1 .LBB72_6
; %bb.5:
	s_load_dword s5, s[0:1], 0xd0
	s_mov_b32 s7, 0
	s_waitcnt lgkmcnt(0)
	s_mul_i32 s5, s5, s33
	s_add_i32 s6, s5, s2
	s_lshl_b64 s[6:7], s[6:7], 2
	s_add_u32 s6, s18, s6
	s_addc_u32 s7, s19, s7
	s_load_dword s38, s[6:7], 0x0
.LBB72_6:
	s_nop 0
	s_load_dwordx2 s[6:7], s[0:1], 0x8c
	s_load_dwordx4 s[28:31], s[0:1], 0x98
	s_load_dwordx2 s[8:9], s[0:1], 0xa8
	s_ashr_i32 s5, s33, 31
	s_ashr_i32 s18, s41, 1
	s_waitcnt lgkmcnt(0)
	s_ashr_i32 s19, s6, 2
	s_mul_hi_u32 s6, s28, s33
	s_mul_i32 s14, s28, s5
	s_add_i32 s6, s6, s14
	s_mul_i32 s14, s29, s33
	s_ashr_i32 s2, s30, 2
	s_add_i32 s6, s6, s14
	s_mul_i32 s14, s28, s33
	s_add_u32 s10, s10, s14
	s_addc_u32 s6, s11, s6
	s_mul_i32 s11, s40, s39
	s_sub_i32 s11, s42, s11
	s_xor_b32 s4, s35, s4
	s_add_i32 s14, s40, 1
	s_sub_i32 s24, s11, s39
	s_cmp_ge_u32 s11, s39
	s_cselect_b32 s14, s14, s40
	s_cselect_b32 s11, s24, s11
	s_add_i32 s24, s14, 1
	s_cmp_ge_u32 s11, s39
	s_cselect_b32 s11, s24, s14
	s_xor_b32 s11, s11, s4
	s_sub_i32 s4, s11, s4
	s_mul_i32 s7, s4, s7
	s_ashr_i32 s11, s7, 31
	s_add_u32 s24, s10, s7
	s_addc_u32 s25, s6, s11
	s_mul_hi_u32 s6, s8, s33
	s_mul_i32 s5, s8, s5
	s_add_i32 s5, s6, s5
	s_mul_i32 s6, s9, s33
	s_add_i32 s5, s5, s6
	s_mul_i32 s6, s8, s33
	s_add_u32 s6, s12, s6
	s_mul_i32 s4, s4, s31
	s_addc_u32 s5, s13, s5
	s_ashr_i32 s7, s4, 31
	s_add_u32 s12, s6, s4
	s_addc_u32 s13, s5, s7
	s_lshl_b32 s14, s3, 6
	s_sub_i32 s28, s38, 64
	s_cmp_ge_i32 s14, s28
	v_lshrrev_b32_e32 v17, 4, v12
	v_and_b32_e32 v16, 60, v39
	v_lshlrev_b32_e32 v14, 2, v39
	v_mul_lo_u32 v8, s2, v41
	v_mbcnt_lo_u32_b32 v46, -1, 0
	s_cbranch_scc1 .LBB72_23
; %bb.7:
	v_lshl_add_u32 v0, v41, 1, v17
	v_lshlrev_b32_e32 v1, 2, v16
	s_movk_i32 s4, 0x110
	v_mad_u32_u24 v48, v0, s4, v1
	v_mul_lo_u32 v18, s19, v0
	s_lshl_b32 s4, s19, 4
	v_add_u32_e32 v20, s4, v18
	v_add_u32_e32 v22, s4, v20
	;; [unrolled: 1-line block ×3, first 2 shown]
	s_cmp_lg_u64 s[36:37], 0
	v_mad_u64_u32 v[26:27], s[4:5], v13, s18, v[12:13]
	s_cselect_b64 s[6:7], -1, 0
	v_mov_b32_e32 v0, 0x5400
	s_lshl_b32 s4, s2, 3
	v_lshl_add_u32 v53, v41, 7, v0
	v_add_u32_e32 v0, s4, v8
	v_lshl_add_u32 v4, v41, 9, v14
	v_add_u32_e32 v2, s4, v0
	v_add_u32_e32 v56, 0x1000, v4
	;; [unrolled: 1-line block ×5, first 2 shown]
	v_mov_b32_e32 v15, 0
	v_ashrrev_i32_e32 v9, 31, v8
	v_ashrrev_i32_e32 v1, 31, v0
	;; [unrolled: 1-line block ×4, first 2 shown]
	s_add_u32 s8, s0, 0xd0
	v_ashrrev_i32_e32 v19, 31, v18
	v_add_u32_e32 v49, 0x1100, v48
	v_ashrrev_i32_e32 v21, 31, v20
	v_add_u32_e32 v50, 0x2200, v48
	;; [unrolled: 2-line block ×3, first 2 shown]
	v_ashrrev_i32_e32 v25, 31, v24
	v_mul_u32_u24_e32 v52, 0x110, v12
	v_lshl_add_u32 v54, v12, 1, v53
	v_add_u32_e32 v55, v11, v14
	s_addc_u32 s9, s1, 0
	v_mov_b32_e32 v63, 0xfeffffff
	v_lshlrev_b32_e32 v28, 2, v16
	v_mov_b32_e32 v29, v15
	s_mov_b32 s29, 0x3f200000
	s_mov_b32 s30, 0x3fb8aa3b
	;; [unrolled: 1-line block ×4, first 2 shown]
	v_mov_b32_e32 v59, 0x3ca908c9
	s_brev_b32 s40, -2
	s_mov_b32 s41, 0x10001
	v_lshlrev_b64 v[30:31], 2, v[8:9]
	v_lshlrev_b64 v[32:33], 2, v[0:1]
	;; [unrolled: 1-line block ×4, first 2 shown]
	v_mov_b32_e32 v60, 0x7f800000
	v_mbcnt_hi_u32_b32 v61, -1, v46
	v_mov_b32_e32 v43, v15
	v_mov_b32_e32 v44, v15
	v_mov_b32_e32 v27, v15
	v_mov_b32_e32 v42, v15
	v_mov_b32_e32 v62, v15
                                        ; implicit-def: $vgpr6
                                        ; implicit-def: $vgpr6
	;; [unrolled: 1-line block ×3, first 2 shown]
.LBB72_8:                               ; =>This Inner Loop Header: Depth=1
	s_mul_hi_i32 s5, s14, s19
	s_mul_i32 s4, s14, s19
	s_lshl_b64 s[4:5], s[4:5], 2
	s_add_u32 s4, s24, s4
	s_addc_u32 s5, s25, s5
	v_lshl_add_u64 v[0:1], v[18:19], 2, s[4:5]
	v_lshl_add_u64 v[4:5], v[22:23], 2, s[4:5]
	;; [unrolled: 1-line block ×7, first 2 shown]
	global_load_dwordx4 v[64:67], v[0:1], off
	global_load_dwordx4 v[68:71], v[2:3], off
	v_lshl_add_u64 v[6:7], v[6:7], 0, v[28:29]
	global_load_dwordx4 v[72:75], v[4:5], off
	global_load_dwordx4 v[76:79], v[6:7], off
	v_mov_b32_e32 v9, 0
	v_mov_b32_e32 v10, 0
	s_waitcnt vmcnt(3)
	ds_write_b128 v48, v[64:67]
	s_waitcnt vmcnt(2)
	ds_write_b128 v49, v[68:71]
	;; [unrolled: 2-line block ×4, first 2 shown]
	s_waitcnt lgkmcnt(0)
	s_barrier
	ds_read_b128 v[64:67], v52
	ds_read_b128 v[68:71], v47
	ds_read_b128 v[72:75], v52 offset:8704
	s_waitcnt lgkmcnt(1)
	;;#ASMSTART
	v_dot2_f32_f16 v9, v64, v68, v9
	;;#ASMEND
	s_nop 0
	;;#ASMSTART
	v_dot2_f32_f16 v9, v65, v69, v9
	;;#ASMEND
	s_nop 0
	;;#ASMSTART
	v_dot2_f32_f16 v9, v66, v70, v9
	;;#ASMEND
	s_nop 0
	;;#ASMSTART
	v_dot2_f32_f16 v9, v67, v71, v9
	;;#ASMEND
	s_waitcnt lgkmcnt(0)
	;;#ASMSTART
	v_dot2_f32_f16 v10, v72, v68, v10
	;;#ASMEND
	s_nop 0
	;;#ASMSTART
	v_dot2_f32_f16 v10, v73, v69, v10
	;;#ASMEND
	s_nop 0
	;;#ASMSTART
	v_dot2_f32_f16 v10, v74, v70, v10
	;;#ASMEND
	s_nop 0
	;;#ASMSTART
	v_dot2_f32_f16 v10, v75, v71, v10
	;;#ASMEND
	ds_read_b128 v[64:67], v52 offset:16
	ds_read_b128 v[68:71], v47 offset:16
	ds_read_b128 v[72:75], v52 offset:8720
	s_waitcnt lgkmcnt(1)
	;;#ASMSTART
	v_dot2_f32_f16 v9, v64, v68, v9
	;;#ASMEND
	s_nop 0
	;;#ASMSTART
	v_dot2_f32_f16 v9, v65, v69, v9
	;;#ASMEND
	s_nop 0
	;;#ASMSTART
	v_dot2_f32_f16 v9, v66, v70, v9
	;;#ASMEND
	s_nop 0
	;;#ASMSTART
	v_dot2_f32_f16 v9, v67, v71, v9
	;;#ASMEND
	s_waitcnt lgkmcnt(0)
	;;#ASMSTART
	v_dot2_f32_f16 v10, v72, v68, v10
	;;#ASMEND
	s_nop 0
	;;#ASMSTART
	v_dot2_f32_f16 v10, v73, v69, v10
	;;#ASMEND
	s_nop 0
	;;#ASMSTART
	v_dot2_f32_f16 v10, v74, v70, v10
	;;#ASMEND
	s_nop 0
	;;#ASMSTART
	v_dot2_f32_f16 v10, v75, v71, v10
	;;#ASMEND
	ds_read_b128 v[64:67], v52 offset:32
	ds_read_b128 v[68:71], v47 offset:32
	ds_read_b128 v[72:75], v52 offset:8736
	s_waitcnt lgkmcnt(1)
	;;#ASMSTART
	v_dot2_f32_f16 v9, v64, v68, v9
	;;#ASMEND
	s_nop 0
	;;#ASMSTART
	v_dot2_f32_f16 v9, v65, v69, v9
	;;#ASMEND
	s_nop 0
	;;#ASMSTART
	v_dot2_f32_f16 v9, v66, v70, v9
	;;#ASMEND
	s_nop 0
	;;#ASMSTART
	v_dot2_f32_f16 v9, v67, v71, v9
	;;#ASMEND
	s_waitcnt lgkmcnt(0)
	;;#ASMSTART
	v_dot2_f32_f16 v10, v72, v68, v10
	;;#ASMEND
	s_nop 0
	;;#ASMSTART
	v_dot2_f32_f16 v10, v73, v69, v10
	;;#ASMEND
	s_nop 0
	;;#ASMSTART
	v_dot2_f32_f16 v10, v74, v70, v10
	;;#ASMEND
	s_nop 0
	;;#ASMSTART
	v_dot2_f32_f16 v10, v75, v71, v10
	;;#ASMEND
	ds_read_b128 v[64:67], v52 offset:48
	ds_read_b128 v[68:71], v47 offset:48
	ds_read_b128 v[72:75], v52 offset:8752
	s_waitcnt lgkmcnt(1)
	;;#ASMSTART
	v_dot2_f32_f16 v9, v64, v68, v9
	;;#ASMEND
	s_nop 0
	;;#ASMSTART
	v_dot2_f32_f16 v9, v65, v69, v9
	;;#ASMEND
	s_nop 0
	;;#ASMSTART
	v_dot2_f32_f16 v9, v66, v70, v9
	;;#ASMEND
	s_nop 0
	;;#ASMSTART
	v_dot2_f32_f16 v9, v67, v71, v9
	;;#ASMEND
	s_waitcnt lgkmcnt(0)
	;;#ASMSTART
	v_dot2_f32_f16 v10, v72, v68, v10
	;;#ASMEND
	s_nop 0
	;;#ASMSTART
	v_dot2_f32_f16 v10, v73, v69, v10
	;;#ASMEND
	s_nop 0
	;;#ASMSTART
	v_dot2_f32_f16 v10, v74, v70, v10
	;;#ASMEND
	s_nop 0
	;;#ASMSTART
	v_dot2_f32_f16 v10, v75, v71, v10
	;;#ASMEND
	ds_read_b128 v[64:67], v52 offset:64
	ds_read_b128 v[68:71], v47 offset:64
	ds_read_b128 v[72:75], v52 offset:8768
	s_waitcnt lgkmcnt(1)
	;;#ASMSTART
	v_dot2_f32_f16 v9, v64, v68, v9
	;;#ASMEND
	s_nop 0
	;;#ASMSTART
	v_dot2_f32_f16 v9, v65, v69, v9
	;;#ASMEND
	s_nop 0
	;;#ASMSTART
	v_dot2_f32_f16 v9, v66, v70, v9
	;;#ASMEND
	s_nop 0
	;;#ASMSTART
	v_dot2_f32_f16 v9, v67, v71, v9
	;;#ASMEND
	s_waitcnt lgkmcnt(0)
	;;#ASMSTART
	v_dot2_f32_f16 v10, v72, v68, v10
	;;#ASMEND
	s_nop 0
	;;#ASMSTART
	v_dot2_f32_f16 v10, v73, v69, v10
	;;#ASMEND
	s_nop 0
	;;#ASMSTART
	v_dot2_f32_f16 v10, v74, v70, v10
	;;#ASMEND
	s_nop 0
	;;#ASMSTART
	v_dot2_f32_f16 v10, v75, v71, v10
	;;#ASMEND
	ds_read_b128 v[64:67], v52 offset:80
	ds_read_b128 v[68:71], v47 offset:80
	ds_read_b128 v[72:75], v52 offset:8784
	s_waitcnt lgkmcnt(1)
	;;#ASMSTART
	v_dot2_f32_f16 v9, v64, v68, v9
	;;#ASMEND
	s_nop 0
	;;#ASMSTART
	v_dot2_f32_f16 v9, v65, v69, v9
	;;#ASMEND
	s_nop 0
	;;#ASMSTART
	v_dot2_f32_f16 v9, v66, v70, v9
	;;#ASMEND
	s_nop 0
	;;#ASMSTART
	v_dot2_f32_f16 v9, v67, v71, v9
	;;#ASMEND
	s_waitcnt lgkmcnt(0)
	;;#ASMSTART
	v_dot2_f32_f16 v10, v72, v68, v10
	;;#ASMEND
	s_nop 0
	;;#ASMSTART
	v_dot2_f32_f16 v10, v73, v69, v10
	;;#ASMEND
	s_nop 0
	;;#ASMSTART
	v_dot2_f32_f16 v10, v74, v70, v10
	;;#ASMEND
	s_nop 0
	;;#ASMSTART
	v_dot2_f32_f16 v10, v75, v71, v10
	;;#ASMEND
	ds_read_b128 v[64:67], v52 offset:96
	ds_read_b128 v[68:71], v47 offset:96
	ds_read_b128 v[72:75], v52 offset:8800
	s_waitcnt lgkmcnt(1)
	;;#ASMSTART
	v_dot2_f32_f16 v9, v64, v68, v9
	;;#ASMEND
	s_nop 0
	;;#ASMSTART
	v_dot2_f32_f16 v9, v65, v69, v9
	;;#ASMEND
	s_nop 0
	;;#ASMSTART
	v_dot2_f32_f16 v9, v66, v70, v9
	;;#ASMEND
	s_nop 0
	;;#ASMSTART
	v_dot2_f32_f16 v9, v67, v71, v9
	;;#ASMEND
	s_waitcnt lgkmcnt(0)
	;;#ASMSTART
	v_dot2_f32_f16 v10, v72, v68, v10
	;;#ASMEND
	s_nop 0
	;;#ASMSTART
	v_dot2_f32_f16 v10, v73, v69, v10
	;;#ASMEND
	s_nop 0
	;;#ASMSTART
	v_dot2_f32_f16 v10, v74, v70, v10
	;;#ASMEND
	s_nop 0
	;;#ASMSTART
	v_dot2_f32_f16 v10, v75, v71, v10
	;;#ASMEND
	ds_read_b128 v[64:67], v52 offset:112
	ds_read_b128 v[68:71], v47 offset:112
	ds_read_b128 v[72:75], v52 offset:8816
	s_waitcnt lgkmcnt(1)
	;;#ASMSTART
	v_dot2_f32_f16 v9, v64, v68, v9
	;;#ASMEND
	s_nop 0
	;;#ASMSTART
	v_dot2_f32_f16 v9, v65, v69, v9
	;;#ASMEND
	s_nop 0
	;;#ASMSTART
	v_dot2_f32_f16 v9, v66, v70, v9
	;;#ASMEND
	s_nop 0
	;;#ASMSTART
	v_dot2_f32_f16 v9, v67, v71, v9
	;;#ASMEND
	s_waitcnt lgkmcnt(0)
	;;#ASMSTART
	v_dot2_f32_f16 v10, v72, v68, v10
	;;#ASMEND
	s_nop 0
	;;#ASMSTART
	v_dot2_f32_f16 v10, v73, v69, v10
	;;#ASMEND
	s_nop 0
	;;#ASMSTART
	v_dot2_f32_f16 v10, v74, v70, v10
	;;#ASMEND
	s_nop 0
	;;#ASMSTART
	v_dot2_f32_f16 v10, v75, v71, v10
	;;#ASMEND
	ds_read_b128 v[64:67], v52 offset:128
	ds_read_b128 v[68:71], v47 offset:128
	ds_read_b128 v[72:75], v52 offset:8832
	s_waitcnt lgkmcnt(1)
	;;#ASMSTART
	v_dot2_f32_f16 v9, v64, v68, v9
	;;#ASMEND
	s_nop 0
	;;#ASMSTART
	v_dot2_f32_f16 v9, v65, v69, v9
	;;#ASMEND
	s_nop 0
	;;#ASMSTART
	v_dot2_f32_f16 v9, v66, v70, v9
	;;#ASMEND
	s_nop 0
	;;#ASMSTART
	v_dot2_f32_f16 v9, v67, v71, v9
	;;#ASMEND
	s_waitcnt lgkmcnt(0)
	;;#ASMSTART
	v_dot2_f32_f16 v10, v72, v68, v10
	;;#ASMEND
	s_nop 0
	;;#ASMSTART
	v_dot2_f32_f16 v10, v73, v69, v10
	;;#ASMEND
	s_nop 0
	;;#ASMSTART
	v_dot2_f32_f16 v10, v74, v70, v10
	;;#ASMEND
	s_nop 0
	;;#ASMSTART
	v_dot2_f32_f16 v10, v75, v71, v10
	;;#ASMEND
	ds_read_b128 v[64:67], v52 offset:144
	ds_read_b128 v[68:71], v47 offset:144
	ds_read_b128 v[72:75], v52 offset:8848
	s_waitcnt lgkmcnt(1)
	;;#ASMSTART
	v_dot2_f32_f16 v9, v64, v68, v9
	;;#ASMEND
	s_nop 0
	;;#ASMSTART
	v_dot2_f32_f16 v9, v65, v69, v9
	;;#ASMEND
	s_nop 0
	;;#ASMSTART
	v_dot2_f32_f16 v9, v66, v70, v9
	;;#ASMEND
	s_nop 0
	;;#ASMSTART
	v_dot2_f32_f16 v9, v67, v71, v9
	;;#ASMEND
	s_waitcnt lgkmcnt(0)
	;;#ASMSTART
	v_dot2_f32_f16 v10, v72, v68, v10
	;;#ASMEND
	s_nop 0
	;;#ASMSTART
	v_dot2_f32_f16 v10, v73, v69, v10
	;;#ASMEND
	s_nop 0
	;;#ASMSTART
	v_dot2_f32_f16 v10, v74, v70, v10
	;;#ASMEND
	s_nop 0
	;;#ASMSTART
	v_dot2_f32_f16 v10, v75, v71, v10
	;;#ASMEND
	ds_read_b128 v[64:67], v52 offset:160
	ds_read_b128 v[68:71], v47 offset:160
	ds_read_b128 v[72:75], v52 offset:8864
	s_waitcnt lgkmcnt(1)
	;;#ASMSTART
	v_dot2_f32_f16 v9, v64, v68, v9
	;;#ASMEND
	s_nop 0
	;;#ASMSTART
	v_dot2_f32_f16 v9, v65, v69, v9
	;;#ASMEND
	s_nop 0
	;;#ASMSTART
	v_dot2_f32_f16 v9, v66, v70, v9
	;;#ASMEND
	s_nop 0
	;;#ASMSTART
	v_dot2_f32_f16 v9, v67, v71, v9
	;;#ASMEND
	s_waitcnt lgkmcnt(0)
	;;#ASMSTART
	v_dot2_f32_f16 v10, v72, v68, v10
	;;#ASMEND
	s_nop 0
	;;#ASMSTART
	v_dot2_f32_f16 v10, v73, v69, v10
	;;#ASMEND
	s_nop 0
	;;#ASMSTART
	v_dot2_f32_f16 v10, v74, v70, v10
	;;#ASMEND
	s_nop 0
	;;#ASMSTART
	v_dot2_f32_f16 v10, v75, v71, v10
	;;#ASMEND
	ds_read_b128 v[64:67], v52 offset:176
	ds_read_b128 v[68:71], v47 offset:176
	ds_read_b128 v[72:75], v52 offset:8880
	s_waitcnt lgkmcnt(1)
	;;#ASMSTART
	v_dot2_f32_f16 v9, v64, v68, v9
	;;#ASMEND
	s_nop 0
	;;#ASMSTART
	v_dot2_f32_f16 v9, v65, v69, v9
	;;#ASMEND
	s_nop 0
	;;#ASMSTART
	v_dot2_f32_f16 v9, v66, v70, v9
	;;#ASMEND
	s_nop 0
	;;#ASMSTART
	v_dot2_f32_f16 v9, v67, v71, v9
	;;#ASMEND
	s_waitcnt lgkmcnt(0)
	;;#ASMSTART
	v_dot2_f32_f16 v10, v72, v68, v10
	;;#ASMEND
	s_nop 0
	;;#ASMSTART
	v_dot2_f32_f16 v10, v73, v69, v10
	;;#ASMEND
	s_nop 0
	;;#ASMSTART
	v_dot2_f32_f16 v10, v74, v70, v10
	;;#ASMEND
	s_nop 0
	;;#ASMSTART
	v_dot2_f32_f16 v10, v75, v71, v10
	;;#ASMEND
	ds_read_b128 v[64:67], v52 offset:192
	ds_read_b128 v[68:71], v47 offset:192
	ds_read_b128 v[72:75], v52 offset:8896
	s_waitcnt lgkmcnt(1)
	;;#ASMSTART
	v_dot2_f32_f16 v9, v64, v68, v9
	;;#ASMEND
	s_nop 0
	;;#ASMSTART
	v_dot2_f32_f16 v9, v65, v69, v9
	;;#ASMEND
	s_nop 0
	;;#ASMSTART
	v_dot2_f32_f16 v9, v66, v70, v9
	;;#ASMEND
	s_nop 0
	;;#ASMSTART
	v_dot2_f32_f16 v9, v67, v71, v9
	;;#ASMEND
	s_waitcnt lgkmcnt(0)
	;;#ASMSTART
	v_dot2_f32_f16 v10, v72, v68, v10
	;;#ASMEND
	s_nop 0
	;;#ASMSTART
	v_dot2_f32_f16 v10, v73, v69, v10
	;;#ASMEND
	s_nop 0
	;;#ASMSTART
	v_dot2_f32_f16 v10, v74, v70, v10
	;;#ASMEND
	s_nop 0
	;;#ASMSTART
	v_dot2_f32_f16 v10, v75, v71, v10
	;;#ASMEND
	ds_read_b128 v[64:67], v52 offset:208
	ds_read_b128 v[68:71], v47 offset:208
	ds_read_b128 v[72:75], v52 offset:8912
	s_waitcnt lgkmcnt(1)
	;;#ASMSTART
	v_dot2_f32_f16 v9, v64, v68, v9
	;;#ASMEND
	s_nop 0
	;;#ASMSTART
	v_dot2_f32_f16 v9, v65, v69, v9
	;;#ASMEND
	s_nop 0
	;;#ASMSTART
	v_dot2_f32_f16 v9, v66, v70, v9
	;;#ASMEND
	s_nop 0
	;;#ASMSTART
	v_dot2_f32_f16 v9, v67, v71, v9
	;;#ASMEND
	s_waitcnt lgkmcnt(0)
	;;#ASMSTART
	v_dot2_f32_f16 v10, v72, v68, v10
	;;#ASMEND
	s_nop 0
	;;#ASMSTART
	v_dot2_f32_f16 v10, v73, v69, v10
	;;#ASMEND
	s_nop 0
	;;#ASMSTART
	v_dot2_f32_f16 v10, v74, v70, v10
	;;#ASMEND
	s_nop 0
	;;#ASMSTART
	v_dot2_f32_f16 v10, v75, v71, v10
	;;#ASMEND
	ds_read_b128 v[64:67], v52 offset:224
	ds_read_b128 v[68:71], v47 offset:224
	ds_read_b128 v[72:75], v52 offset:8928
	s_waitcnt lgkmcnt(1)
	;;#ASMSTART
	v_dot2_f32_f16 v9, v64, v68, v9
	;;#ASMEND
	s_nop 0
	;;#ASMSTART
	v_dot2_f32_f16 v9, v65, v69, v9
	;;#ASMEND
	s_nop 0
	;;#ASMSTART
	v_dot2_f32_f16 v9, v66, v70, v9
	;;#ASMEND
	s_nop 0
	;;#ASMSTART
	v_dot2_f32_f16 v9, v67, v71, v9
	;;#ASMEND
	s_waitcnt lgkmcnt(0)
	;;#ASMSTART
	v_dot2_f32_f16 v10, v72, v68, v10
	;;#ASMEND
	s_nop 0
	;;#ASMSTART
	v_dot2_f32_f16 v10, v73, v69, v10
	;;#ASMEND
	s_nop 0
	;;#ASMSTART
	v_dot2_f32_f16 v10, v74, v70, v10
	;;#ASMEND
	s_nop 0
	;;#ASMSTART
	v_dot2_f32_f16 v10, v75, v71, v10
	;;#ASMEND
	ds_read_b128 v[64:67], v52 offset:240
	ds_read_b128 v[68:71], v47 offset:240
	ds_read_b128 v[72:75], v52 offset:8944
	s_waitcnt lgkmcnt(1)
	;;#ASMSTART
	v_dot2_f32_f16 v9, v64, v68, v9
	;;#ASMEND
	s_nop 0
	;;#ASMSTART
	v_dot2_f32_f16 v9, v65, v69, v9
	;;#ASMEND
	s_nop 0
	;; [unrolled: 4-line block ×3, first 2 shown]
	;;#ASMSTART
	v_dot2_f32_f16 v9, v67, v71, v9
	;;#ASMEND
	s_waitcnt lgkmcnt(0)
	;;#ASMSTART
	v_dot2_f32_f16 v10, v72, v68, v10
	;;#ASMEND
	s_nop 0
	;;#ASMSTART
	v_dot2_f32_f16 v10, v73, v69, v10
	;;#ASMEND
	s_nop 0
	;; [unrolled: 4-line block ×3, first 2 shown]
	;;#ASMSTART
	v_dot2_f32_f16 v10, v75, v71, v10
	;;#ASMEND
	s_barrier
	global_load_dwordx4 v[64:67], v[0:1], off offset:256
	global_load_dwordx4 v[68:71], v[2:3], off offset:256
	;; [unrolled: 1-line block ×4, first 2 shown]
	s_waitcnt vmcnt(3)
	ds_write_b128 v48, v[64:67]
	s_waitcnt vmcnt(2)
	ds_write_b128 v49, v[68:71]
	;; [unrolled: 2-line block ×4, first 2 shown]
	s_waitcnt lgkmcnt(0)
	s_barrier
	ds_read_b128 v[0:3], v52
	ds_read_b128 v[4:7], v47 offset:256
	ds_read_b128 v[64:67], v52 offset:8704
	s_waitcnt lgkmcnt(1)
	;;#ASMSTART
	v_dot2_f32_f16 v9, v0, v4, v9
	;;#ASMEND
	s_nop 0
	;;#ASMSTART
	v_dot2_f32_f16 v9, v1, v5, v9
	;;#ASMEND
	s_nop 0
	;;#ASMSTART
	v_dot2_f32_f16 v9, v2, v6, v9
	;;#ASMEND
	s_nop 0
	;;#ASMSTART
	v_dot2_f32_f16 v9, v3, v7, v9
	;;#ASMEND
	s_waitcnt lgkmcnt(0)
	;;#ASMSTART
	v_dot2_f32_f16 v10, v64, v4, v10
	;;#ASMEND
	s_nop 0
	;;#ASMSTART
	v_dot2_f32_f16 v10, v65, v5, v10
	;;#ASMEND
	s_nop 0
	;;#ASMSTART
	v_dot2_f32_f16 v10, v66, v6, v10
	;;#ASMEND
	s_nop 0
	;;#ASMSTART
	v_dot2_f32_f16 v10, v67, v7, v10
	;;#ASMEND
	ds_read_b128 v[0:3], v52 offset:16
	ds_read_b128 v[4:7], v47 offset:272
	ds_read_b128 v[64:67], v52 offset:8720
	s_waitcnt lgkmcnt(1)
	;;#ASMSTART
	v_dot2_f32_f16 v9, v0, v4, v9
	;;#ASMEND
	s_nop 0
	;;#ASMSTART
	v_dot2_f32_f16 v9, v1, v5, v9
	;;#ASMEND
	s_nop 0
	;;#ASMSTART
	v_dot2_f32_f16 v9, v2, v6, v9
	;;#ASMEND
	s_nop 0
	;;#ASMSTART
	v_dot2_f32_f16 v9, v3, v7, v9
	;;#ASMEND
	s_waitcnt lgkmcnt(0)
	;;#ASMSTART
	v_dot2_f32_f16 v10, v64, v4, v10
	;;#ASMEND
	s_nop 0
	;;#ASMSTART
	v_dot2_f32_f16 v10, v65, v5, v10
	;;#ASMEND
	s_nop 0
	;;#ASMSTART
	v_dot2_f32_f16 v10, v66, v6, v10
	;;#ASMEND
	s_nop 0
	;;#ASMSTART
	v_dot2_f32_f16 v10, v67, v7, v10
	;;#ASMEND
	ds_read_b128 v[0:3], v52 offset:32
	;; [unrolled: 35-line block ×15, first 2 shown]
	ds_read_b128 v[4:7], v47 offset:496
	ds_read_b128 v[64:67], v52 offset:8944
	s_waitcnt lgkmcnt(1)
	;;#ASMSTART
	v_dot2_f32_f16 v9, v0, v4, v9
	;;#ASMEND
	s_nop 0
	;;#ASMSTART
	v_dot2_f32_f16 v9, v1, v5, v9
	;;#ASMEND
	s_nop 0
	;; [unrolled: 4-line block ×3, first 2 shown]
	;;#ASMSTART
	v_dot2_f32_f16 v9, v3, v7, v9
	;;#ASMEND
	s_waitcnt lgkmcnt(0)
	;;#ASMSTART
	v_dot2_f32_f16 v10, v64, v4, v10
	;;#ASMEND
                                        ; implicit-def: $vgpr3
	s_nop 0
	;;#ASMSTART
	v_dot2_f32_f16 v10, v65, v5, v10
	;;#ASMEND
	v_cmp_nlt_f32_e64 s[4:5], |v9|, s29
	;;#ASMSTART
	v_dot2_f32_f16 v10, v66, v6, v10
	;;#ASMEND
	s_nop 0
	;;#ASMSTART
	v_dot2_f32_f16 v10, v67, v7, v10
	;;#ASMEND
	s_and_saveexec_b64 s[10:11], s[4:5]
	s_xor_b64 s[4:5], exec, s[10:11]
	s_cbranch_execz .LBB72_10
; %bb.9:                                ;   in Loop: Header=BB72_8 Depth=1
	v_add_f32_e64 v0, |v9|, |v9|
	v_mul_f32_e32 v1, 0x3fb8aa3b, v0
	v_rndne_f32_e32 v2, v1
	v_sub_f32_e32 v3, v1, v2
	v_fma_f32 v1, v0, s30, -v1
	v_fmac_f32_e32 v1, 0x32a5705f, v0
	v_add_f32_e32 v1, v3, v1
	v_cvt_i32_f32_e32 v2, v2
	v_exp_f32_e32 v1, v1
	v_cmp_ngt_f32_e32 vcc, s31, v0
	v_ldexp_f32 v1, v1, v2
	s_nop 0
	v_cndmask_b32_e32 v1, 0, v1, vcc
	v_cmp_nlt_f32_e32 vcc, s39, v0
	s_nop 1
	v_cndmask_b32_e32 v0, v60, v1, vcc
	v_add_f32_e32 v0, 1.0, v0
	v_rcp_f32_e32 v0, v0
	s_nop 0
	v_fma_f32 v3, v0, -2.0, 1.0
.LBB72_10:                              ;   in Loop: Header=BB72_8 Depth=1
	s_andn2_saveexec_b64 s[4:5], s[4:5]
; %bb.11:                               ;   in Loop: Header=BB72_8 Depth=1
	v_mul_f32_e32 v0, v9, v9
	v_fmamk_f32 v1, v0, 0xbbbac73d, v59
	v_fmaak_f32 v1, v0, v1, 0xbd5c1c4e
	v_fmaak_f32 v1, v0, v1, 0x3e088382
	;; [unrolled: 1-line block ×3, first 2 shown]
	v_mul_f32_e64 v1, |v9|, v1
	v_fma_f32 v3, v0, v1, |v9|
; %bb.12:                               ;   in Loop: Header=BB72_8 Depth=1
	s_or_b64 exec, exec, s[4:5]
	v_add_u32_e32 v0, s14, v26
	v_cndmask_b32_e64 v1, 0, 1, s[6:7]
	v_cmp_ne_u32_e64 s[4:5], 1, v1
	s_andn2_b64 vcc, exec, s[6:7]
	v_ashrrev_i32_e32 v1, 31, v0
	s_cbranch_vccnz .LBB72_22
; %bb.13:                               ;   in Loop: Header=BB72_8 Depth=1
	v_lshl_add_u64 v[4:5], v[0:1], 1, s[36:37]
	global_load_ushort v2, v[4:5], off
	s_waitcnt vmcnt(0)
	v_cvt_f32_f16_e32 v2, v2
	v_mul_f32_e32 v2, v45, v2
	v_cmp_nlt_f32_e64 s[10:11], |v10|, s29
                                        ; implicit-def: $vgpr4
	s_and_saveexec_b64 s[42:43], s[10:11]
	s_xor_b64 s[10:11], exec, s[42:43]
	s_cbranch_execz .LBB72_15
.LBB72_14:                              ;   in Loop: Header=BB72_8 Depth=1
	v_add_f32_e64 v4, |v10|, |v10|
	v_mul_f32_e32 v5, 0x3fb8aa3b, v4
	v_rndne_f32_e32 v6, v5
	v_sub_f32_e32 v7, v5, v6
	v_fma_f32 v5, v4, s30, -v5
	v_fmac_f32_e32 v5, 0x32a5705f, v4
	v_add_f32_e32 v5, v7, v5
	v_cvt_i32_f32_e32 v6, v6
	v_exp_f32_e32 v5, v5
	v_cmp_ngt_f32_e32 vcc, s31, v4
	v_ldexp_f32 v5, v5, v6
	s_nop 0
	v_cndmask_b32_e32 v5, 0, v5, vcc
	v_cmp_nlt_f32_e32 vcc, s39, v4
	s_nop 1
	v_cndmask_b32_e32 v4, v60, v5, vcc
	v_add_f32_e32 v4, 1.0, v4
	v_rcp_f32_e32 v4, v4
	s_nop 0
	v_fma_f32 v4, v4, -2.0, 1.0
.LBB72_15:                              ;   in Loop: Header=BB72_8 Depth=1
	s_andn2_saveexec_b64 s[10:11], s[10:11]
	s_cbranch_execz .LBB72_18
; %bb.16:                               ;   in Loop: Header=BB72_8 Depth=1
	v_mul_f32_e32 v4, v10, v10
	v_fmamk_f32 v5, v4, 0xbbbac73d, v59
	v_fmaak_f32 v5, v4, v5, 0xbd5c1c4e
	v_fmaak_f32 v5, v4, v5, 0x3e088382
	;; [unrolled: 1-line block ×3, first 2 shown]
	v_mul_f32_e64 v5, |v10|, v5
	v_fma_f32 v4, v4, v5, |v10|
	s_or_b64 exec, exec, s[10:11]
	s_and_b64 vcc, exec, s[4:5]
	s_cbranch_vccz .LBB72_19
.LBB72_17:                              ;   in Loop: Header=BB72_8 Depth=1
	v_mov_b32_e32 v0, 0
	s_branch .LBB72_20
.LBB72_18:                              ;   in Loop: Header=BB72_8 Depth=1
	s_or_b64 exec, exec, s[10:11]
	s_and_b64 vcc, exec, s[4:5]
	s_cbranch_vccnz .LBB72_17
.LBB72_19:                              ;   in Loop: Header=BB72_8 Depth=1
	v_lshl_add_u64 v[0:1], v[0:1], 1, s[36:37]
	global_load_ushort v0, v[0:1], off offset:64
	s_waitcnt vmcnt(0)
	v_cvt_f32_f16_e32 v0, v0
	v_mul_f32_e32 v0, v45, v0
.LBB72_20:                              ;   in Loop: Header=BB72_8 Depth=1
	v_bfi_b32 v1, s40, v4, v10
	v_and_b32_e32 v4, 0x60, v61
	v_bfi_b32 v3, s40, v3, v9
	v_add_u32_e32 v9, 32, v4
	v_xor_b32_e32 v4, 4, v61
	v_cmp_lt_i32_e32 vcc, v4, v9
	v_fmac_f32_e32 v2, s15, v3
	v_fmac_f32_e32 v0, s15, v1
	v_cndmask_b32_e32 v10, v61, v4, vcc
	v_xor_b32_e32 v4, 16, v61
	v_cmp_lt_i32_e32 vcc, v4, v9
	v_add_f32_e32 v3, 0x40051340, v2
	v_add_f32_e32 v1, 0x40051340, v0
	v_cndmask_b32_e32 v4, v61, v4, vcc
	v_max3_f32 v1, v63, v3, v1
	v_lshlrev_b32_e32 v3, 2, v4
	ds_bpermute_b32 v3, v3, v1
	v_xor_b32_e32 v4, 8, v61
	s_mul_hi_i32 s5, s14, s2
	s_mul_i32 s4, s14, s2
	v_cmp_lt_i32_e32 vcc, v4, v9
	s_lshl_b64 s[4:5], s[4:5], 2
	s_waitcnt lgkmcnt(0)
	v_max_f32_e32 v3, v3, v3
	v_cndmask_b32_e32 v4, v61, v4, vcc
	s_add_u32 s4, s12, s4
	v_lshlrev_b32_e32 v4, 2, v4
	v_max_f32_e32 v1, v1, v3
	s_addc_u32 s5, s13, s5
	ds_bpermute_b32 v3, v4, v1
	v_lshl_add_u64 v[4:5], s[4:5], 0, v[30:31]
	v_lshl_add_u64 v[68:69], v[4:5], 0, v[14:15]
	;; [unrolled: 1-line block ×3, first 2 shown]
	s_waitcnt lgkmcnt(0)
	s_barrier
	v_lshl_add_u64 v[70:71], v[4:5], 0, v[14:15]
	global_load_dwordx4 v[4:7], v[68:69], off
	global_load_dwordx4 v[64:67], v[70:71], off
	v_lshl_add_u64 v[68:69], s[4:5], 0, v[34:35]
	v_lshl_add_u64 v[76:77], v[68:69], 0, v[14:15]
	;; [unrolled: 1-line block ×4, first 2 shown]
	global_load_dwordx4 v[68:71], v[76:77], off
	global_load_dwordx4 v[72:75], v[78:79], off
	v_max_f32_e32 v3, v3, v3
	v_lshlrev_b32_e32 v10, 2, v10
	v_max_f32_e32 v1, v1, v3
	ds_bpermute_b32 v3, v10, v1
	v_xor_b32_e32 v10, 2, v61
	v_cmp_lt_i32_e32 vcc, v10, v9
	s_or_b32 s4, s14, 32
	v_add_u32_e32 v110, 0x3000, v40
	v_cndmask_b32_e32 v10, v61, v10, vcc
	s_waitcnt lgkmcnt(0)
	v_max_f32_e32 v3, v3, v3
	v_lshlrev_b32_e32 v10, 2, v10
	v_max_f32_e32 v1, v1, v3
	ds_bpermute_b32 v3, v10, v1
	v_xor_b32_e32 v10, 1, v61
	v_cmp_lt_i32_e32 vcc, v10, v9
	s_mul_hi_i32 s5, s4, s2
	s_mul_i32 s4, s4, s2
	v_cndmask_b32_e32 v9, v61, v10, vcc
	s_waitcnt lgkmcnt(0)
	v_max_f32_e32 v3, v3, v3
	v_lshlrev_b32_e32 v9, 2, v9
	v_max_f32_e32 v1, v1, v3
	ds_bpermute_b32 v3, v9, v1
	s_lshl_b64 s[4:5], s[4:5], 2
	s_add_u32 s4, s12, s4
	s_addc_u32 s5, s13, s5
	v_lshl_add_u64 v[88:89], s[4:5], 0, v[30:31]
	s_waitcnt lgkmcnt(0)
	v_max_f32_e32 v3, v3, v3
	v_max_f32_e32 v10, v1, v3
	v_sub_f32_e32 v1, v2, v10
	v_mul_f32_e32 v2, 0x3fb8aa3b, v1
	v_fma_f32 v3, v1, s30, -v2
	v_rndne_f32_e32 v9, v2
	v_fmac_f32_e32 v3, 0x32a5705f, v1
	v_sub_f32_e32 v2, v2, v9
	v_add_f32_e32 v2, v2, v3
	v_exp_f32_e32 v2, v2
	v_cvt_i32_f32_e32 v3, v9
	v_cmp_ngt_f32_e32 vcc, s31, v1
	v_sub_f32_e32 v0, v0, v10
	v_sub_f32_e32 v63, v63, v10
	v_ldexp_f32 v2, v2, v3
	v_cndmask_b32_e32 v2, 0, v2, vcc
	v_cmp_nlt_f32_e32 vcc, s39, v1
	v_add_u32_e32 v115, 0x3800, v40
	v_lshl_add_u64 v[96:97], v[88:89], 0, v[14:15]
	v_cndmask_b32_e32 v9, v60, v2, vcc
	v_mul_f32_e32 v2, 0x3fb8aa3b, v0
	v_fma_f32 v3, v0, s30, -v2
	v_rndne_f32_e32 v76, v2
	v_fmac_f32_e32 v3, 0x32a5705f, v0
	v_sub_f32_e32 v2, v2, v76
	v_add_f32_e32 v2, v2, v3
	v_cvt_i32_f32_e32 v3, v76
	v_mul_f32_e32 v76, 0x3fb8aa3b, v63
	v_fma_f32 v77, v63, s30, -v76
	v_rndne_f32_e32 v78, v76
	v_fmac_f32_e32 v77, 0x32a5705f, v63
	v_sub_f32_e32 v76, v76, v78
	v_exp_f32_e32 v2, v2
	v_add_f32_e32 v76, v76, v77
	v_exp_f32_e32 v76, v76
	v_cvt_i32_f32_e32 v77, v78
	v_ldexp_f32 v2, v2, v3
	v_cmp_ngt_f32_e32 vcc, s31, v0
	v_cvt_f16_f32_e32 v1, v9
	v_ldexp_f32 v3, v76, v77
	v_cndmask_b32_e32 v2, 0, v2, vcc
	v_cmp_ngt_f32_e32 vcc, s31, v63
	v_lshl_add_u64 v[88:89], s[4:5], 0, v[32:33]
	v_lshl_add_u64 v[98:99], v[88:89], 0, v[14:15]
	v_cndmask_b32_e32 v3, 0, v3, vcc
	v_cmp_nlt_f32_e32 vcc, s39, v63
	s_nop 1
	v_cndmask_b32_e32 v108, v60, v3, vcc
	v_cmp_nlt_f32_e32 vcc, s39, v0
	v_cvt_f16_f32_e32 v3, v108
	v_mul_u32_u24_e32 v63, 0x10001, v3
	v_cndmask_b32_e32 v109, v60, v2, vcc
	v_cvt_f16_f32_e32 v0, v109
	ds_write_b16 v54, v1
	ds_write_b16 v54, v0 offset:64
	s_waitcnt vmcnt(3)
	ds_write_b128 v55, v[4:7]
	s_waitcnt vmcnt(2)
	ds_write_b128 v56, v[64:67]
	;; [unrolled: 2-line block ×4, first 2 shown]
	s_waitcnt lgkmcnt(0)
	s_barrier
	ds_read_b128 v[64:67], v53
	ds_read2_b64 v[68:71], v40 offset1:32
	ds_read_b128 v[72:75], v53 offset:16
	ds_read_b128 v[4:7], v53 offset:32
	;; [unrolled: 1-line block ×3, first 2 shown]
	s_waitcnt lgkmcnt(4)
	v_mul_u32_u24_sdwa v80, v64, s41 dst_sel:DWORD dst_unused:UNUSED_PAD src0_sel:WORD_0 src1_sel:DWORD
	ds_read2_b64 v[76:79], v40 offset0:64 offset1:96
	s_waitcnt lgkmcnt(4)
	v_pk_mul_f16 v68, v68, v80
	v_pk_mul_f16 v44, v44, v63
	;; [unrolled: 1-line block ×3, first 2 shown]
	v_pk_fma_f16 v42, v42, v63, v68
	v_pk_mul_f16 v68, v69, v80
	v_pk_fma_f16 v44, v70, v80, v44
	v_pk_fma_f16 v27, v27, v63, v68
	;; [unrolled: 1-line block ×3, first 2 shown]
	ds_read2_b64 v[68:71], v40 offset0:128 offset1:160
	v_mul_u32_u24_sdwa v63, v64, s41 dst_sel:DWORD dst_unused:UNUSED_PAD src0_sel:WORD_1 src1_sel:DWORD
	s_waitcnt lgkmcnt(1)
	v_pk_fma_f16 v42, v76, v63, v42
	v_pk_fma_f16 v27, v77, v63, v27
	;; [unrolled: 1-line block ×4, first 2 shown]
	ds_read2_b64 v[76:79], v40 offset0:192 offset1:224
	v_mul_u32_u24_sdwa v63, v65, s41 dst_sel:DWORD dst_unused:UNUSED_PAD src0_sel:WORD_0 src1_sel:DWORD
	s_waitcnt lgkmcnt(1)
	v_pk_fma_f16 v64, v69, v63, v27
	v_add_u32_e32 v27, 0x800, v40
	v_pk_fma_f16 v42, v68, v63, v42
	v_pk_fma_f16 v44, v70, v63, v44
	;; [unrolled: 1-line block ×3, first 2 shown]
	v_mul_u32_u24_sdwa v63, v65, s41 dst_sel:DWORD dst_unused:UNUSED_PAD src0_sel:WORD_1 src1_sel:DWORD
	ds_read2_b64 v[68:71], v27 offset1:32
	s_waitcnt lgkmcnt(1)
	v_pk_fma_f16 v42, v76, v63, v42
	v_pk_fma_f16 v64, v77, v63, v64
	;; [unrolled: 1-line block ×4, first 2 shown]
	ds_read2_b64 v[76:79], v27 offset0:64 offset1:96
	v_mul_u32_u24_sdwa v63, v66, s41 dst_sel:DWORD dst_unused:UNUSED_PAD src0_sel:WORD_0 src1_sel:DWORD
	s_waitcnt lgkmcnt(1)
	v_pk_fma_f16 v42, v68, v63, v42
	v_pk_fma_f16 v64, v69, v63, v64
	;; [unrolled: 1-line block ×4, first 2 shown]
	v_mul_u32_u24_sdwa v63, v66, s41 dst_sel:DWORD dst_unused:UNUSED_PAD src0_sel:WORD_1 src1_sel:DWORD
	ds_read2_b64 v[68:71], v27 offset0:128 offset1:160
	s_waitcnt lgkmcnt(1)
	v_pk_fma_f16 v42, v76, v63, v42
	v_pk_fma_f16 v64, v77, v63, v64
	;; [unrolled: 1-line block ×4, first 2 shown]
	ds_read2_b64 v[76:79], v27 offset0:192 offset1:224
	v_mul_u32_u24_sdwa v63, v67, s41 dst_sel:DWORD dst_unused:UNUSED_PAD src0_sel:WORD_0 src1_sel:DWORD
	s_waitcnt lgkmcnt(1)
	v_pk_fma_f16 v42, v68, v63, v42
	v_pk_fma_f16 v68, v69, v63, v64
	;; [unrolled: 1-line block ×4, first 2 shown]
	v_mul_u32_u24_sdwa v63, v67, s41 dst_sel:DWORD dst_unused:UNUSED_PAD src0_sel:WORD_1 src1_sel:DWORD
	s_waitcnt lgkmcnt(0)
	v_pk_fma_f16 v69, v76, v63, v42
	v_add_u32_e32 v42, 0x1000, v40
	ds_read2_b64 v[64:67], v42 offset1:32
	v_pk_fma_f16 v76, v77, v63, v68
	v_pk_fma_f16 v44, v78, v63, v44
	;; [unrolled: 1-line block ×3, first 2 shown]
	v_mul_u32_u24_sdwa v63, v72, s41 dst_sel:DWORD dst_unused:UNUSED_PAD src0_sel:WORD_0 src1_sel:DWORD
	s_waitcnt lgkmcnt(0)
	v_pk_fma_f16 v64, v64, v63, v69
	ds_read2_b64 v[68:71], v42 offset0:64 offset1:96
	v_pk_fma_f16 v76, v65, v63, v76
	v_pk_fma_f16 v44, v66, v63, v44
	;; [unrolled: 1-line block ×3, first 2 shown]
	v_mul_u32_u24_sdwa v63, v72, s41 dst_sel:DWORD dst_unused:UNUSED_PAD src0_sel:WORD_1 src1_sel:DWORD
	s_waitcnt lgkmcnt(0)
	v_pk_fma_f16 v68, v68, v63, v64
	ds_read2_b64 v[64:67], v42 offset0:128 offset1:160
	v_pk_fma_f16 v72, v69, v63, v76
	v_pk_fma_f16 v44, v70, v63, v44
	v_pk_fma_f16 v43, v71, v63, v43
	v_mul_u32_u24_sdwa v63, v73, s41 dst_sel:DWORD dst_unused:UNUSED_PAD src0_sel:WORD_0 src1_sel:DWORD
	s_waitcnt lgkmcnt(0)
	v_pk_fma_f16 v64, v64, v63, v68
	ds_read2_b64 v[68:71], v42 offset0:192 offset1:224
	v_pk_fma_f16 v72, v65, v63, v72
	v_pk_fma_f16 v44, v66, v63, v44
	;; [unrolled: 1-line block ×3, first 2 shown]
	v_mul_u32_u24_sdwa v73, v73, s41 dst_sel:DWORD dst_unused:UNUSED_PAD src0_sel:WORD_1 src1_sel:DWORD
	v_add_u32_e32 v43, 0x1800, v40
	s_waitcnt lgkmcnt(0)
	v_pk_fma_f16 v68, v68, v73, v64
	ds_read2_b64 v[64:67], v43 offset1:32
	v_pk_fma_f16 v72, v69, v73, v72
	v_pk_fma_f16 v44, v70, v73, v44
	;; [unrolled: 1-line block ×3, first 2 shown]
	v_mul_u32_u24_sdwa v73, v74, s41 dst_sel:DWORD dst_unused:UNUSED_PAD src0_sel:WORD_0 src1_sel:DWORD
	s_waitcnt lgkmcnt(0)
	v_pk_fma_f16 v64, v64, v73, v68
	ds_read2_b64 v[68:71], v43 offset0:64 offset1:96
	v_pk_fma_f16 v72, v65, v73, v72
	v_pk_fma_f16 v44, v66, v73, v44
	v_pk_fma_f16 v63, v67, v73, v63
	v_mul_u32_u24_sdwa v73, v74, s41 dst_sel:DWORD dst_unused:UNUSED_PAD src0_sel:WORD_1 src1_sel:DWORD
	s_waitcnt lgkmcnt(0)
	v_pk_fma_f16 v68, v68, v73, v64
	ds_read2_b64 v[64:67], v43 offset0:128 offset1:160
	v_pk_fma_f16 v72, v69, v73, v72
	v_pk_fma_f16 v44, v70, v73, v44
	;; [unrolled: 1-line block ×3, first 2 shown]
	v_mul_u32_u24_sdwa v73, v75, s41 dst_sel:DWORD dst_unused:UNUSED_PAD src0_sel:WORD_0 src1_sel:DWORD
	s_waitcnt lgkmcnt(0)
	v_pk_fma_f16 v64, v64, v73, v68
	ds_read2_b64 v[68:71], v43 offset0:192 offset1:224
	v_pk_fma_f16 v72, v65, v73, v72
	v_pk_fma_f16 v74, v66, v73, v44
	;; [unrolled: 1-line block ×3, first 2 shown]
	v_mul_u32_u24_sdwa v73, v75, s41 dst_sel:DWORD dst_unused:UNUSED_PAD src0_sel:WORD_1 src1_sel:DWORD
	v_add_u32_e32 v44, 0x2000, v40
	s_waitcnt lgkmcnt(0)
	v_pk_fma_f16 v68, v68, v73, v64
	ds_read2_b64 v[64:67], v44 offset1:32
	v_pk_fma_f16 v72, v69, v73, v72
	v_pk_fma_f16 v74, v70, v73, v74
	;; [unrolled: 1-line block ×3, first 2 shown]
	v_mul_u32_u24_sdwa v73, v4, s41 dst_sel:DWORD dst_unused:UNUSED_PAD src0_sel:WORD_0 src1_sel:DWORD
	s_waitcnt lgkmcnt(0)
	v_pk_fma_f16 v64, v64, v73, v68
	ds_read2_b64 v[68:71], v44 offset0:64 offset1:96
	v_mul_u32_u24_sdwa v4, v4, s41 dst_sel:DWORD dst_unused:UNUSED_PAD src0_sel:WORD_1 src1_sel:DWORD
	v_pk_fma_f16 v72, v65, v73, v72
	v_pk_fma_f16 v74, v66, v73, v74
	;; [unrolled: 1-line block ×3, first 2 shown]
	s_waitcnt lgkmcnt(0)
	v_pk_fma_f16 v68, v68, v4, v64
	ds_read2_b64 v[64:67], v44 offset0:128 offset1:160
	v_pk_fma_f16 v72, v69, v4, v72
	v_pk_fma_f16 v73, v70, v4, v74
	;; [unrolled: 1-line block ×3, first 2 shown]
	v_mul_u32_u24_sdwa v63, v5, s41 dst_sel:DWORD dst_unused:UNUSED_PAD src0_sel:WORD_0 src1_sel:DWORD
	s_waitcnt lgkmcnt(0)
	v_pk_fma_f16 v64, v64, v63, v68
	ds_read2_b64 v[68:71], v44 offset0:192 offset1:224
	v_pk_fma_f16 v72, v65, v63, v72
	v_pk_fma_f16 v73, v66, v63, v73
	v_pk_fma_f16 v4, v67, v63, v4
	v_mul_u32_u24_sdwa v5, v5, s41 dst_sel:DWORD dst_unused:UNUSED_PAD src0_sel:WORD_1 src1_sel:DWORD
	v_add_u32_e32 v63, 0x2800, v40
	s_waitcnt lgkmcnt(0)
	v_pk_fma_f16 v68, v68, v5, v64
	ds_read2_b64 v[64:67], v63 offset1:32
	v_pk_fma_f16 v72, v69, v5, v72
	v_pk_fma_f16 v73, v70, v5, v73
	v_pk_fma_f16 v4, v71, v5, v4
	v_mul_u32_u24_sdwa v5, v6, s41 dst_sel:DWORD dst_unused:UNUSED_PAD src0_sel:WORD_0 src1_sel:DWORD
	s_waitcnt lgkmcnt(0)
	v_pk_fma_f16 v64, v64, v5, v68
	ds_read2_b64 v[68:71], v63 offset0:64 offset1:96
	v_pk_fma_f16 v72, v65, v5, v72
	v_pk_fma_f16 v73, v66, v5, v73
	;; [unrolled: 1-line block ×3, first 2 shown]
	v_mul_u32_u24_sdwa v5, v6, s41 dst_sel:DWORD dst_unused:UNUSED_PAD src0_sel:WORD_1 src1_sel:DWORD
	s_waitcnt lgkmcnt(0)
	v_pk_fma_f16 v6, v68, v5, v64
	ds_read2_b64 v[64:67], v63 offset0:128 offset1:160
	v_pk_fma_f16 v72, v69, v5, v72
	v_pk_fma_f16 v73, v70, v5, v73
	;; [unrolled: 1-line block ×3, first 2 shown]
	ds_read2_b64 v[68:71], v63 offset0:192 offset1:224
	v_mul_u32_u24_sdwa v5, v7, s41 dst_sel:DWORD dst_unused:UNUSED_PAD src0_sel:WORD_0 src1_sel:DWORD
	s_waitcnt lgkmcnt(1)
	v_pk_fma_f16 v6, v64, v5, v6
	v_pk_fma_f16 v64, v65, v5, v72
	v_pk_fma_f16 v65, v66, v5, v73
	v_pk_fma_f16 v66, v67, v5, v4
	v_mul_u32_u24_sdwa v67, v7, s41 dst_sel:DWORD dst_unused:UNUSED_PAD src0_sel:WORD_1 src1_sel:DWORD
	s_waitcnt lgkmcnt(0)
	v_pk_fma_f16 v68, v68, v67, v6
	ds_read2_b64 v[4:7], v110 offset1:32
	v_pk_fma_f16 v69, v69, v67, v64
	v_pk_fma_f16 v70, v70, v67, v65
	;; [unrolled: 1-line block ×3, first 2 shown]
	v_mul_u32_u24_sdwa v72, v0, s41 dst_sel:DWORD dst_unused:UNUSED_PAD src0_sel:WORD_0 src1_sel:DWORD
	s_waitcnt lgkmcnt(0)
	v_pk_fma_f16 v111, v4, v72, v68
	ds_read2_b64 v[64:67], v110 offset0:64 offset1:96
	v_pk_fma_f16 v112, v5, v72, v69
	v_pk_fma_f16 v113, v6, v72, v70
	;; [unrolled: 1-line block ×3, first 2 shown]
	ds_read2_b64 v[4:7], v110 offset0:128 offset1:160
	ds_read2_b64 v[68:71], v110 offset0:192 offset1:224
	ds_read2_b64 v[72:75], v115 offset1:32
	ds_read2_b64 v[76:79], v115 offset0:64 offset1:96
	ds_read2_b64 v[80:83], v115 offset0:128 offset1:160
	;; [unrolled: 1-line block ×3, first 2 shown]
	s_waitcnt lgkmcnt(0)
	s_barrier
	global_load_dwordx4 v[88:91], v[96:97], off
	global_load_dwordx4 v[92:95], v[98:99], off
	v_lshl_add_u64 v[96:97], s[4:5], 0, v[34:35]
	v_lshl_add_u64 v[104:105], v[96:97], 0, v[14:15]
	;; [unrolled: 1-line block ×4, first 2 shown]
	global_load_dwordx4 v[96:99], v[104:105], off
	global_load_dwordx4 v[100:103], v[106:107], off
	v_mul_u32_u24_sdwa v0, v0, s41 dst_sel:DWORD dst_unused:UNUSED_PAD src0_sel:WORD_1 src1_sel:DWORD
	v_pk_fma_f16 v64, v64, v0, v111
	v_pk_fma_f16 v65, v65, v0, v112
	;; [unrolled: 1-line block ×4, first 2 shown]
	v_mul_u32_u24_sdwa v67, v1, s41 dst_sel:DWORD dst_unused:UNUSED_PAD src0_sel:WORD_0 src1_sel:DWORD
	v_pk_fma_f16 v4, v4, v67, v64
	v_pk_fma_f16 v5, v5, v67, v65
	;; [unrolled: 1-line block ×4, first 2 shown]
	v_mul_u32_u24_sdwa v1, v1, s41 dst_sel:DWORD dst_unused:UNUSED_PAD src0_sel:WORD_1 src1_sel:DWORD
	v_pk_fma_f16 v4, v68, v1, v4
	v_pk_fma_f16 v5, v69, v1, v5
	;; [unrolled: 1-line block ×4, first 2 shown]
	v_mul_u32_u24_sdwa v1, v2, s41 dst_sel:DWORD dst_unused:UNUSED_PAD src0_sel:WORD_0 src1_sel:DWORD
	v_pk_fma_f16 v4, v72, v1, v4
	v_pk_fma_f16 v5, v73, v1, v5
	;; [unrolled: 1-line block ×4, first 2 shown]
	v_mul_u32_u24_sdwa v1, v2, s41 dst_sel:DWORD dst_unused:UNUSED_PAD src0_sel:WORD_1 src1_sel:DWORD
	v_pk_fma_f16 v2, v76, v1, v4
	v_pk_fma_f16 v4, v77, v1, v5
	;; [unrolled: 1-line block ×4, first 2 shown]
	v_mul_u32_u24_sdwa v1, v3, s41 dst_sel:DWORD dst_unused:UNUSED_PAD src0_sel:WORD_0 src1_sel:DWORD
	v_add_f32_e32 v9, v9, v109
	v_pk_fma_f16 v2, v80, v1, v2
	v_pk_fma_f16 v4, v81, v1, v4
	;; [unrolled: 1-line block ×4, first 2 shown]
	v_mul_u32_u24_sdwa v1, v3, s41 dst_sel:DWORD dst_unused:UNUSED_PAD src0_sel:WORD_1 src1_sel:DWORD
	v_fmac_f32_e32 v9, v62, v108
	v_pk_fma_f16 v62, v84, v1, v2
	v_pk_fma_f16 v80, v85, v1, v4
	;; [unrolled: 1-line block ×4, first 2 shown]
	s_waitcnt vmcnt(3)
	ds_write_b128 v55, v[88:91]
	s_waitcnt vmcnt(2)
	ds_write_b128 v56, v[92:95]
	s_waitcnt vmcnt(1)
	ds_write_b128 v57, v[96:99]
	s_waitcnt vmcnt(0)
	ds_write_b128 v58, v[100:103]
	s_waitcnt lgkmcnt(0)
	s_barrier
	ds_read_b128 v[64:67], v53 offset:64
	ds_read2_b64 v[68:71], v40 offset1:32
	ds_read_b128 v[72:75], v53 offset:80
	ds_read_b128 v[4:7], v53 offset:96
	;; [unrolled: 1-line block ×3, first 2 shown]
	ds_read2_b64 v[76:79], v40 offset0:64 offset1:96
	s_waitcnt lgkmcnt(5)
	v_mul_u32_u24_sdwa v83, v64, s41 dst_sel:DWORD dst_unused:UNUSED_PAD src0_sel:WORD_0 src1_sel:DWORD
	s_waitcnt lgkmcnt(4)
	v_pk_fma_f16 v62, v68, v83, v62
	v_pk_fma_f16 v80, v69, v83, v80
	v_pk_fma_f16 v81, v70, v83, v81
	v_pk_fma_f16 v82, v71, v83, v82
	v_mul_u32_u24_sdwa v64, v64, s41 dst_sel:DWORD dst_unused:UNUSED_PAD src0_sel:WORD_1 src1_sel:DWORD
	ds_read2_b64 v[68:71], v40 offset0:128 offset1:160
	s_waitcnt lgkmcnt(1)
	v_pk_fma_f16 v62, v76, v64, v62
	v_pk_fma_f16 v80, v77, v64, v80
	v_pk_fma_f16 v81, v78, v64, v81
	v_pk_fma_f16 v64, v79, v64, v82
	ds_read2_b64 v[76:79], v40 offset0:192 offset1:224
	v_mul_u32_u24_sdwa v82, v65, s41 dst_sel:DWORD dst_unused:UNUSED_PAD src0_sel:WORD_0 src1_sel:DWORD
	s_waitcnt lgkmcnt(1)
	v_pk_fma_f16 v62, v68, v82, v62
	v_pk_fma_f16 v80, v69, v82, v80
	v_pk_fma_f16 v81, v70, v82, v81
	v_pk_fma_f16 v64, v71, v82, v64
	v_mul_u32_u24_sdwa v65, v65, s41 dst_sel:DWORD dst_unused:UNUSED_PAD src0_sel:WORD_1 src1_sel:DWORD
	ds_read2_b64 v[68:71], v27 offset1:32
	s_waitcnt lgkmcnt(1)
	v_pk_fma_f16 v62, v76, v65, v62
	v_pk_fma_f16 v80, v77, v65, v80
	v_pk_fma_f16 v81, v78, v65, v81
	v_pk_fma_f16 v64, v79, v65, v64
	ds_read2_b64 v[76:79], v27 offset0:64 offset1:96
	v_mul_u32_u24_sdwa v65, v66, s41 dst_sel:DWORD dst_unused:UNUSED_PAD src0_sel:WORD_0 src1_sel:DWORD
	s_waitcnt lgkmcnt(1)
	v_pk_fma_f16 v62, v68, v65, v62
	v_pk_fma_f16 v80, v69, v65, v80
	v_pk_fma_f16 v81, v70, v65, v81
	v_pk_fma_f16 v64, v71, v65, v64
	v_mul_u32_u24_sdwa v65, v66, s41 dst_sel:DWORD dst_unused:UNUSED_PAD src0_sel:WORD_1 src1_sel:DWORD
	ds_read2_b64 v[68:71], v27 offset0:128 offset1:160
	s_waitcnt lgkmcnt(1)
	v_pk_fma_f16 v62, v76, v65, v62
	v_pk_fma_f16 v66, v77, v65, v80
	v_pk_fma_f16 v80, v78, v65, v81
	v_pk_fma_f16 v64, v79, v65, v64
	ds_read2_b64 v[76:79], v27 offset0:192 offset1:224
	v_mul_u32_u24_sdwa v65, v67, s41 dst_sel:DWORD dst_unused:UNUSED_PAD src0_sel:WORD_0 src1_sel:DWORD
	s_waitcnt lgkmcnt(1)
	v_pk_fma_f16 v62, v68, v65, v62
	v_pk_fma_f16 v27, v69, v65, v66
	v_pk_fma_f16 v68, v70, v65, v80
	v_pk_fma_f16 v69, v71, v65, v64
	v_mul_u32_u24_sdwa v70, v67, s41 dst_sel:DWORD dst_unused:UNUSED_PAD src0_sel:WORD_1 src1_sel:DWORD
	ds_read2_b64 v[64:67], v42 offset1:32
	s_waitcnt lgkmcnt(1)
	v_pk_fma_f16 v62, v76, v70, v62
	v_pk_fma_f16 v27, v77, v70, v27
	v_pk_fma_f16 v76, v78, v70, v68
	v_pk_fma_f16 v77, v79, v70, v69
	ds_read2_b64 v[68:71], v42 offset0:64 offset1:96
	;; [unrolled: 28-line block ×5, first 2 shown]
	v_mul_u32_u24_sdwa v5, v6, s41 dst_sel:DWORD dst_unused:UNUSED_PAD src0_sel:WORD_0 src1_sel:DWORD
	s_waitcnt lgkmcnt(1)
	v_pk_fma_f16 v43, v64, v5, v43
	v_pk_fma_f16 v27, v65, v5, v27
	;; [unrolled: 1-line block ×4, first 2 shown]
	v_mul_u32_u24_sdwa v5, v6, s41 dst_sel:DWORD dst_unused:UNUSED_PAD src0_sel:WORD_1 src1_sel:DWORD
	ds_read2_b64 v[64:67], v63 offset0:128 offset1:160
	s_waitcnt lgkmcnt(1)
	v_pk_fma_f16 v6, v68, v5, v43
	v_pk_fma_f16 v27, v69, v5, v27
	;; [unrolled: 1-line block ×4, first 2 shown]
	ds_read2_b64 v[68:71], v63 offset0:192 offset1:224
	v_mul_u32_u24_sdwa v5, v7, s41 dst_sel:DWORD dst_unused:UNUSED_PAD src0_sel:WORD_0 src1_sel:DWORD
	s_waitcnt lgkmcnt(1)
	v_pk_fma_f16 v6, v64, v5, v6
	v_mul_u32_u24_sdwa v44, v7, s41 dst_sel:DWORD dst_unused:UNUSED_PAD src0_sel:WORD_1 src1_sel:DWORD
	v_pk_fma_f16 v27, v65, v5, v27
	v_pk_fma_f16 v42, v66, v5, v42
	;; [unrolled: 1-line block ×3, first 2 shown]
	s_waitcnt lgkmcnt(0)
	v_pk_fma_f16 v62, v68, v44, v6
	ds_read2_b64 v[4:7], v110 offset1:32
	v_pk_fma_f16 v27, v69, v44, v27
	v_pk_fma_f16 v42, v70, v44, v42
	;; [unrolled: 1-line block ×3, first 2 shown]
	v_mul_u32_u24_sdwa v44, v0, s41 dst_sel:DWORD dst_unused:UNUSED_PAD src0_sel:WORD_0 src1_sel:DWORD
	s_waitcnt lgkmcnt(0)
	v_pk_fma_f16 v4, v4, v44, v62
	ds_read2_b64 v[62:65], v110 offset0:64 offset1:96
	v_mul_u32_u24_sdwa v0, v0, s41 dst_sel:DWORD dst_unused:UNUSED_PAD src0_sel:WORD_1 src1_sel:DWORD
	v_pk_fma_f16 v27, v5, v44, v27
	v_pk_fma_f16 v42, v6, v44, v42
	;; [unrolled: 1-line block ×3, first 2 shown]
	s_waitcnt lgkmcnt(0)
	v_pk_fma_f16 v44, v62, v0, v4
	ds_read2_b64 v[4:7], v110 offset0:128 offset1:160
	v_pk_fma_f16 v27, v63, v0, v27
	v_pk_fma_f16 v42, v64, v0, v42
	;; [unrolled: 1-line block ×3, first 2 shown]
	ds_read2_b64 v[62:65], v110 offset0:192 offset1:224
	v_mul_u32_u24_sdwa v43, v1, s41 dst_sel:DWORD dst_unused:UNUSED_PAD src0_sel:WORD_0 src1_sel:DWORD
	s_waitcnt lgkmcnt(1)
	v_pk_fma_f16 v4, v4, v43, v44
	v_mul_u32_u24_sdwa v1, v1, s41 dst_sel:DWORD dst_unused:UNUSED_PAD src0_sel:WORD_1 src1_sel:DWORD
	v_pk_fma_f16 v27, v5, v43, v27
	v_pk_fma_f16 v42, v6, v43, v42
	;; [unrolled: 1-line block ×3, first 2 shown]
	s_waitcnt lgkmcnt(0)
	v_pk_fma_f16 v43, v62, v1, v4
	ds_read2_b64 v[4:7], v115 offset1:32
	v_pk_fma_f16 v27, v63, v1, v27
	v_pk_fma_f16 v42, v64, v1, v42
	;; [unrolled: 1-line block ×3, first 2 shown]
	ds_read2_b64 v[62:65], v115 offset0:64 offset1:96
	v_mul_u32_u24_sdwa v1, v2, s41 dst_sel:DWORD dst_unused:UNUSED_PAD src0_sel:WORD_0 src1_sel:DWORD
	s_waitcnt lgkmcnt(1)
	v_pk_fma_f16 v4, v4, v1, v43
	v_pk_fma_f16 v27, v5, v1, v27
	;; [unrolled: 1-line block ×4, first 2 shown]
	v_mul_u32_u24_sdwa v1, v2, s41 dst_sel:DWORD dst_unused:UNUSED_PAD src0_sel:WORD_1 src1_sel:DWORD
	s_waitcnt lgkmcnt(0)
	v_pk_fma_f16 v2, v62, v1, v4
	ds_read2_b64 v[4:7], v115 offset0:128 offset1:160
	v_pk_fma_f16 v27, v63, v1, v27
	v_pk_fma_f16 v42, v64, v1, v42
	;; [unrolled: 1-line block ×3, first 2 shown]
	v_mul_u32_u24_sdwa v1, v3, s41 dst_sel:DWORD dst_unused:UNUSED_PAD src0_sel:WORD_0 src1_sel:DWORD
	s_waitcnt lgkmcnt(0)
	v_pk_fma_f16 v2, v4, v1, v2
	v_pk_fma_f16 v27, v5, v1, v27
	;; [unrolled: 1-line block ×4, first 2 shown]
	ds_read2_b64 v[4:7], v115 offset0:192 offset1:224
	s_waitcnt lgkmcnt(0)
	s_barrier
	s_load_dword s4, s[8:9], 0x4
	v_mul_u32_u24_sdwa v1, v3, s41 dst_sel:DWORD dst_unused:UNUSED_PAD src0_sel:WORD_1 src1_sel:DWORD
	v_pk_fma_f16 v42, v4, v1, v2
	v_pk_fma_f16 v27, v5, v1, v27
	;; [unrolled: 1-line block ×3, first 2 shown]
	s_waitcnt lgkmcnt(0)
	s_lshl_b32 s4, s4, 6
	s_add_i32 s14, s4, s14
	s_cmp_lt_i32 s14, s28
	v_pk_fma_f16 v43, v7, v1, v0
	s_cbranch_scc0 .LBB72_24
; %bb.21:                               ;   in Loop: Header=BB72_8 Depth=1
	v_mov_b32_e32 v63, v10
	v_mov_b32_e32 v62, v9
	s_branch .LBB72_8
.LBB72_22:                              ;   in Loop: Header=BB72_8 Depth=1
	v_mov_b32_e32 v2, 0
	v_cmp_nlt_f32_e64 s[10:11], |v10|, s29
                                        ; implicit-def: $vgpr4
	s_and_saveexec_b64 s[42:43], s[10:11]
	s_xor_b64 s[10:11], exec, s[42:43]
	s_cbranch_execz .LBB72_15
	s_branch .LBB72_14
.LBB72_23:
	v_mov_b32_e32 v42, 0
	v_mov_b32_e32 v10, 0xfeffffff
	;; [unrolled: 1-line block ×5, first 2 shown]
.LBB72_24:
	s_cmp_gt_i32 s38, s14
	s_cbranch_scc1 .LBB72_26
; %bb.25:
	v_mbcnt_hi_u32_b32 v24, -1, v46
	v_and_b32_e32 v0, 0x60, v24
	v_add_u32_e32 v25, 32, v0
	v_xor_b32_e32 v31, 16, v24
	v_xor_b32_e32 v30, 8, v24
	;; [unrolled: 1-line block ×5, first 2 shown]
	s_cbranch_execz .LBB72_27
	s_branch .LBB72_46
.LBB72_26:
                                        ; implicit-def: $vgpr24
                                        ; implicit-def: $vgpr25
                                        ; implicit-def: $vgpr31
                                        ; implicit-def: $vgpr30
                                        ; implicit-def: $vgpr29
                                        ; implicit-def: $vgpr28
                                        ; implicit-def: $vgpr26
.LBB72_27:
	s_mul_hi_i32 s5, s14, s19
	s_mul_i32 s4, s14, s19
	s_sub_i32 s11, s38, s14
	s_lshl_b64 s[4:5], s[4:5], 2
	v_lshl_add_u32 v25, v41, 1, v17
	s_mov_b64 s[6:7], src_private_base
	s_add_u32 s24, s24, s4
	v_mul_lo_u32 v0, s19, v25
	s_mov_b32 s4, 0
	s_addc_u32 s25, s25, s5
	v_ashrrev_i32_e32 v1, 31, v0
	s_mov_b32 s6, s4
	v_lshlrev_b32_e32 v2, 2, v16
	v_mov_b32_e32 v3, 0
	s_mov_b32 s5, s4
	v_mov_b32_e32 v24, s6
	v_lshl_add_u64 v[4:5], v[0:1], 2, s[24:25]
	v_mov_b32_e32 v23, s5
	v_mov_b32_e32 v22, s4
	v_lshl_add_u64 v[6:7], v[4:5], 0, v[2:3]
	v_mov_b32_e32 v15, s7
	v_cmp_gt_i32_e64 s[8:9], s11, v25
	v_mov_b32_e32 v21, 0
	scratch_store_dword off, v3, off
	scratch_store_dwordx3 off, v[22:24], off offset:4
	v_cndmask_b32_e64 v5, v15, v7, s[8:9]
	v_cndmask_b32_e64 v4, v21, v6, s[8:9]
	flat_load_dwordx4 v[16:19], v[4:5]
	s_lshl_b32 s6, s19, 4
	v_add_u32_e32 v0, s6, v0
	v_ashrrev_i32_e32 v1, 31, v0
	s_movk_i32 s4, 0x110
	v_add_u32_e32 v26, 16, v25
	v_lshl_add_u64 v[4:5], v[0:1], 2, s[24:25]
	v_mad_u32_u24 v20, v25, s4, v2
	v_lshl_add_u64 v[4:5], v[4:5], 0, v[2:3]
	v_cmp_gt_i32_e32 vcc, s11, v26
	scratch_store_dword off, v3, off
	scratch_store_dwordx3 off, v[22:24], off offset:4
	v_cndmask_b32_e32 v29, v15, v5, vcc
	v_cndmask_b32_e32 v28, v21, v4, vcc
	v_add_u32_e32 v0, s6, v0
	v_ashrrev_i32_e32 v1, 31, v0
	s_waitcnt vmcnt(0) lgkmcnt(0)
	ds_write_b128 v20, v[16:19]
	flat_load_dwordx4 v[28:31], v[28:29]
	v_add_u32_e32 v18, 32, v25
	v_lshl_add_u64 v[16:17], v[0:1], 2, s[24:25]
	v_lshl_add_u64 v[16:17], v[16:17], 0, v[2:3]
	v_cmp_gt_i32_e64 s[4:5], s11, v18
	scratch_store_dword off, v3, off
	scratch_store_dwordx3 off, v[22:24], off offset:4
	v_cndmask_b32_e64 v19, v15, v17, s[4:5]
	v_cndmask_b32_e64 v18, v21, v16, s[4:5]
	v_add_u32_e32 v0, s6, v0
	v_ashrrev_i32_e32 v1, 31, v0
	v_add_u32_e32 v25, 48, v25
	v_lshl_add_u64 v[0:1], v[0:1], 2, s[24:25]
	v_cmp_gt_i32_e64 s[6:7], s11, v25
	s_mov_b64 s[24:25], 0x100
	v_lshl_add_u64 v[6:7], v[6:7], 0, s[24:25]
	v_cndmask_b32_e64 v7, v15, v7, s[8:9]
	v_cndmask_b32_e64 v6, v21, v6, s[8:9]
	v_lshl_add_u64 v[4:5], v[4:5], 0, s[24:25]
	v_cndmask_b32_e32 v5, v15, v5, vcc
	v_cndmask_b32_e32 v4, v21, v4, vcc
	v_lshl_add_u64 v[16:17], v[16:17], 0, s[24:25]
	v_cndmask_b32_e64 v17, v15, v17, s[4:5]
	v_cndmask_b32_e64 v16, v21, v16, s[4:5]
	s_mov_b32 s4, 0x3f200000
	s_waitcnt vmcnt(0) lgkmcnt(0)
	ds_write_b128 v20, v[28:31] offset:4352
	flat_load_dwordx4 v[28:31], v[18:19]
	v_lshl_add_u64 v[18:19], v[0:1], 0, v[2:3]
	v_cndmask_b32_e64 v1, v15, v19, s[6:7]
	v_cndmask_b32_e64 v0, v21, v18, s[6:7]
	scratch_store_dword off, v3, off
	scratch_store_dwordx3 off, v[22:24], off offset:4
	v_mul_u32_u24_e32 v2, 0x110, v12
	s_waitcnt vmcnt(0) lgkmcnt(0)
	ds_write_b128 v20, v[28:31] offset:8704
	flat_load_dwordx4 v[28:31], v[0:1]
	v_mov_b32_e32 v0, v3
	v_mov_b32_e32 v1, v3
	s_waitcnt vmcnt(0) lgkmcnt(0)
	ds_write_b128 v20, v[28:31] offset:13056
	s_waitcnt lgkmcnt(0)
	s_barrier
	ds_read_b128 v[28:31], v2
	ds_read_b128 v[32:35], v47
	ds_read_b128 v[48:51], v2 offset:8704
	s_waitcnt lgkmcnt(1)
	;;#ASMSTART
	v_dot2_f32_f16 v0, v28, v32, v0
	;;#ASMEND
	s_nop 0
	;;#ASMSTART
	v_dot2_f32_f16 v0, v29, v33, v0
	;;#ASMEND
	s_nop 0
	;;#ASMSTART
	v_dot2_f32_f16 v0, v30, v34, v0
	;;#ASMEND
	s_nop 0
	;;#ASMSTART
	v_dot2_f32_f16 v0, v31, v35, v0
	;;#ASMEND
	s_waitcnt lgkmcnt(0)
	;;#ASMSTART
	v_dot2_f32_f16 v1, v48, v32, v1
	;;#ASMEND
	s_nop 0
	;;#ASMSTART
	v_dot2_f32_f16 v1, v49, v33, v1
	;;#ASMEND
	s_nop 0
	;;#ASMSTART
	v_dot2_f32_f16 v1, v50, v34, v1
	;;#ASMEND
	s_nop 0
	;;#ASMSTART
	v_dot2_f32_f16 v1, v51, v35, v1
	;;#ASMEND
	ds_read_b128 v[28:31], v2 offset:16
	ds_read_b128 v[32:35], v47 offset:16
	ds_read_b128 v[48:51], v2 offset:8720
	s_waitcnt lgkmcnt(1)
	;;#ASMSTART
	v_dot2_f32_f16 v0, v28, v32, v0
	;;#ASMEND
	s_nop 0
	;;#ASMSTART
	v_dot2_f32_f16 v0, v29, v33, v0
	;;#ASMEND
	s_nop 0
	;;#ASMSTART
	v_dot2_f32_f16 v0, v30, v34, v0
	;;#ASMEND
	s_nop 0
	;;#ASMSTART
	v_dot2_f32_f16 v0, v31, v35, v0
	;;#ASMEND
	s_waitcnt lgkmcnt(0)
	;;#ASMSTART
	v_dot2_f32_f16 v1, v48, v32, v1
	;;#ASMEND
	s_nop 0
	;;#ASMSTART
	v_dot2_f32_f16 v1, v49, v33, v1
	;;#ASMEND
	s_nop 0
	;;#ASMSTART
	v_dot2_f32_f16 v1, v50, v34, v1
	;;#ASMEND
	s_nop 0
	;;#ASMSTART
	v_dot2_f32_f16 v1, v51, v35, v1
	;;#ASMEND
	ds_read_b128 v[28:31], v2 offset:32
	ds_read_b128 v[32:35], v47 offset:32
	;; [unrolled: 35-line block ×15, first 2 shown]
	ds_read_b128 v[48:51], v2 offset:8944
	s_waitcnt lgkmcnt(1)
	;;#ASMSTART
	v_dot2_f32_f16 v0, v28, v32, v0
	;;#ASMEND
	s_nop 0
	;;#ASMSTART
	v_dot2_f32_f16 v0, v29, v33, v0
	;;#ASMEND
	s_nop 0
	;;#ASMSTART
	v_dot2_f32_f16 v0, v30, v34, v0
	;;#ASMEND
	s_nop 0
	;;#ASMSTART
	v_dot2_f32_f16 v0, v31, v35, v0
	;;#ASMEND
	s_waitcnt lgkmcnt(0)
	;;#ASMSTART
	v_dot2_f32_f16 v1, v48, v32, v1
	;;#ASMEND
	s_nop 0
	;;#ASMSTART
	v_dot2_f32_f16 v1, v49, v33, v1
	;;#ASMEND
	s_nop 0
	;;#ASMSTART
	v_dot2_f32_f16 v1, v50, v34, v1
	;;#ASMEND
	s_nop 0
	;;#ASMSTART
	v_dot2_f32_f16 v1, v51, v35, v1
	;;#ASMEND
	s_barrier
	scratch_store_dword off, v3, off
	scratch_store_dwordx3 off, v[22:24], off offset:4
	flat_load_dwordx4 v[28:31], v[6:7]
	s_nop 0
	scratch_store_dword off, v3, off
	scratch_store_dwordx3 off, v[22:24], off offset:4
	s_waitcnt vmcnt(0) lgkmcnt(0)
	ds_write_b128 v20, v[28:31]
	flat_load_dwordx4 v[4:7], v[4:5]
	s_nop 0
	scratch_store_dword off, v3, off
	scratch_store_dwordx3 off, v[22:24], off offset:4
	s_waitcnt vmcnt(0) lgkmcnt(0)
	ds_write_b128 v20, v[4:7] offset:4352
	flat_load_dwordx4 v[4:7], v[16:17]
	v_lshl_add_u64 v[16:17], v[18:19], 0, s[24:25]
	v_cndmask_b32_e64 v17, v15, v17, s[6:7]
	v_cndmask_b32_e64 v16, v21, v16, s[6:7]
	scratch_store_dword off, v3, off
	scratch_store_dwordx3 off, v[22:24], off offset:4
                                        ; implicit-def: $vgpr3
	s_waitcnt vmcnt(0) lgkmcnt(0)
	ds_write_b128 v20, v[4:7] offset:8704
	flat_load_dwordx4 v[4:7], v[16:17]
	s_waitcnt vmcnt(0) lgkmcnt(0)
	ds_write_b128 v20, v[4:7] offset:13056
	s_waitcnt lgkmcnt(0)
	s_barrier
	ds_read_b128 v[4:7], v2
	ds_read_b128 v[16:19], v47 offset:256
	ds_read_b128 v[20:23], v2 offset:8704
	s_waitcnt lgkmcnt(1)
	;;#ASMSTART
	v_dot2_f32_f16 v0, v4, v16, v0
	;;#ASMEND
	s_nop 0
	;;#ASMSTART
	v_dot2_f32_f16 v0, v5, v17, v0
	;;#ASMEND
	s_nop 0
	;;#ASMSTART
	v_dot2_f32_f16 v0, v6, v18, v0
	;;#ASMEND
	s_nop 0
	;;#ASMSTART
	v_dot2_f32_f16 v0, v7, v19, v0
	;;#ASMEND
	s_waitcnt lgkmcnt(0)
	;;#ASMSTART
	v_dot2_f32_f16 v1, v20, v16, v1
	;;#ASMEND
	s_nop 0
	;;#ASMSTART
	v_dot2_f32_f16 v1, v21, v17, v1
	;;#ASMEND
	s_nop 0
	;;#ASMSTART
	v_dot2_f32_f16 v1, v22, v18, v1
	;;#ASMEND
	s_nop 0
	;;#ASMSTART
	v_dot2_f32_f16 v1, v23, v19, v1
	;;#ASMEND
	ds_read_b128 v[4:7], v2 offset:16
	ds_read_b128 v[16:19], v47 offset:272
	ds_read_b128 v[20:23], v2 offset:8720
	s_waitcnt lgkmcnt(1)
	;;#ASMSTART
	v_dot2_f32_f16 v0, v4, v16, v0
	;;#ASMEND
	s_nop 0
	;;#ASMSTART
	v_dot2_f32_f16 v0, v5, v17, v0
	;;#ASMEND
	s_nop 0
	;;#ASMSTART
	v_dot2_f32_f16 v0, v6, v18, v0
	;;#ASMEND
	s_nop 0
	;;#ASMSTART
	v_dot2_f32_f16 v0, v7, v19, v0
	;;#ASMEND
	s_waitcnt lgkmcnt(0)
	;;#ASMSTART
	v_dot2_f32_f16 v1, v20, v16, v1
	;;#ASMEND
	s_nop 0
	;;#ASMSTART
	v_dot2_f32_f16 v1, v21, v17, v1
	;;#ASMEND
	s_nop 0
	;;#ASMSTART
	v_dot2_f32_f16 v1, v22, v18, v1
	;;#ASMEND
	s_nop 0
	;;#ASMSTART
	v_dot2_f32_f16 v1, v23, v19, v1
	;;#ASMEND
	ds_read_b128 v[4:7], v2 offset:32
	;; [unrolled: 35-line block ×15, first 2 shown]
	ds_read_b128 v[16:19], v47 offset:496
	ds_read_b128 v[20:23], v2 offset:8944
	s_waitcnt lgkmcnt(1)
	;;#ASMSTART
	v_dot2_f32_f16 v0, v4, v16, v0
	;;#ASMEND
	s_nop 0
	;;#ASMSTART
	v_dot2_f32_f16 v0, v5, v17, v0
	;;#ASMEND
	s_nop 0
	;; [unrolled: 4-line block ×3, first 2 shown]
	;;#ASMSTART
	v_dot2_f32_f16 v0, v7, v19, v0
	;;#ASMEND
	s_waitcnt lgkmcnt(0)
	;;#ASMSTART
	v_dot2_f32_f16 v1, v20, v16, v1
	;;#ASMEND
	s_nop 0
	;;#ASMSTART
	v_dot2_f32_f16 v1, v21, v17, v1
	;;#ASMEND
	v_cmp_nlt_f32_e64 s[4:5], |v0|, s4
	;;#ASMSTART
	v_dot2_f32_f16 v1, v22, v18, v1
	;;#ASMEND
	s_nop 0
	;;#ASMSTART
	v_dot2_f32_f16 v1, v23, v19, v1
	;;#ASMEND
	s_and_saveexec_b64 s[6:7], s[4:5]
	s_xor_b64 s[4:5], exec, s[6:7]
	s_cbranch_execz .LBB72_29
; %bb.28:
	v_add_f32_e64 v2, |v0|, |v0|
	v_mul_f32_e32 v3, 0x3fb8aa3b, v2
	s_mov_b32 s6, 0x3fb8aa3b
	v_rndne_f32_e32 v4, v3
	v_sub_f32_e32 v5, v3, v4
	v_fma_f32 v3, v2, s6, -v3
	v_fmamk_f32 v3, v2, 0x32a5705f, v3
	v_add_f32_e32 v3, v5, v3
	v_exp_f32_e32 v3, v3
	v_cvt_i32_f32_e32 v4, v4
	s_mov_b32 s6, 0xc2ce8ed0
	v_cmp_ngt_f32_e32 vcc, s6, v2
	s_mov_b32 s6, 0x42b17218
	v_ldexp_f32 v3, v3, v4
	v_cndmask_b32_e32 v3, 0, v3, vcc
	v_mov_b32_e32 v4, 0x7f800000
	v_cmp_nlt_f32_e32 vcc, s6, v2
	s_nop 1
	v_cndmask_b32_e32 v2, v4, v3, vcc
	v_add_f32_e32 v2, 1.0, v2
	v_rcp_f32_e32 v2, v2
	s_nop 0
	v_fma_f32 v3, v2, -2.0, 1.0
.LBB72_29:
	s_andn2_saveexec_b64 s[4:5], s[4:5]
; %bb.30:
	v_mul_f32_e32 v2, v0, v0
	v_mov_b32_e32 v3, 0x3ca908c9
	v_fmac_f32_e32 v3, 0xbbbac73d, v2
	v_fmaak_f32 v3, v2, v3, 0xbd5c1c4e
	v_fmaak_f32 v3, v2, v3, 0x3e088382
	;; [unrolled: 1-line block ×3, first 2 shown]
	v_mul_f32_e64 v3, |v0|, v3
	v_fma_f32 v3, v2, v3, |v0|
; %bb.31:
	s_or_b64 exec, exec, s[4:5]
	s_cmp_lg_u64 s[36:37], 0
	s_brev_b32 s4, -2
	v_bfi_b32 v0, s4, v3, v0
	s_cselect_b64 s[4:5], -1, 0
	v_mul_lo_u32 v2, v13, s18
	v_cndmask_b32_e64 v3, 0, 1, s[4:5]
	v_add_u32_e32 v2, s14, v2
	v_mul_f32_e32 v0, s15, v0
	v_cmp_gt_i32_e32 vcc, s11, v12
	v_cmp_ne_u32_e64 s[4:5], 1, v3
	v_mov_b32_e32 v4, v10
	s_and_saveexec_b64 s[6:7], vcc
	s_cbranch_execz .LBB72_36
; %bb.32:
	s_and_b64 vcc, exec, s[4:5]
	s_cbranch_vccnz .LBB72_34
; %bb.33:
	v_add_u32_e32 v4, v2, v12
	v_ashrrev_i32_e32 v5, 31, v4
	v_lshl_add_u64 v[4:5], v[4:5], 1, s[36:37]
	global_load_ushort v3, v[4:5], off
	s_waitcnt vmcnt(0)
	v_cvt_f32_f16_e32 v3, v3
	v_mul_f32_e32 v3, v45, v3
	s_branch .LBB72_35
.LBB72_34:
	v_mov_b32_e32 v3, 0
.LBB72_35:
	v_add_f32_e32 v0, v0, v3
	v_add_f32_e32 v3, 0x40051340, v0
	v_max_f32_e32 v4, v10, v10
	v_max_f32_e32 v4, v4, v3
.LBB72_36:
	s_or_b64 exec, exec, s[6:7]
	s_mov_b32 s6, 0x3f200000
	v_cmp_nlt_f32_e64 s[6:7], |v1|, s6
                                        ; implicit-def: $vgpr3
	s_and_saveexec_b64 s[8:9], s[6:7]
	s_xor_b64 s[6:7], exec, s[8:9]
	s_cbranch_execz .LBB72_38
; %bb.37:
	v_add_f32_e64 v3, |v1|, |v1|
	v_mul_f32_e32 v5, 0x3fb8aa3b, v3
	s_mov_b32 s8, 0x3fb8aa3b
	v_rndne_f32_e32 v6, v5
	v_sub_f32_e32 v7, v5, v6
	v_fma_f32 v5, v3, s8, -v5
	v_fmamk_f32 v5, v3, 0x32a5705f, v5
	v_add_f32_e32 v5, v7, v5
	v_exp_f32_e32 v5, v5
	v_cvt_i32_f32_e32 v6, v6
	s_mov_b32 s8, 0xc2ce8ed0
	v_cmp_ngt_f32_e32 vcc, s8, v3
	s_mov_b32 s8, 0x42b17218
	v_ldexp_f32 v5, v5, v6
	v_cndmask_b32_e32 v5, 0, v5, vcc
	v_mov_b32_e32 v6, 0x7f800000
	v_cmp_nlt_f32_e32 vcc, s8, v3
	s_nop 1
	v_cndmask_b32_e32 v3, v6, v5, vcc
	v_add_f32_e32 v3, 1.0, v3
	v_rcp_f32_e32 v3, v3
	s_nop 0
	v_fma_f32 v3, v3, -2.0, 1.0
.LBB72_38:
	s_andn2_saveexec_b64 s[6:7], s[6:7]
; %bb.39:
	v_mul_f32_e32 v3, v1, v1
	v_mov_b32_e32 v5, 0x3ca908c9
	v_fmac_f32_e32 v5, 0xbbbac73d, v3
	v_fmaak_f32 v5, v3, v5, 0xbd5c1c4e
	v_fmaak_f32 v5, v3, v5, 0x3e088382
	v_fmaak_f32 v5, v3, v5, 0xbeaaaa99
	v_mul_f32_e64 v5, |v1|, v5
	v_fma_f32 v3, v3, v5, |v1|
; %bb.40:
	s_or_b64 exec, exec, s[6:7]
	s_brev_b32 s6, -2
	v_add_u32_e32 v5, 32, v12
	v_bfi_b32 v1, s6, v3, v1
	v_mul_f32_e32 v1, s15, v1
	v_cmp_gt_i32_e32 vcc, s11, v5
	s_and_saveexec_b64 s[6:7], vcc
	s_cbranch_execz .LBB72_45
; %bb.41:
	s_and_b64 vcc, exec, s[4:5]
	s_cbranch_vccnz .LBB72_43
; %bb.42:
	v_ashrrev_i32_e32 v3, 31, v2
	v_mov_b32_e32 v13, 0
	v_lshl_add_u64 v[2:3], v[2:3], 0, v[12:13]
	v_lshl_add_u64 v[2:3], v[2:3], 1, s[36:37]
	global_load_ushort v2, v[2:3], off offset:64
	s_waitcnt vmcnt(0)
	v_cvt_f32_f16_e32 v2, v2
	v_mul_f32_e32 v2, v45, v2
	s_branch .LBB72_44
.LBB72_43:
	v_mov_b32_e32 v2, 0
.LBB72_44:
	v_add_f32_e32 v1, v1, v2
	v_add_f32_e32 v2, 0x40051340, v1
	v_max_f32_e32 v3, v4, v4
	v_max_f32_e32 v4, v3, v2
.LBB72_45:
	s_or_b64 exec, exec, s[6:7]
	v_mbcnt_hi_u32_b32 v24, -1, v46
	v_and_b32_e32 v2, 0x60, v24
	v_xor_b32_e32 v26, 1, v24
	v_add_u32_e32 v25, 32, v2
	v_cmp_lt_i32_e32 vcc, v26, v25
	v_xor_b32_e32 v28, 2, v24
	v_xor_b32_e32 v29, 4, v24
	v_cndmask_b32_e32 v2, v24, v26, vcc
	v_cmp_lt_i32_e32 vcc, v28, v25
	v_xor_b32_e32 v30, 8, v24
	v_xor_b32_e32 v31, 16, v24
	v_cndmask_b32_e32 v3, v24, v28, vcc
	v_cmp_lt_i32_e32 vcc, v29, v25
	v_lshlrev_b32_e32 v3, 2, v3
	v_lshlrev_b32_e32 v2, 2, v2
	v_cndmask_b32_e32 v6, v24, v29, vcc
	v_cmp_lt_i32_e32 vcc, v30, v25
	v_lshlrev_b32_e32 v6, 2, v6
	s_mov_b32 s6, 0x3fb8aa3b
	v_cndmask_b32_e32 v7, v24, v30, vcc
	v_cmp_lt_i32_e32 vcc, v31, v25
	v_lshlrev_b32_e32 v7, 2, v7
	s_mov_b32 s7, 0xc2ce8ed0
	v_cndmask_b32_e32 v13, v24, v31, vcc
	v_lshlrev_b32_e32 v13, 2, v13
	ds_bpermute_b32 v13, v13, v4
	v_max_f32_e32 v4, v4, v4
	s_mov_b32 s9, 0x42b17218
	v_cmp_gt_u32_e32 vcc, s11, v12
	v_lshlrev_b32_e32 v33, 7, v41
	s_waitcnt lgkmcnt(0)
	v_max_f32_e32 v13, v13, v13
	v_max_f32_e32 v4, v4, v13
	ds_bpermute_b32 v7, v7, v4
	s_mov_b32 s8, 0
	s_mov_b32 s10, s8
	s_waitcnt lgkmcnt(0)
	s_barrier
	v_max_f32_e32 v7, v7, v7
	v_max_f32_e32 v4, v4, v7
	ds_bpermute_b32 v6, v6, v4
	s_waitcnt lgkmcnt(0)
	v_mov_b32_e32 v15, 0
	v_mov_b32_e32 v47, 0
	v_add_u32_e32 v34, v11, v14
	v_max_f32_e32 v6, v6, v6
	v_max_f32_e32 v4, v4, v6
	ds_bpermute_b32 v3, v3, v4
	v_add_u32_e32 v45, 8, v41
	v_add_u32_e32 v37, 24, v41
	v_lshl_add_u32 v35, v37, 9, v14
	s_mov_b32 s15, 0x10001
	s_waitcnt lgkmcnt(0)
	v_max_f32_e32 v3, v3, v3
	v_max_f32_e32 v3, v4, v3
	ds_bpermute_b32 v2, v2, v3
	s_waitcnt lgkmcnt(0)
	v_max_f32_e32 v2, v2, v2
	v_max_f32_e32 v32, v3, v2
	v_sub_f32_e32 v0, v0, v32
	v_mul_f32_e32 v3, 0x3fb8aa3b, v0
	v_fma_f32 v4, v0, s6, -v3
	v_rndne_f32_e32 v6, v3
	v_fmac_f32_e32 v4, 0x32a5705f, v0
	v_sub_f32_e32 v3, v3, v6
	v_add_f32_e32 v3, v3, v4
	v_exp_f32_e32 v3, v3
	v_cvt_i32_f32_e32 v4, v6
	v_cmp_ngt_f32_e64 s[4:5], s7, v0
	v_sub_f32_e32 v1, v1, v32
	v_sub_f32_e32 v2, v10, v32
	v_ldexp_f32 v3, v3, v4
	v_cndmask_b32_e64 v3, 0, v3, s[4:5]
	v_cmp_nlt_f32_e64 s[4:5], s9, v0
	v_mov_b32_e32 v0, 0x7f800000
	s_nop 0
	v_cndmask_b32_e64 v3, v0, v3, s[4:5]
	v_cndmask_b32_e32 v3, 0, v3, vcc
	v_cmp_gt_u32_e32 vcc, s11, v5
	v_mul_f32_e32 v5, 0x3fb8aa3b, v1
	v_fma_f32 v6, v1, s6, -v5
	v_rndne_f32_e32 v7, v5
	v_fmac_f32_e32 v6, 0x32a5705f, v1
	v_sub_f32_e32 v5, v5, v7
	v_add_f32_e32 v5, v5, v6
	v_exp_f32_e32 v5, v5
	v_cvt_i32_f32_e32 v6, v7
	v_cmp_ngt_f32_e64 s[4:5], s7, v1
	v_cvt_f16_f32_e32 v4, v3
	v_ldexp_f32 v5, v5, v6
	v_cndmask_b32_e64 v5, 0, v5, s[4:5]
	v_cmp_nlt_f32_e64 s[4:5], s9, v1
	s_nop 1
	v_cndmask_b32_e64 v1, v0, v5, s[4:5]
	v_cndmask_b32_e32 v1, 0, v1, vcc
	v_add_f32_e32 v13, v3, v1
	v_mul_f32_e32 v3, 0x3fb8aa3b, v2
	v_fma_f32 v5, v2, s6, -v3
	v_rndne_f32_e32 v6, v3
	v_fmac_f32_e32 v5, 0x32a5705f, v2
	v_sub_f32_e32 v3, v3, v6
	v_add_f32_e32 v3, v3, v5
	v_exp_f32_e32 v3, v3
	v_cvt_i32_f32_e32 v5, v6
	v_cmp_ngt_f32_e32 vcc, s7, v2
	s_movk_i32 s4, 0x5400
	s_mul_hi_i32 s7, s14, s2
	v_ldexp_f32 v3, v3, v5
	v_cndmask_b32_e32 v3, 0, v3, vcc
	v_cmp_nlt_f32_e32 vcc, s9, v2
	s_mul_i32 s6, s14, s2
	v_cvt_f16_f32_e32 v1, v1
	v_cndmask_b32_e32 v0, v0, v3, vcc
	v_fmac_f32_e32 v13, v9, v0
	v_cvt_f16_f32_e32 v0, v0
	s_lshl_b64 s[6:7], s[6:7], 2
	v_ashrrev_i32_e32 v9, 31, v8
	v_lshlrev_b64 v[22:23], 2, v[8:9]
	v_mul_u32_u24_e32 v51, 0x10001, v0
	v_lshlrev_b32_e32 v0, 1, v12
	v_add3_u32 v0, v33, s4, v0
	s_mov_b64 s[4:5], src_private_base
	s_lshl_b32 s4, s2, 3
	s_add_u32 s6, s12, s6
	s_addc_u32 s7, s13, s7
	ds_write_b16 v0, v4
	ds_write_b16 v0, v1 offset:64
	s_mov_b32 s9, s8
	v_mov_b32_e32 v50, s10
	v_lshl_add_u64 v[0:1], s[6:7], 0, v[22:23]
	v_mov_b32_e32 v49, s9
	v_mov_b32_e32 v48, s8
	v_cmp_gt_i32_e32 vcc, s11, v41
	v_lshl_add_u64 v[0:1], v[0:1], 0, v[14:15]
	v_mov_b32_e32 v46, s5
	scratch_store_dword off, v15, off
	scratch_store_dwordx3 off, v[48:50], off offset:4
	v_cndmask_b32_e32 v1, v46, v1, vcc
	v_cndmask_b32_e32 v0, v47, v0, vcc
	flat_load_dwordx4 v[0:3], v[0:1]
	v_add_u32_e32 v4, s4, v8
	v_ashrrev_i32_e32 v5, 31, v4
	v_lshlrev_b64 v[16:17], 2, v[4:5]
	v_cmp_gt_i32_e32 vcc, s11, v45
	v_add_u32_e32 v6, s4, v4
	v_ashrrev_i32_e32 v7, 31, v6
	v_pk_mul_f16 v61, v43, v51
	v_lshl_add_u32 v43, v45, 9, v14
	v_lshlrev_b64 v[18:19], 2, v[6:7]
	v_pk_mul_f16 v60, v44, v51
	v_add_u32_e32 v44, 16, v41
	v_add_u32_e32 v10, s4, v6
	v_ashrrev_i32_e32 v11, 31, v10
	v_lshl_add_u32 v36, v44, 9, v14
	v_lshlrev_b64 v[20:21], 2, v[10:11]
	s_or_b32 s4, s14, 32
	s_mul_hi_i32 s5, s4, s2
	s_mul_i32 s4, s4, s2
	s_lshl_b64 s[4:5], s[4:5], 2
	s_add_u32 s4, s12, s4
	s_addc_u32 s5, s13, s5
	s_sub_i32 s2, s11, 32
	s_waitcnt vmcnt(0) lgkmcnt(0)
	ds_write_b128 v34, v[0:3]
	v_lshl_add_u64 v[0:1], s[6:7], 0, v[16:17]
	v_lshl_add_u64 v[0:1], v[0:1], 0, v[14:15]
	scratch_store_dword off, v15, off
	scratch_store_dwordx3 off, v[48:50], off offset:4
	v_cndmask_b32_e32 v1, v46, v1, vcc
	v_cndmask_b32_e32 v0, v47, v0, vcc
	flat_load_dwordx4 v[0:3], v[0:1]
	v_cmp_gt_i32_e32 vcc, s11, v44
	s_waitcnt vmcnt(0) lgkmcnt(0)
	ds_write_b128 v43, v[0:3]
	v_lshl_add_u64 v[0:1], s[6:7], 0, v[18:19]
	v_lshl_add_u64 v[0:1], v[0:1], 0, v[14:15]
	scratch_store_dword off, v15, off
	scratch_store_dwordx3 off, v[48:50], off offset:4
	v_cndmask_b32_e32 v1, v46, v1, vcc
	v_cndmask_b32_e32 v0, v47, v0, vcc
	flat_load_dwordx4 v[0:3], v[0:1]
	v_cmp_gt_i32_e32 vcc, s11, v37
	;; [unrolled: 10-line block ×3, first 2 shown]
	s_waitcnt vmcnt(0) lgkmcnt(0)
	ds_write_b128 v35, v[0:3]
	s_waitcnt lgkmcnt(0)
	s_barrier
	ds_read2_b64 v[52:55], v40 offset1:32
	ds_read_b128 v[56:59], v33 offset:21504
	ds_read_b128 v[8:11], v33 offset:21520
	;; [unrolled: 1-line block ×4, first 2 shown]
	s_waitcnt lgkmcnt(3)
	v_mul_u32_u24_sdwa v62, v56, s15 dst_sel:DWORD dst_unused:UNUSED_PAD src0_sel:WORD_0 src1_sel:DWORD
	v_pk_mul_f16 v52, v52, v62
	v_mul_u32_u24_sdwa v56, v56, s15 dst_sel:DWORD dst_unused:UNUSED_PAD src0_sel:WORD_1 src1_sel:DWORD
	v_pk_fma_f16 v42, v42, v51, v52
	v_pk_mul_f16 v52, v53, v62
	s_nop 0
	v_pk_fma_f16 v27, v27, v51, v52
	v_pk_fma_f16 v51, v54, v62, v60
	;; [unrolled: 1-line block ×3, first 2 shown]
	ds_read2_b64 v[52:55], v40 offset0:64 offset1:96
	s_waitcnt lgkmcnt(0)
	v_pk_fma_f16 v42, v52, v56, v42
	v_pk_fma_f16 v27, v53, v56, v27
	;; [unrolled: 1-line block ×4, first 2 shown]
	ds_read2_b64 v[52:55], v40 offset0:128 offset1:160
	v_mul_u32_u24_sdwa v60, v57, s15 dst_sel:DWORD dst_unused:UNUSED_PAD src0_sel:WORD_0 src1_sel:DWORD
	v_mul_u32_u24_sdwa v57, v57, s15 dst_sel:DWORD dst_unused:UNUSED_PAD src0_sel:WORD_1 src1_sel:DWORD
	s_waitcnt lgkmcnt(0)
	v_pk_fma_f16 v42, v52, v60, v42
	v_pk_fma_f16 v27, v53, v60, v27
	;; [unrolled: 1-line block ×4, first 2 shown]
	ds_read2_b64 v[52:55], v40 offset0:192 offset1:224
	s_waitcnt lgkmcnt(0)
	v_pk_fma_f16 v60, v53, v57, v27
	v_add_u32_e32 v27, 0x800, v40
	v_pk_fma_f16 v42, v52, v57, v42
	v_pk_fma_f16 v51, v54, v57, v51
	v_pk_fma_f16 v56, v55, v57, v56
	ds_read2_b64 v[52:55], v27 offset1:32
	v_mul_u32_u24_sdwa v57, v58, s15 dst_sel:DWORD dst_unused:UNUSED_PAD src0_sel:WORD_0 src1_sel:DWORD
	s_waitcnt lgkmcnt(0)
	v_pk_fma_f16 v42, v52, v57, v42
	v_pk_fma_f16 v60, v53, v57, v60
	;; [unrolled: 1-line block ×4, first 2 shown]
	ds_read2_b64 v[52:55], v27 offset0:64 offset1:96
	v_mul_u32_u24_sdwa v57, v58, s15 dst_sel:DWORD dst_unused:UNUSED_PAD src0_sel:WORD_1 src1_sel:DWORD
	s_waitcnt lgkmcnt(0)
	v_pk_fma_f16 v42, v52, v57, v42
	v_pk_fma_f16 v58, v53, v57, v60
	;; [unrolled: 1-line block ×4, first 2 shown]
	ds_read2_b64 v[52:55], v27 offset0:128 offset1:160
	v_mul_u32_u24_sdwa v57, v59, s15 dst_sel:DWORD dst_unused:UNUSED_PAD src0_sel:WORD_0 src1_sel:DWORD
	s_waitcnt lgkmcnt(0)
	v_pk_fma_f16 v42, v52, v57, v42
	v_pk_fma_f16 v58, v53, v57, v58
	;; [unrolled: 1-line block ×4, first 2 shown]
	ds_read2_b64 v[52:55], v27 offset0:192 offset1:224
	v_mul_u32_u24_sdwa v57, v59, s15 dst_sel:DWORD dst_unused:UNUSED_PAD src0_sel:WORD_1 src1_sel:DWORD
	s_waitcnt lgkmcnt(0)
	v_pk_fma_f16 v59, v52, v57, v42
	v_add_u32_e32 v42, 0x1000, v40
	v_pk_fma_f16 v58, v53, v57, v58
	v_pk_fma_f16 v51, v54, v57, v51
	;; [unrolled: 1-line block ×3, first 2 shown]
	ds_read2_b64 v[52:55], v42 offset1:32
	v_mul_u32_u24_sdwa v57, v8, s15 dst_sel:DWORD dst_unused:UNUSED_PAD src0_sel:WORD_0 src1_sel:DWORD
	v_mul_u32_u24_sdwa v8, v8, s15 dst_sel:DWORD dst_unused:UNUSED_PAD src0_sel:WORD_1 src1_sel:DWORD
	s_waitcnt lgkmcnt(0)
	v_pk_fma_f16 v59, v52, v57, v59
	v_pk_fma_f16 v58, v53, v57, v58
	;; [unrolled: 1-line block ×4, first 2 shown]
	ds_read2_b64 v[52:55], v42 offset0:64 offset1:96
	s_waitcnt lgkmcnt(0)
	v_pk_fma_f16 v57, v52, v8, v59
	v_pk_fma_f16 v58, v53, v8, v58
	;; [unrolled: 1-line block ×4, first 2 shown]
	ds_read2_b64 v[52:55], v42 offset0:128 offset1:160
	v_mul_u32_u24_sdwa v56, v9, s15 dst_sel:DWORD dst_unused:UNUSED_PAD src0_sel:WORD_0 src1_sel:DWORD
	v_mul_u32_u24_sdwa v9, v9, s15 dst_sel:DWORD dst_unused:UNUSED_PAD src0_sel:WORD_1 src1_sel:DWORD
	s_waitcnt lgkmcnt(0)
	v_pk_fma_f16 v57, v52, v56, v57
	v_pk_fma_f16 v58, v53, v56, v58
	;; [unrolled: 1-line block ×4, first 2 shown]
	ds_read2_b64 v[52:55], v42 offset0:192 offset1:224
	s_waitcnt lgkmcnt(0)
	v_pk_fma_f16 v56, v52, v9, v57
	v_pk_fma_f16 v57, v53, v9, v58
	;; [unrolled: 1-line block ×4, first 2 shown]
	v_add_u32_e32 v8, 0x1800, v40
	ds_read2_b64 v[52:55], v8 offset1:32
	v_mul_u32_u24_sdwa v58, v10, s15 dst_sel:DWORD dst_unused:UNUSED_PAD src0_sel:WORD_0 src1_sel:DWORD
	v_mul_u32_u24_sdwa v10, v10, s15 dst_sel:DWORD dst_unused:UNUSED_PAD src0_sel:WORD_1 src1_sel:DWORD
	s_waitcnt lgkmcnt(0)
	v_pk_fma_f16 v56, v52, v58, v56
	v_pk_fma_f16 v57, v53, v58, v57
	;; [unrolled: 1-line block ×4, first 2 shown]
	ds_read2_b64 v[52:55], v8 offset0:64 offset1:96
	s_waitcnt lgkmcnt(0)
	v_pk_fma_f16 v56, v52, v10, v56
	v_pk_fma_f16 v57, v53, v10, v57
	;; [unrolled: 1-line block ×4, first 2 shown]
	ds_read2_b64 v[52:55], v8 offset0:128 offset1:160
	v_mul_u32_u24_sdwa v10, v11, s15 dst_sel:DWORD dst_unused:UNUSED_PAD src0_sel:WORD_0 src1_sel:DWORD
	s_waitcnt lgkmcnt(0)
	v_pk_fma_f16 v56, v52, v10, v56
	v_pk_fma_f16 v57, v53, v10, v57
	;; [unrolled: 1-line block ×4, first 2 shown]
	ds_read2_b64 v[52:55], v8 offset0:192 offset1:224
	v_mul_u32_u24_sdwa v10, v11, s15 dst_sel:DWORD dst_unused:UNUSED_PAD src0_sel:WORD_1 src1_sel:DWORD
	s_waitcnt lgkmcnt(0)
	v_pk_fma_f16 v11, v52, v10, v56
	v_pk_fma_f16 v56, v53, v10, v57
	v_pk_fma_f16 v51, v54, v10, v51
	v_pk_fma_f16 v10, v55, v10, v9
	v_add_u32_e32 v9, 0x2000, v40
	ds_read2_b64 v[52:55], v9 offset1:32
	v_mul_u32_u24_sdwa v57, v4, s15 dst_sel:DWORD dst_unused:UNUSED_PAD src0_sel:WORD_0 src1_sel:DWORD
	v_mul_u32_u24_sdwa v4, v4, s15 dst_sel:DWORD dst_unused:UNUSED_PAD src0_sel:WORD_1 src1_sel:DWORD
	s_waitcnt lgkmcnt(0)
	v_pk_fma_f16 v11, v52, v57, v11
	v_pk_fma_f16 v56, v53, v57, v56
	;; [unrolled: 1-line block ×4, first 2 shown]
	ds_read2_b64 v[52:55], v9 offset0:64 offset1:96
	s_waitcnt lgkmcnt(0)
	v_pk_fma_f16 v11, v52, v4, v11
	v_pk_fma_f16 v56, v53, v4, v56
	;; [unrolled: 1-line block ×4, first 2 shown]
	ds_read2_b64 v[52:55], v9 offset0:128 offset1:160
	v_mul_u32_u24_sdwa v10, v5, s15 dst_sel:DWORD dst_unused:UNUSED_PAD src0_sel:WORD_0 src1_sel:DWORD
	v_mul_u32_u24_sdwa v5, v5, s15 dst_sel:DWORD dst_unused:UNUSED_PAD src0_sel:WORD_1 src1_sel:DWORD
	s_waitcnt lgkmcnt(0)
	v_pk_fma_f16 v11, v52, v10, v11
	v_pk_fma_f16 v56, v53, v10, v56
	;; [unrolled: 1-line block ×4, first 2 shown]
	ds_read2_b64 v[52:55], v9 offset0:192 offset1:224
	s_waitcnt lgkmcnt(0)
	v_pk_fma_f16 v10, v52, v5, v11
	v_pk_fma_f16 v11, v53, v5, v56
	;; [unrolled: 1-line block ×4, first 2 shown]
	v_add_u32_e32 v4, 0x2800, v40
	ds_read2_b64 v[52:55], v4 offset1:32
	v_mul_u32_u24_sdwa v56, v6, s15 dst_sel:DWORD dst_unused:UNUSED_PAD src0_sel:WORD_0 src1_sel:DWORD
	v_mul_u32_u24_sdwa v6, v6, s15 dst_sel:DWORD dst_unused:UNUSED_PAD src0_sel:WORD_1 src1_sel:DWORD
	s_waitcnt lgkmcnt(0)
	v_pk_fma_f16 v10, v52, v56, v10
	v_pk_fma_f16 v11, v53, v56, v11
	;; [unrolled: 1-line block ×4, first 2 shown]
	ds_read2_b64 v[52:55], v4 offset0:64 offset1:96
	s_waitcnt lgkmcnt(0)
	v_pk_fma_f16 v10, v52, v6, v10
	v_pk_fma_f16 v11, v53, v6, v11
	;; [unrolled: 1-line block ×4, first 2 shown]
	ds_read2_b64 v[52:55], v4 offset0:128 offset1:160
	v_mul_u32_u24_sdwa v6, v7, s15 dst_sel:DWORD dst_unused:UNUSED_PAD src0_sel:WORD_0 src1_sel:DWORD
	s_waitcnt lgkmcnt(0)
	v_pk_fma_f16 v10, v52, v6, v10
	v_pk_fma_f16 v11, v53, v6, v11
	;; [unrolled: 1-line block ×4, first 2 shown]
	ds_read2_b64 v[52:55], v4 offset0:192 offset1:224
	v_mul_u32_u24_sdwa v6, v7, s15 dst_sel:DWORD dst_unused:UNUSED_PAD src0_sel:WORD_1 src1_sel:DWORD
	s_waitcnt lgkmcnt(0)
	v_pk_fma_f16 v7, v52, v6, v10
	v_pk_fma_f16 v10, v53, v6, v11
	;; [unrolled: 1-line block ×4, first 2 shown]
	v_add_u32_e32 v5, 0x3000, v40
	ds_read2_b64 v[52:55], v5 offset1:32
	v_mul_u32_u24_sdwa v51, v0, s15 dst_sel:DWORD dst_unused:UNUSED_PAD src0_sel:WORD_0 src1_sel:DWORD
	v_mul_u32_u24_sdwa v0, v0, s15 dst_sel:DWORD dst_unused:UNUSED_PAD src0_sel:WORD_1 src1_sel:DWORD
	s_waitcnt lgkmcnt(0)
	v_pk_fma_f16 v7, v52, v51, v7
	v_pk_fma_f16 v10, v53, v51, v10
	;; [unrolled: 1-line block ×4, first 2 shown]
	ds_read2_b64 v[52:55], v5 offset0:64 offset1:96
	s_waitcnt lgkmcnt(0)
	v_pk_fma_f16 v7, v52, v0, v7
	v_pk_fma_f16 v10, v53, v0, v10
	;; [unrolled: 1-line block ×4, first 2 shown]
	ds_read2_b64 v[52:55], v5 offset0:128 offset1:160
	v_mul_u32_u24_sdwa v6, v1, s15 dst_sel:DWORD dst_unused:UNUSED_PAD src0_sel:WORD_0 src1_sel:DWORD
	v_mul_u32_u24_sdwa v1, v1, s15 dst_sel:DWORD dst_unused:UNUSED_PAD src0_sel:WORD_1 src1_sel:DWORD
	s_waitcnt lgkmcnt(0)
	v_pk_fma_f16 v7, v52, v6, v7
	v_pk_fma_f16 v10, v53, v6, v10
	;; [unrolled: 1-line block ×4, first 2 shown]
	ds_read2_b64 v[52:55], v5 offset0:192 offset1:224
	s_waitcnt lgkmcnt(0)
	v_pk_fma_f16 v6, v52, v1, v7
	v_pk_fma_f16 v7, v53, v1, v10
	;; [unrolled: 1-line block ×4, first 2 shown]
	v_add_u32_e32 v0, 0x3800, v40
	ds_read2_b64 v[52:55], v0 offset1:32
	v_mul_u32_u24_sdwa v11, v2, s15 dst_sel:DWORD dst_unused:UNUSED_PAD src0_sel:WORD_0 src1_sel:DWORD
	v_mul_u32_u24_sdwa v2, v2, s15 dst_sel:DWORD dst_unused:UNUSED_PAD src0_sel:WORD_1 src1_sel:DWORD
	s_waitcnt lgkmcnt(0)
	v_pk_fma_f16 v6, v52, v11, v6
	v_pk_fma_f16 v7, v53, v11, v7
	;; [unrolled: 1-line block ×4, first 2 shown]
	ds_read2_b64 v[52:55], v0 offset0:64 offset1:96
	s_waitcnt lgkmcnt(0)
	v_pk_fma_f16 v6, v52, v2, v6
	v_pk_fma_f16 v7, v53, v2, v7
	;; [unrolled: 1-line block ×4, first 2 shown]
	ds_read2_b64 v[52:55], v0 offset0:128 offset1:160
	v_mul_u32_u24_sdwa v2, v3, s15 dst_sel:DWORD dst_unused:UNUSED_PAD src0_sel:WORD_0 src1_sel:DWORD
	s_waitcnt lgkmcnt(0)
	v_pk_fma_f16 v6, v52, v2, v6
	v_pk_fma_f16 v7, v53, v2, v7
	;; [unrolled: 1-line block ×4, first 2 shown]
	ds_read2_b64 v[52:55], v0 offset0:192 offset1:224
	v_mul_u32_u24_sdwa v2, v3, s15 dst_sel:DWORD dst_unused:UNUSED_PAD src0_sel:WORD_1 src1_sel:DWORD
	s_waitcnt lgkmcnt(0)
	s_barrier
	v_pk_fma_f16 v6, v52, v2, v6
	v_pk_fma_f16 v7, v53, v2, v7
	v_pk_fma_f16 v10, v54, v2, v10
	v_pk_fma_f16 v1, v55, v2, v1
	v_lshl_add_u64 v[2:3], s[4:5], 0, v[22:23]
	v_lshl_add_u64 v[2:3], v[2:3], 0, v[14:15]
	scratch_store_dword off, v15, off
	scratch_store_dwordx3 off, v[48:50], off offset:4
	v_cndmask_b32_e32 v3, v46, v3, vcc
	v_cndmask_b32_e32 v2, v47, v2, vcc
	flat_load_dwordx4 v[52:55], v[2:3]
	v_lshl_add_u64 v[2:3], s[4:5], 0, v[16:17]
	v_cmp_gt_i32_e32 vcc, s2, v45
	v_lshl_add_u64 v[2:3], v[2:3], 0, v[14:15]
	s_waitcnt vmcnt(0) lgkmcnt(0)
	ds_write_b128 v34, v[52:55]
	scratch_store_dword off, v15, off
	scratch_store_dwordx3 off, v[48:50], off offset:4
	v_cndmask_b32_e32 v3, v46, v3, vcc
	v_cndmask_b32_e32 v2, v47, v2, vcc
	flat_load_dwordx4 v[52:55], v[2:3]
	v_lshl_add_u64 v[2:3], s[4:5], 0, v[18:19]
	v_cmp_gt_i32_e32 vcc, s2, v44
	v_lshl_add_u64 v[2:3], v[2:3], 0, v[14:15]
	s_waitcnt vmcnt(0) lgkmcnt(0)
	ds_write_b128 v43, v[52:55]
	;; [unrolled: 10-line block ×3, first 2 shown]
	scratch_store_dword off, v15, off
	scratch_store_dwordx3 off, v[48:50], off offset:4
	v_cndmask_b32_e32 v3, v46, v3, vcc
	v_cndmask_b32_e32 v2, v47, v2, vcc
	flat_load_dwordx4 v[14:17], v[2:3]
	s_waitcnt vmcnt(0) lgkmcnt(0)
	ds_write_b128 v35, v[14:17]
	s_waitcnt lgkmcnt(0)
	s_barrier
	ds_read2_b64 v[14:17], v40 offset1:32
	ds_read_b128 v[18:21], v33 offset:21568
	ds_read_b128 v[34:37], v33 offset:21584
	;; [unrolled: 1-line block ×4, first 2 shown]
	s_waitcnt lgkmcnt(3)
	v_mul_u32_u24_sdwa v2, v18, s15 dst_sel:DWORD dst_unused:UNUSED_PAD src0_sel:WORD_0 src1_sel:DWORD
	v_pk_fma_f16 v3, v14, v2, v6
	v_pk_fma_f16 v6, v15, v2, v7
	v_pk_fma_f16 v7, v16, v2, v10
	v_pk_fma_f16 v1, v17, v2, v1
	ds_read2_b64 v[14:17], v40 offset0:64 offset1:96
	v_mul_u32_u24_sdwa v2, v18, s15 dst_sel:DWORD dst_unused:UNUSED_PAD src0_sel:WORD_1 src1_sel:DWORD
	s_waitcnt lgkmcnt(0)
	v_pk_fma_f16 v3, v14, v2, v3
	v_pk_fma_f16 v6, v15, v2, v6
	v_pk_fma_f16 v7, v16, v2, v7
	v_pk_fma_f16 v1, v17, v2, v1
	ds_read2_b64 v[14:17], v40 offset0:128 offset1:160
	v_mul_u32_u24_sdwa v2, v19, s15 dst_sel:DWORD dst_unused:UNUSED_PAD src0_sel:WORD_0 src1_sel:DWORD
	s_waitcnt lgkmcnt(0)
	v_pk_fma_f16 v3, v14, v2, v3
	v_pk_fma_f16 v6, v15, v2, v6
	v_pk_fma_f16 v7, v16, v2, v7
	v_pk_fma_f16 v1, v17, v2, v1
	ds_read2_b64 v[14:17], v40 offset0:192 offset1:224
	v_mul_u32_u24_sdwa v2, v19, s15 dst_sel:DWORD dst_unused:UNUSED_PAD src0_sel:WORD_1 src1_sel:DWORD
	s_waitcnt lgkmcnt(0)
	v_pk_fma_f16 v3, v14, v2, v3
	v_pk_fma_f16 v6, v15, v2, v6
	v_pk_fma_f16 v7, v16, v2, v7
	v_pk_fma_f16 v1, v17, v2, v1
	ds_read2_b64 v[14:17], v27 offset1:32
	v_mul_u32_u24_sdwa v2, v20, s15 dst_sel:DWORD dst_unused:UNUSED_PAD src0_sel:WORD_0 src1_sel:DWORD
	s_waitcnt lgkmcnt(0)
	v_pk_fma_f16 v3, v14, v2, v3
	v_pk_fma_f16 v6, v15, v2, v6
	v_pk_fma_f16 v7, v16, v2, v7
	v_pk_fma_f16 v1, v17, v2, v1
	ds_read2_b64 v[14:17], v27 offset0:64 offset1:96
	v_mul_u32_u24_sdwa v2, v20, s15 dst_sel:DWORD dst_unused:UNUSED_PAD src0_sel:WORD_1 src1_sel:DWORD
	s_waitcnt lgkmcnt(0)
	v_pk_fma_f16 v3, v14, v2, v3
	v_pk_fma_f16 v6, v15, v2, v6
	v_pk_fma_f16 v7, v16, v2, v7
	v_pk_fma_f16 v1, v17, v2, v1
	ds_read2_b64 v[14:17], v27 offset0:128 offset1:160
	v_mul_u32_u24_sdwa v2, v21, s15 dst_sel:DWORD dst_unused:UNUSED_PAD src0_sel:WORD_0 src1_sel:DWORD
	s_waitcnt lgkmcnt(0)
	v_pk_fma_f16 v3, v14, v2, v3
	v_pk_fma_f16 v6, v15, v2, v6
	v_pk_fma_f16 v7, v16, v2, v7
	v_pk_fma_f16 v1, v17, v2, v1
	ds_read2_b64 v[14:17], v27 offset0:192 offset1:224
	v_mul_u32_u24_sdwa v2, v21, s15 dst_sel:DWORD dst_unused:UNUSED_PAD src0_sel:WORD_1 src1_sel:DWORD
	s_waitcnt lgkmcnt(0)
	v_pk_fma_f16 v3, v14, v2, v3
	v_pk_fma_f16 v6, v15, v2, v6
	v_pk_fma_f16 v7, v16, v2, v7
	v_pk_fma_f16 v1, v17, v2, v1
	ds_read2_b64 v[14:17], v42 offset1:32
	v_mul_u32_u24_sdwa v2, v34, s15 dst_sel:DWORD dst_unused:UNUSED_PAD src0_sel:WORD_0 src1_sel:DWORD
	s_waitcnt lgkmcnt(0)
	;; [unrolled: 28-line block ×4, first 2 shown]
	v_pk_fma_f16 v3, v14, v2, v3
	v_pk_fma_f16 v6, v15, v2, v6
	v_pk_fma_f16 v7, v16, v2, v7
	v_pk_fma_f16 v1, v17, v2, v1
	ds_read2_b64 v[14:17], v9 offset0:64 offset1:96
	v_mul_u32_u24_sdwa v2, v44, s15 dst_sel:DWORD dst_unused:UNUSED_PAD src0_sel:WORD_1 src1_sel:DWORD
	s_waitcnt lgkmcnt(0)
	v_pk_fma_f16 v3, v14, v2, v3
	v_pk_fma_f16 v6, v15, v2, v6
	;; [unrolled: 1-line block ×4, first 2 shown]
	ds_read2_b64 v[14:17], v9 offset0:128 offset1:160
	v_mul_u32_u24_sdwa v2, v45, s15 dst_sel:DWORD dst_unused:UNUSED_PAD src0_sel:WORD_0 src1_sel:DWORD
	s_waitcnt lgkmcnt(0)
	v_pk_fma_f16 v10, v15, v2, v6
	v_pk_fma_f16 v11, v16, v2, v7
	ds_read2_b64 v[6:9], v9 offset0:192 offset1:224
	v_pk_fma_f16 v3, v14, v2, v3
	v_pk_fma_f16 v1, v17, v2, v1
	v_mul_u32_u24_sdwa v2, v45, s15 dst_sel:DWORD dst_unused:UNUSED_PAD src0_sel:WORD_1 src1_sel:DWORD
	s_waitcnt lgkmcnt(0)
	v_pk_fma_f16 v3, v6, v2, v3
	v_pk_fma_f16 v10, v7, v2, v10
	;; [unrolled: 1-line block ×4, first 2 shown]
	ds_read2_b64 v[6:9], v4 offset1:32
	v_mul_u32_u24_sdwa v2, v46, s15 dst_sel:DWORD dst_unused:UNUSED_PAD src0_sel:WORD_0 src1_sel:DWORD
	s_waitcnt lgkmcnt(0)
	v_pk_fma_f16 v3, v6, v2, v3
	v_pk_fma_f16 v10, v7, v2, v10
	;; [unrolled: 1-line block ×4, first 2 shown]
	ds_read2_b64 v[6:9], v4 offset0:64 offset1:96
	v_mul_u32_u24_sdwa v2, v46, s15 dst_sel:DWORD dst_unused:UNUSED_PAD src0_sel:WORD_1 src1_sel:DWORD
	s_waitcnt lgkmcnt(0)
	v_pk_fma_f16 v3, v6, v2, v3
	v_pk_fma_f16 v10, v7, v2, v10
	;; [unrolled: 1-line block ×4, first 2 shown]
	ds_read2_b64 v[6:9], v4 offset0:128 offset1:160
	v_mul_u32_u24_sdwa v2, v47, s15 dst_sel:DWORD dst_unused:UNUSED_PAD src0_sel:WORD_0 src1_sel:DWORD
	s_waitcnt lgkmcnt(0)
	v_pk_fma_f16 v3, v6, v2, v3
	v_pk_fma_f16 v10, v7, v2, v10
	;; [unrolled: 1-line block ×4, first 2 shown]
	ds_read2_b64 v[6:9], v4 offset0:192 offset1:224
	v_mul_u32_u24_sdwa v2, v47, s15 dst_sel:DWORD dst_unused:UNUSED_PAD src0_sel:WORD_1 src1_sel:DWORD
	s_waitcnt lgkmcnt(0)
	v_pk_fma_f16 v3, v6, v2, v3
	v_pk_fma_f16 v4, v7, v2, v10
	;; [unrolled: 1-line block ×4, first 2 shown]
	ds_read2_b64 v[6:9], v5 offset1:32
	v_mul_u32_u24_sdwa v2, v48, s15 dst_sel:DWORD dst_unused:UNUSED_PAD src0_sel:WORD_0 src1_sel:DWORD
	s_waitcnt lgkmcnt(0)
	v_pk_fma_f16 v3, v6, v2, v3
	v_pk_fma_f16 v4, v7, v2, v4
	;; [unrolled: 1-line block ×4, first 2 shown]
	ds_read2_b64 v[6:9], v5 offset0:64 offset1:96
	v_mul_u32_u24_sdwa v2, v48, s15 dst_sel:DWORD dst_unused:UNUSED_PAD src0_sel:WORD_1 src1_sel:DWORD
	s_waitcnt lgkmcnt(0)
	v_pk_fma_f16 v3, v6, v2, v3
	v_pk_fma_f16 v4, v7, v2, v4
	v_pk_fma_f16 v10, v8, v2, v10
	v_pk_fma_f16 v1, v9, v2, v1
	ds_read2_b64 v[6:9], v5 offset0:128 offset1:160
	v_mul_u32_u24_sdwa v2, v49, s15 dst_sel:DWORD dst_unused:UNUSED_PAD src0_sel:WORD_0 src1_sel:DWORD
	s_waitcnt lgkmcnt(0)
	v_pk_fma_f16 v6, v6, v2, v3
	v_pk_fma_f16 v7, v7, v2, v4
	;; [unrolled: 1-line block ×4, first 2 shown]
	ds_read2_b64 v[2:5], v5 offset0:192 offset1:224
	v_mul_u32_u24_sdwa v9, v49, s15 dst_sel:DWORD dst_unused:UNUSED_PAD src0_sel:WORD_1 src1_sel:DWORD
	v_mov_b32_e32 v10, v32
	s_waitcnt lgkmcnt(0)
	v_pk_fma_f16 v6, v2, v9, v6
	v_pk_fma_f16 v7, v3, v9, v7
	;; [unrolled: 1-line block ×4, first 2 shown]
	ds_read2_b64 v[2:5], v0 offset1:32
	v_mul_u32_u24_sdwa v9, v50, s15 dst_sel:DWORD dst_unused:UNUSED_PAD src0_sel:WORD_0 src1_sel:DWORD
	s_waitcnt lgkmcnt(0)
	v_pk_fma_f16 v6, v2, v9, v6
	v_pk_fma_f16 v7, v3, v9, v7
	;; [unrolled: 1-line block ×4, first 2 shown]
	ds_read2_b64 v[2:5], v0 offset0:64 offset1:96
	v_mul_u32_u24_sdwa v9, v50, s15 dst_sel:DWORD dst_unused:UNUSED_PAD src0_sel:WORD_1 src1_sel:DWORD
	s_waitcnt lgkmcnt(0)
	v_pk_fma_f16 v6, v2, v9, v6
	v_pk_fma_f16 v7, v3, v9, v7
	;; [unrolled: 1-line block ×4, first 2 shown]
	ds_read2_b64 v[2:5], v0 offset0:128 offset1:160
	v_mul_u32_u24_sdwa v9, v51, s15 dst_sel:DWORD dst_unused:UNUSED_PAD src0_sel:WORD_0 src1_sel:DWORD
	s_waitcnt lgkmcnt(0)
	v_pk_fma_f16 v6, v2, v9, v6
	v_pk_fma_f16 v7, v3, v9, v7
	;; [unrolled: 1-line block ×3, first 2 shown]
	ds_read2_b64 v[0:3], v0 offset0:192 offset1:224
	v_pk_fma_f16 v4, v4, v9, v8
	v_mul_u32_u24_sdwa v8, v51, s15 dst_sel:DWORD dst_unused:UNUSED_PAD src0_sel:WORD_1 src1_sel:DWORD
	v_mov_b32_e32 v9, v13
	s_waitcnt lgkmcnt(0)
	v_pk_fma_f16 v42, v0, v8, v6
	v_pk_fma_f16 v27, v1, v8, v7
	;; [unrolled: 1-line block ×4, first 2 shown]
	s_barrier
.LBB72_46:
	v_cmp_lt_i32_e32 vcc, v31, v25
	s_cmp_eq_u64 s[16:17], 0
	s_cselect_b64 s[4:5], -1, 0
	v_cndmask_b32_e32 v0, v24, v31, vcc
	v_lshlrev_b32_e32 v0, 2, v0
	ds_bpermute_b32 v0, v0, v9
	v_cmp_lt_i32_e32 vcc, v30, v25
	s_cmp_lg_u32 s3, 0
	s_cselect_b64 s[6:7], -1, 0
	v_cndmask_b32_e32 v1, v24, v30, vcc
	v_lshlrev_b32_e32 v1, 2, v1
	s_waitcnt lgkmcnt(0)
	v_add_f32_e32 v0, v9, v0
	ds_bpermute_b32 v1, v1, v0
	v_cmp_lt_i32_e32 vcc, v29, v25
	s_or_b64 s[4:5], s[6:7], s[4:5]
	s_waitcnt lgkmcnt(0)
	v_add_f32_e32 v0, v0, v1
	v_cndmask_b32_e32 v2, v24, v29, vcc
	v_lshlrev_b32_e32 v2, 2, v2
	ds_bpermute_b32 v1, v2, v0
	v_cmp_lt_i32_e32 vcc, v28, v25
	s_waitcnt lgkmcnt(0)
	v_add_f32_e32 v0, v0, v1
	v_cndmask_b32_e32 v2, v24, v28, vcc
	v_lshlrev_b32_e32 v2, 2, v2
	ds_bpermute_b32 v1, v2, v0
	v_cmp_lt_i32_e32 vcc, v26, v25
	s_waitcnt lgkmcnt(0)
	v_add_f32_e32 v0, v0, v1
	v_cndmask_b32_e32 v2, v24, v26, vcc
	v_lshlrev_b32_e32 v2, 2, v2
	ds_bpermute_b32 v1, v2, v0
	s_and_b64 vcc, exec, s[4:5]
	s_waitcnt lgkmcnt(0)
	v_add_f32_e32 v11, v0, v1
	s_cbranch_vccnz .LBB72_48
; %bb.47:
	s_lshl_b64 s[4:5], s[34:35], 2
	s_add_u32 s4, s16, s4
	s_addc_u32 s5, s17, s5
	v_mov_b32_e32 v0, 0
	global_load_dword v1, v0, s[4:5]
	v_max_f32_e32 v0, v10, v10
	s_mov_b32 s2, 0x3fb8aa3b
	s_mov_b32 s4, 0xc2ce8ed0
	s_waitcnt vmcnt(0)
	v_max_f32_e32 v2, v1, v1
	v_max_f32_e32 v0, v0, v2
	v_sub_f32_e32 v2, v10, v0
	v_sub_f32_e32 v1, v1, v0
	v_mul_f32_e32 v3, 0x3fb8aa3b, v2
	v_mul_f32_e32 v4, 0x3fb8aa3b, v1
	v_fma_f32 v5, v2, s2, -v3
	v_rndne_f32_e32 v6, v3
	v_fma_f32 v7, v1, s2, -v4
	v_rndne_f32_e32 v8, v4
	v_fmac_f32_e32 v5, 0x32a5705f, v2
	v_sub_f32_e32 v3, v3, v6
	v_fmac_f32_e32 v7, 0x32a5705f, v1
	v_sub_f32_e32 v4, v4, v8
	v_add_f32_e32 v3, v3, v5
	v_cvt_i32_f32_e32 v6, v6
	v_add_f32_e32 v4, v4, v7
	v_exp_f32_e32 v3, v3
	v_cvt_i32_f32_e32 v8, v8
	v_exp_f32_e32 v4, v4
	v_cmp_ngt_f32_e32 vcc, s4, v2
	v_ldexp_f32 v3, v3, v6
	s_mov_b32 s2, 0x42b17218
	v_ldexp_f32 v4, v4, v8
	v_cndmask_b32_e32 v3, 0, v3, vcc
	v_cmp_ngt_f32_e32 vcc, s4, v1
	v_mov_b32_e32 v5, 0x7f800000
	s_nop 0
	v_cndmask_b32_e32 v4, 0, v4, vcc
	v_cmp_nlt_f32_e32 vcc, s2, v2
	s_nop 1
	v_cndmask_b32_e32 v2, v5, v3, vcc
	v_cvt_f16_f32_e32 v3, v2
	v_cmp_nlt_f32_e32 vcc, s2, v1
	s_nop 1
	v_cndmask_b32_e32 v1, v5, v4, vcc
	v_fmac_f32_e32 v1, v11, v2
	v_mul_u32_u24_e32 v2, 0x10001, v3
	v_pk_mul_f16 v42, v42, v2
	v_pk_mul_f16 v27, v27, v2
	;; [unrolled: 1-line block ×4, first 2 shown]
	v_mov_b64_e32 v[10:11], v[0:1]
	v_cmp_gt_i32_e32 vcc, s26, v38
	s_and_saveexec_b64 s[4:5], vcc
	s_cbranch_execnz .LBB72_49
	s_branch .LBB72_51
.LBB72_48:
	v_mov_b32_e32 v1, v11
	v_cmp_gt_i32_e32 vcc, s26, v38
	s_and_saveexec_b64 s[4:5], vcc
	s_cbranch_execz .LBB72_51
.LBB72_49:
	s_load_dword s2, s[0:1], 0xd4
	v_div_scale_f32 v0, s[0:1], v1, v1, 1.0
	v_rcp_f32_e32 v2, v0
	s_mul_i32 s33, s33, s26
	s_waitcnt lgkmcnt(0)
	s_cmp_lg_u32 s2, 1
	s_cselect_b64 s[0:1], -1, 0
	v_fma_f32 v3, -v0, v2, 1.0
	v_fmac_f32_e32 v2, v3, v2
	v_div_scale_f32 v3, vcc, 1.0, v1, 1.0
	v_mul_f32_e32 v4, v3, v2
	v_fma_f32 v5, -v0, v4, v3
	v_fmac_f32_e32 v4, v5, v2
	v_fma_f32 v0, -v0, v4, v3
	v_div_fmas_f32 v0, v0, v2, v4
	v_div_fixup_f32 v0, v0, v1, 1.0
	v_cndmask_b32_e64 v6, v0, 1.0, s[0:1]
	v_add_u32_e32 v0, s33, v38
	v_mul_lo_u32 v0, v0, s27
	v_add_u32_e32 v0, s34, v0
	v_cvt_f32_f16_sdwa v3, v42 dst_sel:DWORD dst_unused:UNUSED_PAD src0_sel:WORD_1
	v_cvt_f32_f16_e32 v2, v42
	v_cvt_f32_f16_sdwa v5, v27 dst_sel:DWORD dst_unused:UNUSED_PAD src0_sel:WORD_1
	v_cvt_f32_f16_e32 v4, v27
	v_mul_lo_u32 v0, s2, v0
	v_add_u32_e32 v0, s3, v0
	v_lshl_add_u32 v8, v0, 8, v39
	v_mov_b32_e32 v9, 0
	v_cmp_eq_u32_e32 vcc, 0, v12
	v_lshl_add_u64 v[12:13], v[8:9], 2, s[20:21]
	v_pk_mul_f32 v[2:3], v[6:7], v[2:3] op_sel_hi:[0,1]
	v_pk_mul_f32 v[4:5], v[6:7], v[4:5] op_sel_hi:[0,1]
	global_store_dwordx4 v[12:13], v[2:5], off
	v_add_u32_e32 v8, 0x80, v8
	s_and_b64 s[0:1], vcc, s[0:1]
	v_cvt_f32_f16_sdwa v3, v44 dst_sel:DWORD dst_unused:UNUSED_PAD src0_sel:WORD_1
	v_cvt_f32_f16_e32 v2, v44
	v_cvt_f32_f16_sdwa v5, v43 dst_sel:DWORD dst_unused:UNUSED_PAD src0_sel:WORD_1
	v_cvt_f32_f16_e32 v4, v43
	v_lshl_add_u64 v[8:9], v[8:9], 2, s[20:21]
	v_pk_mul_f32 v[2:3], v[6:7], v[2:3] op_sel_hi:[0,1]
	v_pk_mul_f32 v[4:5], v[6:7], v[4:5] op_sel_hi:[0,1]
	global_store_dwordx4 v[8:9], v[2:5], off
	s_and_b64 exec, exec, s[0:1]
	s_cbranch_execz .LBB72_51
; %bb.50:
	v_mov_b32_e32 v2, s22
	v_mov_b32_e32 v3, s23
	v_ashrrev_i32_e32 v1, 31, v0
	v_lshl_add_u64 v[0:1], v[0:1], 3, v[2:3]
	global_store_dwordx2 v[0:1], v[10:11], off
	s_endpgm
.LBB72_51:
	s_endpgm
	.section	.rodata,"a",@progbits
	.p2align	6, 0x0
	.amdhsa_kernel _ZL15flash_attn_tileILi256ELi256ELi8ELi1ELb1EEvPKcS1_S1_S1_S1_PKiPfP15HIP_vector_typeIfLj2EEffffjfiS5_IjLj3EEiiiiiiiiiiiliiliiiiil
		.amdhsa_group_segment_fixed_size 22528
		.amdhsa_private_segment_fixed_size 32
		.amdhsa_kernarg_size 464
		.amdhsa_user_sgpr_count 2
		.amdhsa_user_sgpr_dispatch_ptr 0
		.amdhsa_user_sgpr_queue_ptr 0
		.amdhsa_user_sgpr_kernarg_segment_ptr 1
		.amdhsa_user_sgpr_dispatch_id 0
		.amdhsa_user_sgpr_kernarg_preload_length 0
		.amdhsa_user_sgpr_kernarg_preload_offset 0
		.amdhsa_user_sgpr_private_segment_size 0
		.amdhsa_uses_dynamic_stack 0
		.amdhsa_enable_private_segment 1
		.amdhsa_system_sgpr_workgroup_id_x 1
		.amdhsa_system_sgpr_workgroup_id_y 1
		.amdhsa_system_sgpr_workgroup_id_z 1
		.amdhsa_system_sgpr_workgroup_info 0
		.amdhsa_system_vgpr_workitem_id 1
		.amdhsa_next_free_vgpr 116
		.amdhsa_next_free_sgpr 75
		.amdhsa_accum_offset 116
		.amdhsa_reserve_vcc 1
		.amdhsa_float_round_mode_32 0
		.amdhsa_float_round_mode_16_64 0
		.amdhsa_float_denorm_mode_32 3
		.amdhsa_float_denorm_mode_16_64 3
		.amdhsa_dx10_clamp 1
		.amdhsa_ieee_mode 1
		.amdhsa_fp16_overflow 0
		.amdhsa_tg_split 0
		.amdhsa_exception_fp_ieee_invalid_op 0
		.amdhsa_exception_fp_denorm_src 0
		.amdhsa_exception_fp_ieee_div_zero 0
		.amdhsa_exception_fp_ieee_overflow 0
		.amdhsa_exception_fp_ieee_underflow 0
		.amdhsa_exception_fp_ieee_inexact 0
		.amdhsa_exception_int_div_zero 0
	.end_amdhsa_kernel
	.section	.text._ZL15flash_attn_tileILi256ELi256ELi8ELi1ELb1EEvPKcS1_S1_S1_S1_PKiPfP15HIP_vector_typeIfLj2EEffffjfiS5_IjLj3EEiiiiiiiiiiiliiliiiiil,"axG",@progbits,_ZL15flash_attn_tileILi256ELi256ELi8ELi1ELb1EEvPKcS1_S1_S1_S1_PKiPfP15HIP_vector_typeIfLj2EEffffjfiS5_IjLj3EEiiiiiiiiiiiliiliiiiil,comdat
.Lfunc_end72:
	.size	_ZL15flash_attn_tileILi256ELi256ELi8ELi1ELb1EEvPKcS1_S1_S1_S1_PKiPfP15HIP_vector_typeIfLj2EEffffjfiS5_IjLj3EEiiiiiiiiiiiliiliiiiil, .Lfunc_end72-_ZL15flash_attn_tileILi256ELi256ELi8ELi1ELb1EEvPKcS1_S1_S1_S1_PKiPfP15HIP_vector_typeIfLj2EEffffjfiS5_IjLj3EEiiiiiiiiiiiliiliiiiil
                                        ; -- End function
	.set _ZL15flash_attn_tileILi256ELi256ELi8ELi1ELb1EEvPKcS1_S1_S1_S1_PKiPfP15HIP_vector_typeIfLj2EEffffjfiS5_IjLj3EEiiiiiiiiiiiliiliiiiil.num_vgpr, 116
	.set _ZL15flash_attn_tileILi256ELi256ELi8ELi1ELb1EEvPKcS1_S1_S1_S1_PKiPfP15HIP_vector_typeIfLj2EEffffjfiS5_IjLj3EEiiiiiiiiiiiliiliiiiil.num_agpr, 0
	.set _ZL15flash_attn_tileILi256ELi256ELi8ELi1ELb1EEvPKcS1_S1_S1_S1_PKiPfP15HIP_vector_typeIfLj2EEffffjfiS5_IjLj3EEiiiiiiiiiiiliiliiiiil.numbered_sgpr, 48
	.set _ZL15flash_attn_tileILi256ELi256ELi8ELi1ELb1EEvPKcS1_S1_S1_S1_PKiPfP15HIP_vector_typeIfLj2EEffffjfiS5_IjLj3EEiiiiiiiiiiiliiliiiiil.num_named_barrier, 0
	.set _ZL15flash_attn_tileILi256ELi256ELi8ELi1ELb1EEvPKcS1_S1_S1_S1_PKiPfP15HIP_vector_typeIfLj2EEffffjfiS5_IjLj3EEiiiiiiiiiiiliiliiiiil.private_seg_size, 32
	.set _ZL15flash_attn_tileILi256ELi256ELi8ELi1ELb1EEvPKcS1_S1_S1_S1_PKiPfP15HIP_vector_typeIfLj2EEffffjfiS5_IjLj3EEiiiiiiiiiiiliiliiiiil.uses_vcc, 1
	.set _ZL15flash_attn_tileILi256ELi256ELi8ELi1ELb1EEvPKcS1_S1_S1_S1_PKiPfP15HIP_vector_typeIfLj2EEffffjfiS5_IjLj3EEiiiiiiiiiiiliiliiiiil.uses_flat_scratch, 0
	.set _ZL15flash_attn_tileILi256ELi256ELi8ELi1ELb1EEvPKcS1_S1_S1_S1_PKiPfP15HIP_vector_typeIfLj2EEffffjfiS5_IjLj3EEiiiiiiiiiiiliiliiiiil.has_dyn_sized_stack, 0
	.set _ZL15flash_attn_tileILi256ELi256ELi8ELi1ELb1EEvPKcS1_S1_S1_S1_PKiPfP15HIP_vector_typeIfLj2EEffffjfiS5_IjLj3EEiiiiiiiiiiiliiliiiiil.has_recursion, 0
	.set _ZL15flash_attn_tileILi256ELi256ELi8ELi1ELb1EEvPKcS1_S1_S1_S1_PKiPfP15HIP_vector_typeIfLj2EEffffjfiS5_IjLj3EEiiiiiiiiiiiliiliiiiil.has_indirect_call, 0
	.section	.AMDGPU.csdata,"",@progbits
; Kernel info:
; codeLenInByte = 26624
; TotalNumSgprs: 54
; NumVgprs: 116
; NumAgprs: 0
; TotalNumVgprs: 116
; ScratchSize: 32
; MemoryBound: 0
; FloatMode: 240
; IeeeMode: 1
; LDSByteSize: 22528 bytes/workgroup (compile time only)
; SGPRBlocks: 10
; VGPRBlocks: 14
; NumSGPRsForWavesPerEU: 81
; NumVGPRsForWavesPerEU: 116
; AccumOffset: 116
; Occupancy: 4
; WaveLimiterHint : 1
; COMPUTE_PGM_RSRC2:SCRATCH_EN: 1
; COMPUTE_PGM_RSRC2:USER_SGPR: 2
; COMPUTE_PGM_RSRC2:TRAP_HANDLER: 0
; COMPUTE_PGM_RSRC2:TGID_X_EN: 1
; COMPUTE_PGM_RSRC2:TGID_Y_EN: 1
; COMPUTE_PGM_RSRC2:TGID_Z_EN: 1
; COMPUTE_PGM_RSRC2:TIDIG_COMP_CNT: 1
; COMPUTE_PGM_RSRC3_GFX90A:ACCUM_OFFSET: 28
; COMPUTE_PGM_RSRC3_GFX90A:TG_SPLIT: 0
	.section	.text._ZL15flash_attn_tileILi256ELi256ELi4ELi1ELb1EEvPKcS1_S1_S1_S1_PKiPfP15HIP_vector_typeIfLj2EEffffjfiS5_IjLj3EEiiiiiiiiiiiliiliiiiil,"axG",@progbits,_ZL15flash_attn_tileILi256ELi256ELi4ELi1ELb1EEvPKcS1_S1_S1_S1_PKiPfP15HIP_vector_typeIfLj2EEffffjfiS5_IjLj3EEiiiiiiiiiiiliiliiiiil,comdat
	.globl	_ZL15flash_attn_tileILi256ELi256ELi4ELi1ELb1EEvPKcS1_S1_S1_S1_PKiPfP15HIP_vector_typeIfLj2EEffffjfiS5_IjLj3EEiiiiiiiiiiiliiliiiiil ; -- Begin function _ZL15flash_attn_tileILi256ELi256ELi4ELi1ELb1EEvPKcS1_S1_S1_S1_PKiPfP15HIP_vector_typeIfLj2EEffffjfiS5_IjLj3EEiiiiiiiiiiiliiliiiiil
	.p2align	8
	.type	_ZL15flash_attn_tileILi256ELi256ELi4ELi1ELb1EEvPKcS1_S1_S1_S1_PKiPfP15HIP_vector_typeIfLj2EEffffjfiS5_IjLj3EEiiiiiiiiiiiliiliiiiil,@function
_ZL15flash_attn_tileILi256ELi256ELi4ELi1ELb1EEvPKcS1_S1_S1_S1_PKiPfP15HIP_vector_typeIfLj2EEffffjfiS5_IjLj3EEiiiiiiiiiiiliiliiiiil: ; @_ZL15flash_attn_tileILi256ELi256ELi4ELi1ELb1EEvPKcS1_S1_S1_S1_PKiPfP15HIP_vector_typeIfLj2EEffffjfiS5_IjLj3EEiiiiiiiiiiiliiliiiiil
; %bb.0:
	s_load_dwordx4 s[24:27], s[0:1], 0x5c
	s_load_dwordx2 s[38:39], s[0:1], 0x80
	s_load_dwordx2 s[40:41], s[0:1], 0xb8
	s_mov_b64 s[36:37], 0
	s_waitcnt lgkmcnt(0)
	v_cvt_f32_u32_e32 v1, s27
	s_sub_i32 s5, 0, s27
	v_rcp_iflag_f32_e32 v1, v1
	s_nop 0
	v_mul_f32_e32 v1, 0x4f7ffffe, v1
	v_cvt_u32_f32_e32 v1, v1
	s_nop 0
	v_readfirstlane_b32 s6, v1
	s_mul_i32 s5, s5, s6
	s_mul_hi_u32 s5, s6, s5
	s_add_i32 s6, s6, s5
	s_mul_hi_u32 s5, s4, s6
	s_mul_i32 s6, s5, s27
	s_sub_i32 s6, s4, s6
	s_add_i32 s7, s5, 1
	s_sub_i32 s8, s6, s27
	s_cmp_ge_u32 s6, s27
	s_cselect_b32 s5, s7, s5
	s_cselect_b32 s6, s8, s6
	s_add_i32 s7, s5, 1
	s_cmp_ge_u32 s6, s27
	s_cselect_b32 s33, s7, s5
	s_abs_i32 s5, s39
	v_cvt_f32_u32_e32 v1, s5
	s_mul_i32 s8, s33, s27
	s_sub_i32 s9, 0, s5
	s_sub_i32 s34, s4, s8
	v_rcp_iflag_f32_e32 v1, v1
	s_abs_i32 s7, s27
	s_xor_b32 s6, s27, s39
	s_ashr_i32 s6, s6, 31
	v_mul_f32_e32 v1, 0x4f7ffffe, v1
	v_cvt_u32_f32_e32 v1, v1
	s_nop 0
	v_readfirstlane_b32 s4, v1
	s_mul_i32 s9, s9, s4
	s_mul_hi_u32 s8, s4, s9
	s_add_i32 s4, s4, s8
	s_mul_hi_u32 s4, s7, s4
	s_mul_i32 s8, s4, s5
	s_sub_i32 s7, s7, s8
	s_add_i32 s9, s4, 1
	s_sub_i32 s8, s7, s5
	s_cmp_ge_u32 s7, s5
	s_cselect_b32 s4, s9, s4
	s_cselect_b32 s7, s8, s7
	s_add_i32 s8, s4, 1
	s_cmp_ge_u32 s7, s5
	s_cselect_b32 s4, s8, s4
	s_xor_b32 s4, s4, s6
	s_sub_i32 s43, s4, s6
	s_abs_i32 s39, s43
	v_cvt_f32_u32_e32 v1, s39
	s_load_dwordx16 s[8:23], s[0:1], 0x0
	s_sub_i32 s4, 0, s39
	s_abs_i32 s42, s34
	v_rcp_iflag_f32_e32 v1, v1
	s_nop 0
	v_mul_f32_e32 v1, 0x4f7ffffe, v1
	v_cvt_u32_f32_e32 v1, v1
	s_nop 0
	v_readfirstlane_b32 s5, v1
	s_mul_i32 s4, s4, s5
	s_mul_hi_u32 s4, s5, s4
	s_add_i32 s4, s5, s4
	s_waitcnt lgkmcnt(0)
	s_cmp_eq_u64 s[14:15], 0
	s_cbranch_scc1 .LBB73_2
; %bb.1:
	s_abs_i32 s5, s40
	v_cvt_f32_u32_e32 v1, s5
	s_sub_i32 s30, 0, s5
	s_abs_i32 s29, s33
	s_ashr_i32 s28, s33, 31
	v_rcp_iflag_f32_e32 v1, v1
	s_load_dwordx2 s[6:7], s[0:1], 0xc8
	v_mul_f32_e32 v1, 0x4f7ffffe, v1
	v_cvt_u32_f32_e32 v1, v1
	s_nop 0
	v_readfirstlane_b32 s31, v1
	s_mul_i32 s30, s30, s31
	s_mul_hi_u32 s30, s31, s30
	s_add_i32 s31, s31, s30
	s_mul_hi_u32 s30, s29, s31
	s_mul_i32 s30, s30, s5
	s_sub_i32 s29, s29, s30
	s_sub_i32 s30, s29, s5
	s_cmp_ge_u32 s29, s5
	s_cselect_b32 s29, s30, s29
	s_sub_i32 s30, s29, s5
	s_cmp_ge_u32 s29, s5
	s_cselect_b32 s5, s30, s29
	s_xor_b32 s5, s5, s28
	s_sub_i32 s5, s5, s28
	s_ashr_i32 s28, s5, 31
	s_waitcnt lgkmcnt(0)
	s_mul_hi_u32 s29, s6, s5
	s_mul_i32 s28, s6, s28
	s_mul_i32 s7, s7, s5
	s_add_i32 s28, s29, s28
	s_add_i32 s28, s28, s7
	s_mul_i32 s5, s6, s5
	s_add_u32 s36, s14, s5
	s_addc_u32 s37, s15, s28
.LBB73_2:
	s_load_dwordx4 s[28:31], s[0:1], 0x40
	s_load_dwordx2 s[14:15], s[0:1], 0x50
	s_mul_hi_u32 s40, s42, s4
	v_mov_b32_e32 v46, 1.0
	s_waitcnt lgkmcnt(0)
	v_cmp_le_f32_e64 s[4:5], s29, 0
	s_and_b64 vcc, exec, s[4:5]
	s_cbranch_vccnz .LBB73_4
; %bb.3:
	v_mov_b32_e32 v1, s14
	v_sub_co_u32_e32 v1, vcc, s34, v1
	v_mov_b32_e32 v2, s31
	v_mov_b32_e32 v3, s30
	s_add_i32 s4, s34, 1
	v_lshlrev_b32_e32 v1, 1, v1
	v_cndmask_b32_e32 v2, v2, v3, vcc
	v_or_b32_e32 v1, 1, v1
	v_mov_b32_e32 v3, s4
	v_cndmask_b32_e32 v1, v1, v3, vcc
	v_cvt_f32_i32_e32 v1, v1
	v_cmp_neq_f32_e32 vcc, 1.0, v2
	s_mov_b32 s4, 0x3f2aaaab
	s_movk_i32 s6, 0x204
	v_cndmask_b32_e32 v1, 1.0, v1, vcc
	v_cmp_neq_f32_e32 vcc, 0, v1
	s_mov_b32 s5, 0x42b17218
	s_mov_b32 s7, 0x3fb8aa3b
	v_cndmask_b32_e32 v18, 1.0, v2, vcc
	v_frexp_mant_f32_e64 v2, |v18|
	v_cmp_gt_f32_e32 vcc, s4, v2
	s_mov_b32 s4, 0x3f317218
	s_brev_b32 s14, -2
	v_cndmask_b32_e64 v3, 1.0, 2.0, vcc
	v_mul_f32_e32 v2, v2, v3
	v_add_f32_e32 v5, 1.0, v2
	v_rcp_f32_e32 v10, v5
	v_add_f32_e32 v3, -1.0, v5
	v_sub_f32_e32 v7, v2, v3
	v_add_f32_e32 v3, -1.0, v2
	v_mul_f32_e32 v11, v3, v10
	v_mul_f32_e32 v4, v5, v11
	v_fma_f32 v6, v11, v5, -v4
	v_fmac_f32_e32 v6, v11, v7
	v_add_f32_e32 v2, v4, v6
	v_sub_f32_e32 v5, v3, v2
	v_pk_add_f32 v[8:9], v[2:3], v[4:5] neg_lo:[0,1] neg_hi:[0,1]
	v_mov_b32_e32 v7, v2
	v_pk_add_f32 v[2:3], v[8:9], v[6:7] neg_lo:[0,1] neg_hi:[0,1]
	v_mov_b32_e32 v6, 0x3e91f4c4
	v_add_f32_e32 v2, v2, v3
	v_add_f32_e32 v2, v5, v2
	v_mul_f32_e32 v3, v10, v2
	v_add_f32_e32 v2, v11, v3
	v_sub_f32_e32 v4, v2, v11
	v_sub_f32_e32 v12, v3, v4
	v_mul_f32_e32 v3, v2, v2
	v_fma_f32 v5, v2, v2, -v3
	v_add_f32_e32 v4, v12, v12
	v_fmac_f32_e32 v5, v2, v4
	v_add_f32_e32 v4, v3, v5
	v_fmac_f32_e32 v6, 0x3e76c4e1, v4
	v_fmaak_f32 v6, v4, v6, 0x3ecccdef
	v_sub_f32_e32 v3, v4, v3
	v_sub_f32_e32 v13, v5, v3
	v_mul_f32_e32 v3, v4, v6
	v_fma_f32 v5, v4, v6, -v3
	v_fmac_f32_e32 v5, v13, v6
	v_add_f32_e32 v6, v3, v5
	v_add_f32_e32 v7, 0x3f2aaaaa, v6
	v_sub_f32_e32 v3, v6, v3
	v_sub_f32_e32 v3, v5, v3
	v_add_f32_e32 v5, 0xbf2aaaaa, v7
	v_add_f32_e32 v3, 0x31739010, v3
	v_sub_f32_e32 v5, v6, v5
	v_pk_mul_f32 v[8:9], v[2:3], v[4:5]
	v_pk_add_f32 v[10:11], v[2:3], v[4:5]
	v_fma_f32 v6, v4, v2, -v8
	v_fmac_f32_e32 v6, v4, v12
	v_mov_b32_e32 v9, v11
	v_fmac_f32_e32 v6, v13, v2
	v_pk_add_f32 v[4:5], v[8:9], v[6:7]
	v_ldexp_f32 v14, v12, 1
	v_sub_f32_e32 v3, v4, v8
	v_sub_f32_e32 v3, v6, v3
	;; [unrolled: 1-line block ×3, first 2 shown]
	v_add_f32_e32 v9, v11, v6
	v_pk_mul_f32 v[6:7], v[4:5], v[4:5] op_sel:[0,1] op_sel_hi:[1,0]
	v_cvt_f64_f32_e64 v[10:11], |v18|
	v_frexp_exp_i32_f64_e32 v7, v[10:11]
	v_subbrev_co_u32_e32 v7, vcc, 0, v7, vcc
	v_cvt_f32_i32_e32 v7, v7
	v_fma_f32 v8, v4, v5, -v6
	v_fmac_f32_e32 v8, v4, v9
	v_fmac_f32_e32 v8, v3, v5
	v_mul_f32_e32 v4, 0x3f317218, v7
	v_fma_f32 v3, v7, s4, -v4
	v_fmamk_f32 v10, v7, 0xb102e308, v3
	v_ldexp_f32 v11, v2, 1
	v_add_f32_e32 v5, v6, v8
	v_pk_add_f32 v[2:3], v[4:5], v[10:11]
	v_mov_b32_e32 v12, v5
	v_mov_b32_e32 v13, v3
	;; [unrolled: 1-line block ×3, first 2 shown]
	v_pk_add_f32 v[6:7], v[12:13], v[6:7] neg_lo:[0,1] neg_hi:[0,1]
	v_mov_b32_e32 v9, v5
	v_pk_add_f32 v[6:7], v[8:9], v[6:7] neg_lo:[0,1] neg_hi:[0,1]
	v_mov_b32_e32 v11, v2
	v_add_f32_e32 v5, v14, v6
	v_add_f32_e32 v5, v5, v7
	v_pk_add_f32 v[6:7], v[2:3], v[4:5] neg_lo:[0,1] neg_hi:[0,1]
	v_pk_add_f32 v[8:9], v[2:3], v[4:5]
	v_mov_b32_e32 v16, v3
	v_mov_b32_e32 v7, v9
	v_pk_add_f32 v[12:13], v[10:11], v[6:7] neg_lo:[0,1] neg_hi:[0,1]
	v_pk_add_f32 v[6:7], v[10:11], v[6:7]
	v_mov_b32_e32 v4, v5
	v_pk_add_f32 v[10:11], v[6:7], v[2:3] op_sel:[1,0] op_sel_hi:[0,1] neg_lo:[0,1] neg_hi:[0,1]
	v_pk_add_f32 v[14:15], v[8:9], v[10:11] op_sel_hi:[1,0] neg_lo:[0,1] neg_hi:[0,1]
	v_mov_b32_e32 v8, v9
	v_mov_b32_e32 v9, v7
	;; [unrolled: 1-line block ×3, first 2 shown]
	v_pk_add_f32 v[8:9], v[8:9], v[16:17] neg_lo:[0,1] neg_hi:[0,1]
	v_mov_b32_e32 v5, v2
	v_pk_add_f32 v[2:3], v[4:5], v[8:9] neg_lo:[0,1] neg_hi:[0,1]
	v_mov_b32_e32 v14, v12
	v_pk_add_f32 v[4:5], v[14:15], v[2:3]
	v_mov_b32_e32 v13, v7
	v_pk_add_f32 v[8:9], v[4:5], v[4:5] op_sel:[0,1] op_sel_hi:[1,0]
	s_mov_b32 s4, 0x7f800000
	v_pk_add_f32 v[6:7], v[6:7], v[8:9] op_sel:[1,0] op_sel_hi:[0,1]
	v_mov_b32_e32 v5, v6
	v_pk_add_f32 v[10:11], v[4:5], v[12:13] neg_lo:[0,1] neg_hi:[0,1]
	v_mov_b32_e32 v3, v8
	v_sub_f32_e32 v4, v4, v10
	v_pk_add_f32 v[2:3], v[2:3], v[10:11] neg_lo:[0,1] neg_hi:[0,1]
	v_sub_f32_e32 v4, v12, v4
	v_add_f32_e32 v2, v2, v4
	v_add_f32_e32 v2, v2, v3
	v_add_f32_e32 v3, v6, v2
	v_sub_f32_e32 v4, v3, v6
	v_sub_f32_e32 v2, v2, v4
	v_mul_f32_e32 v4, v1, v3
	v_fma_f32 v3, v1, v3, -v4
	v_fmac_f32_e32 v3, v1, v2
	v_add_f32_e32 v2, v4, v3
	v_cmp_class_f32_e64 vcc, v4, s6
	v_sub_f32_e32 v5, v2, v4
	v_sub_f32_e32 v3, v3, v5
	v_cndmask_b32_e32 v2, v2, v4, vcc
	v_mov_b32_e32 v4, 0x37000000
	v_cmp_eq_f32_e32 vcc, s5, v2
	v_cmp_class_f32_e64 s[30:31], v18, s6
	s_nop 0
	v_cndmask_b32_e32 v4, 0, v4, vcc
	v_sub_f32_e32 v5, v2, v4
	v_mul_f32_e32 v6, 0x3fb8aa3b, v5
	v_fma_f32 v7, v5, s7, -v6
	v_rndne_f32_e32 v8, v6
	v_fmamk_f32 v7, v5, 0x32a5705f, v7
	v_sub_f32_e32 v6, v6, v8
	v_add_f32_e32 v6, v6, v7
	v_exp_f32_e32 v6, v6
	v_cvt_i32_f32_e32 v7, v8
	v_cmp_neq_f32_e64 vcc, |v2|, s4
	s_mov_b32 s4, 0xc2ce8ed0
	s_nop 0
	v_cndmask_b32_e32 v2, 0, v3, vcc
	v_ldexp_f32 v3, v6, v7
	v_cmp_ngt_f32_e32 vcc, s4, v5
	v_add_f32_e32 v2, v4, v2
	v_mov_b32_e32 v4, 0x7f800000
	v_cndmask_b32_e32 v3, 0, v3, vcc
	v_cmp_nlt_f32_e32 vcc, s5, v5
	v_mov_b32_e32 v5, 0x7fc00000
	s_nop 0
	v_cndmask_b32_e32 v3, v4, v3, vcc
	v_fma_f32 v2, v3, v2, v3
	v_cmp_class_f32_e64 vcc, v3, s6
	v_cmp_gt_f32_e64 s[6:7], 0, v1
	s_nop 0
	v_cndmask_b32_e32 v2, v2, v3, vcc
	v_trunc_f32_e32 v3, v1
	v_cmp_eq_f32_e32 vcc, v3, v1
	v_mul_f32_e32 v3, 0.5, v1
	v_trunc_f32_e32 v6, v3
	v_cmp_neq_f32_e64 s[4:5], v6, v3
	s_and_b64 s[4:5], vcc, s[4:5]
	s_nop 0
	v_cndmask_b32_e64 v3, 1.0, v18, s[4:5]
	v_bfi_b32 v2, s14, v2, v3
	v_cndmask_b32_e32 v3, v5, v2, vcc
	v_cmp_gt_f32_e32 vcc, 0, v18
	s_nop 1
	v_cndmask_b32_e32 v2, v2, v3, vcc
	v_cmp_eq_f32_e32 vcc, 0, v18
	s_xor_b64 s[6:7], s[6:7], vcc
	v_cndmask_b32_e64 v1, v4, 0, s[6:7]
	v_cndmask_b32_e64 v3, 0, v18, s[4:5]
	v_bfi_b32 v1, s14, v1, v3
	s_or_b64 vcc, vcc, s[30:31]
	v_cndmask_b32_e32 v1, v2, v1, vcc
	v_cmp_o_f32_e32 vcc, v18, v18
	s_nop 1
	v_cndmask_b32_e32 v46, v5, v1, vcc
.LBB73_4:
	s_load_dwordx4 s[44:47], s[0:1], 0x70
	v_lshrrev_b32_e32 v1, 10, v0
	v_bfe_u32 v6, v1, 1, 9
	s_ashr_i32 s35, s34, 31
	s_ashr_i32 s4, s43, 31
	s_waitcnt lgkmcnt(0)
	s_mul_i32 s5, s33, s46
	s_ashr_i32 s7, s5, 31
	v_lshl_add_u32 v40, s2, 2, v6
	s_mul_i32 s6, s34, s45
	s_add_u32 s5, s8, s5
	v_mul_hi_u32 v1, s24, v40
	s_addc_u32 s7, s9, s7
	s_ashr_i32 s8, s6, 31
	v_add_u32_e32 v1, v40, v1
	s_add_u32 s6, s5, s6
	v_lshrrev_b32_e32 v1, s25, v1
	s_addc_u32 s7, s7, s8
	v_mul_lo_u32 v1, v1, s26
	s_ashr_i32 s45, s44, 31
	v_sub_u32_e32 v47, v40, v1
	s_lshr_b64 s[8:9], s[44:45], 2
	v_mad_u64_u32 v[2:3], s[8:9], s8, v47, 0
	v_mov_b32_e32 v4, v3
	s_lshr_b32 s5, s45, 2
	v_mad_u64_u32 v[4:5], s[8:9], s5, v47, v[4:5]
	v_bfe_u32 v43, v0, 10, 10
	v_mov_b32_e32 v3, v4
	v_and_b32_e32 v41, 0x3ff, v0
	v_lshl_add_u64 v[0:1], v[2:3], 2, s[6:7]
	v_lshlrev_b32_e32 v2, 9, v43
	v_mov_b32_e32 v5, 0
	v_and_b32_e32 v4, 0x200, v2
	v_lshl_add_u64 v[0:1], v[0:1], 0, v[4:5]
	v_lshlrev_b32_e32 v4, 4, v41
	v_lshl_add_u64 v[0:1], v[0:1], 0, v[4:5]
	global_load_dwordx4 v[0:3], v[0:1], off
	v_lshlrev_b32_e32 v7, 8, v43
	v_and_b32_e32 v7, 0x100, v7
	v_lshl_or_b32 v6, v6, 9, v7
	v_lshlrev_b32_e32 v45, 3, v41
	v_lshlrev_b32_e32 v42, 2, v41
	v_add_u32_e32 v6, v6, v45
	s_cmp_eq_u64 s[18:19], 0
	s_waitcnt vmcnt(0)
	v_fma_mixlo_f16 v7, s28, v0, 0
	v_mov_b32_e32 v0, v3
	v_pk_mul_f32 v[0:1], s[28:29], v[0:1] op_sel_hi:[0,1]
	v_cvt_pk_f16_f32 v0, v0, v1
	v_fma_mixlo_f16 v2, s28, v2, 0
	v_and_b32_e32 v3, 0xffff, v7
	v_lshlrev_b32_e32 v1, 16, v0
	v_and_b32_e32 v0, 0xffff0000, v0
	v_and_b32_e32 v2, 0xffff, v2
	v_or_b32_e32 v0, v0, v3
	v_or3_b32 v1, v1, v2, 0
	v_or3_b32 v0, 0, 0, v0
	ds_write_b64 v6, v[0:1] offset:17408
	s_waitcnt lgkmcnt(0)
	s_barrier
	s_cbranch_scc1 .LBB73_6
; %bb.5:
	s_load_dword s5, s[0:1], 0xd0
	s_mov_b32 s7, 0
	s_waitcnt lgkmcnt(0)
	s_mul_i32 s5, s5, s33
	s_add_i32 s6, s5, s2
	s_lshl_b64 s[6:7], s[6:7], 2
	s_add_u32 s6, s18, s6
	s_addc_u32 s7, s19, s7
	s_load_dword s38, s[6:7], 0x0
.LBB73_6:
	s_nop 0
	s_load_dwordx2 s[6:7], s[0:1], 0x8c
	s_load_dwordx4 s[44:47], s[0:1], 0x98
	s_ashr_i32 s5, s33, 31
	s_ashr_i32 s28, s41, 1
	s_load_dwordx2 s[8:9], s[0:1], 0xa8
	s_waitcnt lgkmcnt(0)
	s_ashr_i32 s29, s6, 2
	s_mul_hi_u32 s6, s44, s33
	s_mul_i32 s14, s44, s5
	s_add_i32 s6, s6, s14
	s_mul_i32 s14, s45, s33
	s_ashr_i32 s2, s46, 2
	s_add_i32 s6, s6, s14
	s_mul_i32 s14, s44, s33
	s_add_u32 s10, s10, s14
	s_addc_u32 s6, s11, s6
	s_mul_i32 s11, s40, s39
	s_sub_i32 s11, s42, s11
	s_xor_b32 s4, s35, s4
	s_add_i32 s14, s40, 1
	s_sub_i32 s18, s11, s39
	s_cmp_ge_u32 s11, s39
	s_cselect_b32 s14, s14, s40
	s_cselect_b32 s11, s18, s11
	s_add_i32 s18, s14, 1
	s_cmp_ge_u32 s11, s39
	s_cselect_b32 s11, s18, s14
	s_xor_b32 s11, s11, s4
	s_sub_i32 s4, s11, s4
	s_mul_i32 s7, s4, s7
	s_ashr_i32 s11, s7, 31
	s_add_u32 s30, s10, s7
	s_addc_u32 s31, s6, s11
	s_mul_hi_u32 s6, s8, s33
	s_mul_i32 s5, s8, s5
	s_add_i32 s5, s6, s5
	s_mul_i32 s6, s9, s33
	s_add_i32 s5, s5, s6
	s_mul_i32 s6, s8, s33
	s_add_u32 s6, s12, s6
	s_mul_i32 s4, s4, s47
	s_addc_u32 s5, s13, s5
	s_ashr_i32 s7, s4, 31
	s_add_u32 s14, s6, s4
	s_addc_u32 s24, s5, s7
	s_lshl_b32 s25, s3, 6
	s_sub_i32 s39, s38, 64
	v_lshlrev_b32_e32 v51, 6, v43
	s_cmp_ge_i32 s25, s39
	v_lshrrev_b32_e32 v13, 4, v41
	v_and_b32_e32 v12, 60, v42
	v_lshlrev_b32_e32 v48, 5, v43
	v_and_b32_e32 v49, 1, v41
	v_lshlrev_b32_e32 v6, 2, v42
	v_mul_lo_u32 v8, s2, v43
	v_and_b32_e32 v44, 1, v43
	v_mbcnt_lo_u32_b32 v50, -1, 0
	s_cbranch_scc1 .LBB73_19
; %bb.7:
	v_lshl_add_u32 v0, v43, 1, v13
	v_lshlrev_b32_e32 v1, 2, v12
	s_movk_i32 s4, 0x110
	v_mad_u32_u24 v52, v0, s4, v1
	v_mul_lo_u32 v14, s29, v0
	s_lshl_b32 s4, s29, 4
	v_add_u32_e32 v16, s4, v14
	v_and_b32_e32 v1, 32, v48
	v_add_u32_e32 v18, s4, v16
	v_add_u32_e32 v0, v1, v41
	v_and_b32_e32 v2, 0xff80, v51
	v_mov_b32_e32 v3, 0x4400
	s_movk_i32 s6, 0x3fe
	v_add_u32_e32 v20, s4, v18
	v_mul_u32_u24_e32 v56, 0x110, v0
	v_lshl_add_u32 v57, v2, 2, v3
	s_cmp_lg_u64 s[36:37], 0
	v_mad_u64_u32 v[22:23], s[4:5], v47, s28, v[0:1]
	v_mov_b32_e32 v0, 0x4e00
	v_and_or_b32 v3, v43, s6, v49
	v_add_u32_e32 v5, 0x4c00, v2
	s_cselect_b64 s[12:13], -1, 0
	v_lshl_add_u32 v23, v43, 2, v0
	v_lshl_add_u32 v58, v3, 2, v0
	v_lshl_or_b32 v0, v1, 1, v5
	s_lshl_b32 s6, s2, 3
	v_lshl_add_u32 v59, v41, 1, v0
	v_add_u32_e32 v0, s6, v8
	v_add_u32_e32 v2, s6, v0
	;; [unrolled: 1-line block ×3, first 2 shown]
	v_and_b32_e32 v24, 1, v43
	v_mov_b32_e32 v7, 0
	v_lshl_add_u32 v60, v43, 9, v6
	v_ashrrev_i32_e32 v9, 31, v8
	v_ashrrev_i32_e32 v1, 31, v0
	;; [unrolled: 1-line block ×4, first 2 shown]
	v_lshl_or_b32 v64, v24, 1, v5
	s_add_u32 s18, s0, 0xd0
                                        ; implicit-def: $vgpr5
                                        ; implicit-def: $vgpr5
	;; [unrolled: 1-line block ×3, first 2 shown]
	v_ashrrev_i32_e32 v15, 31, v14
	v_add_u32_e32 v53, 0x1100, v52
	v_ashrrev_i32_e32 v17, 31, v16
	v_add_u32_e32 v54, 0x2200, v52
	;; [unrolled: 2-line block ×3, first 2 shown]
	v_ashrrev_i32_e32 v21, 31, v20
	v_cmp_eq_u32_e64 s[4:5], 0, v41
	v_add_u32_e32 v61, 0x1000, v60
	v_add_u32_e32 v62, 0x2000, v60
	;; [unrolled: 1-line block ×3, first 2 shown]
	v_lshl_add_u32 v65, v24, 9, v45
	s_addc_u32 s19, s1, 0
	v_mov_b32_e32 v68, 0xfeffffff
	v_lshlrev_b32_e32 v24, 2, v12
	v_mov_b32_e32 v25, v7
	s_mov_b32 s40, 0x3f200000
	s_mov_b32 s41, 0x3fb8aa3b
	;; [unrolled: 1-line block ×4, first 2 shown]
	v_mov_b32_e32 v66, 0x3ca908c9
	s_brev_b32 s44, -2
	v_mbcnt_hi_u32_b32 v67, -1, v50
	v_lshlrev_b64 v[26:27], 2, v[8:9]
	v_lshlrev_b64 v[28:29], 2, v[0:1]
	;; [unrolled: 1-line block ×4, first 2 shown]
	v_mov_b32_e32 v9, 0x7f800000
	v_mov_b32_e32 v0, v7
	;; [unrolled: 1-line block ×6, first 2 shown]
.LBB73_8:                               ; =>This Inner Loop Header: Depth=1
	s_mul_hi_i32 s7, s25, s29
	s_mul_i32 s6, s25, s29
	s_lshl_b64 s[6:7], s[6:7], 2
	s_add_u32 s6, s30, s6
	s_addc_u32 s7, s31, s7
	v_lshl_add_u64 v[10:11], v[14:15], 2, s[6:7]
	v_lshl_add_u64 v[36:37], v[18:19], 2, s[6:7]
	;; [unrolled: 1-line block ×7, first 2 shown]
	global_load_dwordx4 v[70:73], v[10:11], off
	global_load_dwordx4 v[74:77], v[34:35], off
	v_lshl_add_u64 v[38:39], v[38:39], 0, v[24:25]
	global_load_dwordx4 v[78:81], v[36:37], off
	global_load_dwordx4 v[82:85], v[38:39], off
	v_mov_b32_e32 v69, 0
	s_waitcnt vmcnt(3)
	ds_write_b128 v52, v[70:73]
	s_waitcnt vmcnt(2)
	ds_write_b128 v53, v[74:77]
	;; [unrolled: 2-line block ×4, first 2 shown]
	s_waitcnt lgkmcnt(0)
	s_barrier
	ds_read_b128 v[70:73], v56
	ds_read_b128 v[74:77], v57
	s_waitcnt lgkmcnt(0)
	;;#ASMSTART
	v_dot2_f32_f16 v69, v70, v74, v69
	;;#ASMEND
	s_nop 0
	;;#ASMSTART
	v_dot2_f32_f16 v69, v71, v75, v69
	;;#ASMEND
	s_nop 0
	;;#ASMSTART
	v_dot2_f32_f16 v69, v72, v76, v69
	;;#ASMEND
	s_nop 0
	;;#ASMSTART
	v_dot2_f32_f16 v69, v73, v77, v69
	;;#ASMEND
	ds_read_b128 v[70:73], v56 offset:16
	ds_read_b128 v[74:77], v57 offset:16
	s_waitcnt lgkmcnt(0)
	;;#ASMSTART
	v_dot2_f32_f16 v69, v70, v74, v69
	;;#ASMEND
	s_nop 0
	;;#ASMSTART
	v_dot2_f32_f16 v69, v71, v75, v69
	;;#ASMEND
	s_nop 0
	;;#ASMSTART
	v_dot2_f32_f16 v69, v72, v76, v69
	;;#ASMEND
	s_nop 0
	;;#ASMSTART
	v_dot2_f32_f16 v69, v73, v77, v69
	;;#ASMEND
	ds_read_b128 v[70:73], v56 offset:32
	ds_read_b128 v[74:77], v57 offset:32
	;; [unrolled: 18-line block ×15, first 2 shown]
	s_waitcnt lgkmcnt(0)
	;;#ASMSTART
	v_dot2_f32_f16 v69, v70, v74, v69
	;;#ASMEND
	s_nop 0
	;;#ASMSTART
	v_dot2_f32_f16 v69, v71, v75, v69
	;;#ASMEND
	s_nop 0
	;; [unrolled: 4-line block ×3, first 2 shown]
	;;#ASMSTART
	v_dot2_f32_f16 v69, v73, v77, v69
	;;#ASMEND
	s_barrier
	global_load_dwordx4 v[70:73], v[10:11], off offset:256
	global_load_dwordx4 v[74:77], v[34:35], off offset:256
	;; [unrolled: 1-line block ×4, first 2 shown]
                                        ; implicit-def: $vgpr10
	s_waitcnt vmcnt(3)
	ds_write_b128 v52, v[70:73]
	s_waitcnt vmcnt(2)
	ds_write_b128 v53, v[74:77]
	s_waitcnt vmcnt(1)
	ds_write_b128 v54, v[78:81]
	s_waitcnt vmcnt(0)
	ds_write_b128 v55, v[82:85]
	s_waitcnt lgkmcnt(0)
	s_barrier
	ds_read_b128 v[34:37], v56
	ds_read_b128 v[70:73], v57 offset:256
	s_waitcnt lgkmcnt(0)
	;;#ASMSTART
	v_dot2_f32_f16 v69, v34, v70, v69
	;;#ASMEND
	s_nop 0
	;;#ASMSTART
	v_dot2_f32_f16 v69, v35, v71, v69
	;;#ASMEND
	s_nop 0
	;;#ASMSTART
	v_dot2_f32_f16 v69, v36, v72, v69
	;;#ASMEND
	s_nop 0
	;;#ASMSTART
	v_dot2_f32_f16 v69, v37, v73, v69
	;;#ASMEND
	ds_read_b128 v[34:37], v56 offset:16
	ds_read_b128 v[70:73], v57 offset:272
	s_waitcnt lgkmcnt(0)
	;;#ASMSTART
	v_dot2_f32_f16 v69, v34, v70, v69
	;;#ASMEND
	s_nop 0
	;;#ASMSTART
	v_dot2_f32_f16 v69, v35, v71, v69
	;;#ASMEND
	s_nop 0
	;;#ASMSTART
	v_dot2_f32_f16 v69, v36, v72, v69
	;;#ASMEND
	s_nop 0
	;;#ASMSTART
	v_dot2_f32_f16 v69, v37, v73, v69
	;;#ASMEND
	ds_read_b128 v[34:37], v56 offset:32
	;; [unrolled: 18-line block ×15, first 2 shown]
	ds_read_b128 v[70:73], v57 offset:496
	s_waitcnt lgkmcnt(0)
	;;#ASMSTART
	v_dot2_f32_f16 v69, v34, v70, v69
	;;#ASMEND
	s_nop 0
	;;#ASMSTART
	v_dot2_f32_f16 v69, v35, v71, v69
	;;#ASMEND
	s_nop 0
	;; [unrolled: 4-line block ×4, first 2 shown]
	v_cmp_nlt_f32_e64 s[6:7], |v69|, s40
	s_and_saveexec_b64 s[8:9], s[6:7]
	s_xor_b64 s[6:7], exec, s[8:9]
	s_cbranch_execnz .LBB73_12
; %bb.9:                                ;   in Loop: Header=BB73_8 Depth=1
	s_andn2_saveexec_b64 s[6:7], s[6:7]
	s_cbranch_execnz .LBB73_13
.LBB73_10:                              ;   in Loop: Header=BB73_8 Depth=1
	s_or_b64 exec, exec, s[6:7]
	s_andn2_b64 vcc, exec, s[12:13]
	s_cbranch_vccnz .LBB73_14
.LBB73_11:                              ;   in Loop: Header=BB73_8 Depth=1
	v_add_u32_e32 v34, s25, v22
	v_ashrrev_i32_e32 v35, 31, v34
	v_lshl_add_u64 v[34:35], v[34:35], 1, s[36:37]
	global_load_ushort v11, v[34:35], off
	s_waitcnt vmcnt(0)
	v_cvt_f32_f16_e32 v11, v11
	v_mul_f32_e32 v11, v46, v11
	s_branch .LBB73_15
.LBB73_12:                              ;   in Loop: Header=BB73_8 Depth=1
	v_add_f32_e64 v10, |v69|, |v69|
	v_mul_f32_e32 v11, 0x3fb8aa3b, v10
	v_rndne_f32_e32 v34, v11
	v_sub_f32_e32 v35, v11, v34
	v_fma_f32 v11, v10, s41, -v11
	v_fmac_f32_e32 v11, 0x32a5705f, v10
	v_add_f32_e32 v11, v35, v11
	v_cvt_i32_f32_e32 v34, v34
	v_exp_f32_e32 v11, v11
	v_cmp_ngt_f32_e32 vcc, s42, v10
	v_ldexp_f32 v11, v11, v34
	s_nop 0
	v_cndmask_b32_e32 v11, 0, v11, vcc
	v_cmp_nlt_f32_e32 vcc, s43, v10
	s_nop 1
	v_cndmask_b32_e32 v10, v9, v11, vcc
	v_add_f32_e32 v10, 1.0, v10
	v_rcp_f32_e32 v10, v10
	s_nop 0
	v_fma_f32 v10, v10, -2.0, 1.0
	s_andn2_saveexec_b64 s[6:7], s[6:7]
	s_cbranch_execz .LBB73_10
.LBB73_13:                              ;   in Loop: Header=BB73_8 Depth=1
	v_mul_f32_e32 v10, v69, v69
	v_fmamk_f32 v11, v10, 0xbbbac73d, v66
	v_fmaak_f32 v11, v10, v11, 0xbd5c1c4e
	v_fmaak_f32 v11, v10, v11, 0x3e088382
	v_fmaak_f32 v11, v10, v11, 0xbeaaaa99
	v_mul_f32_e64 v11, |v69|, v11
	v_fma_f32 v10, v10, v11, |v69|
	s_or_b64 exec, exec, s[6:7]
	s_andn2_b64 vcc, exec, s[12:13]
	s_cbranch_vccz .LBB73_11
.LBB73_14:                              ;   in Loop: Header=BB73_8 Depth=1
	v_mov_b32_e32 v11, 0
.LBB73_15:                              ;   in Loop: Header=BB73_8 Depth=1
	v_and_b32_e32 v34, 0x60, v67
	v_bfi_b32 v10, s44, v10, v69
	v_add_u32_e32 v34, 32, v34
	v_xor_b32_e32 v35, 16, v67
	v_cmp_lt_i32_e32 vcc, v35, v34
	v_fmac_f32_e32 v11, s15, v10
	v_add_f32_e32 v10, 0x40051340, v11
	v_cndmask_b32_e32 v35, v67, v35, vcc
	v_max_f32_e32 v36, v68, v68
	v_lshlrev_b32_e32 v35, 2, v35
	v_max_f32_e32 v10, v36, v10
	ds_bpermute_b32 v35, v35, v10
	v_xor_b32_e32 v36, 8, v67
	v_cmp_lt_i32_e32 vcc, v36, v34
	s_waitcnt lgkmcnt(0)
	v_max_f32_e32 v35, v35, v35
	v_cndmask_b32_e32 v36, v67, v36, vcc
	v_lshlrev_b32_e32 v36, 2, v36
	v_max_f32_e32 v10, v10, v35
	ds_bpermute_b32 v35, v36, v10
	v_xor_b32_e32 v36, 4, v67
	v_cmp_lt_i32_e32 vcc, v36, v34
	s_waitcnt lgkmcnt(0)
	v_max_f32_e32 v35, v35, v35
	v_cndmask_b32_e32 v36, v67, v36, vcc
	;; [unrolled: 8-line block ×3, first 2 shown]
	v_lshlrev_b32_e32 v36, 2, v36
	v_max_f32_e32 v35, v10, v35
	ds_bpermute_b32 v36, v36, v35
	v_xor_b32_e32 v10, 1, v67
	v_cmp_lt_i32_e32 vcc, v10, v34
	s_nop 1
	v_cndmask_b32_e32 v34, v67, v10, vcc
	v_lshlrev_b32_e32 v37, 2, v34
	s_waitcnt lgkmcnt(0)
	v_max_f32_e32 v34, v36, v36
	v_max_f32_e32 v34, v35, v34
	ds_bpermute_b32 v35, v37, v34
	s_and_saveexec_b64 s[6:7], s[4:5]
	s_cbranch_execz .LBB73_17
; %bb.16:                               ;   in Loop: Header=BB73_8 Depth=1
	s_waitcnt lgkmcnt(0)
	v_max_f32_e32 v35, v35, v35
	v_max_f32_e32 v34, v34, v34
	;; [unrolled: 1-line block ×3, first 2 shown]
	ds_write_b32 v23, v34
.LBB73_17:                              ;   in Loop: Header=BB73_8 Depth=1
	s_or_b64 exec, exec, s[6:7]
	s_mul_hi_i32 s7, s25, s2
	s_mul_i32 s6, s25, s2
	s_lshl_b64 s[6:7], s[6:7], 2
	s_add_u32 s6, s14, s6
	s_addc_u32 s7, s24, s7
	s_waitcnt lgkmcnt(0)
	v_lshl_add_u64 v[34:35], s[6:7], 0, v[26:27]
	v_lshl_add_u64 v[38:39], v[34:35], 0, v[6:7]
	;; [unrolled: 1-line block ×3, first 2 shown]
	s_barrier
	v_lshl_add_u64 v[74:75], v[34:35], 0, v[6:7]
	global_load_dwordx4 v[34:37], v[38:39], off
	global_load_dwordx4 v[70:73], v[74:75], off
	v_lshl_add_u64 v[38:39], s[6:7], 0, v[30:31]
	v_lshl_add_u64 v[38:39], v[38:39], 0, v[6:7]
	;; [unrolled: 1-line block ×4, first 2 shown]
	global_load_dwordx4 v[74:77], v[38:39], off
	global_load_dwordx4 v[78:81], v[82:83], off
	ds_read_b32 v38, v58
	v_and_b32_e32 v39, 0x7e, v67
	v_add_u32_e32 v39, 2, v39
	v_cmp_lt_i32_e32 vcc, v10, v39
	v_add_u32_e32 v111, 0x800, v65
	v_add_u32_e32 v112, 0x1000, v65
	v_cndmask_b32_e32 v10, v67, v10, vcc
	v_lshlrev_b32_e32 v10, 2, v10
	s_waitcnt lgkmcnt(0)
	ds_bpermute_b32 v10, v10, v38
	v_max_f32_e32 v38, v38, v38
	v_add_u32_e32 v113, 0x1800, v65
	v_add_u32_e32 v118, 0x2000, v65
	;; [unrolled: 1-line block ×3, first 2 shown]
	s_waitcnt lgkmcnt(0)
	v_max_f32_e32 v10, v10, v10
	v_max_f32_e32 v10, v38, v10
	v_sub_f32_e32 v11, v11, v10
	v_mul_f32_e32 v39, 0x3fb8aa3b, v11
	v_sub_f32_e32 v38, v68, v10
	v_fma_f32 v69, v11, s41, -v39
	v_rndne_f32_e32 v82, v39
	v_mul_f32_e32 v68, 0x3fb8aa3b, v38
	v_fmac_f32_e32 v69, 0x32a5705f, v11
	v_sub_f32_e32 v39, v39, v82
	v_fma_f32 v83, v38, s41, -v68
	v_rndne_f32_e32 v84, v68
	v_add_f32_e32 v39, v39, v69
	v_cvt_i32_f32_e32 v82, v82
	v_fmac_f32_e32 v83, 0x32a5705f, v38
	v_sub_f32_e32 v68, v68, v84
	v_exp_f32_e32 v39, v39
	v_add_f32_e32 v68, v68, v83
	v_cvt_i32_f32_e32 v84, v84
	v_exp_f32_e32 v68, v68
	v_cmp_ngt_f32_e32 vcc, s42, v11
	v_cmp_nlt_f32_e64 s[8:9], s43, v11
	v_ldexp_f32 v11, v39, v82
	v_cndmask_b32_e32 v11, 0, v11, vcc
	v_cmp_ngt_f32_e64 s[6:7], s42, v38
	v_cmp_nlt_f32_e64 s[10:11], s43, v38
	v_ldexp_f32 v38, v68, v84
	v_cndmask_b32_e64 v11, v9, v11, s[8:9]
	v_cndmask_b32_e64 v38, 0, v38, s[6:7]
	v_cvt_f16_f32_e32 v39, v11
	v_cndmask_b32_e64 v102, v9, v38, s[10:11]
	v_cvt_f16_f32_e32 v38, v102
	s_or_b32 s6, s25, 32
	ds_write_b16 v59, v39
	s_mul_hi_i32 s7, s6, s2
	v_mul_u32_u24_e32 v38, 0x10001, v38
	v_pk_mul_f16 v2, v2, v38
	v_pk_mul_f16 v3, v3, v38
	s_mul_i32 s6, s6, s2
	s_lshl_b64 s[6:7], s[6:7], 2
	s_add_u32 s6, s14, s6
	s_addc_u32 s7, s24, s7
	v_add_u32_e32 v120, 0x3000, v65
	v_add_u32_e32 v121, 0x3800, v65
	v_lshl_add_u64 v[92:93], s[6:7], 0, v[28:29]
	v_lshl_add_u64 v[100:101], v[92:93], 0, v[6:7]
	v_fma_f32 v5, v5, v102, v11
	s_waitcnt vmcnt(3)
	ds_write_b128 v60, v[34:37]
	s_waitcnt vmcnt(2)
	ds_write_b128 v61, v[70:73]
	;; [unrolled: 2-line block ×4, first 2 shown]
	s_waitcnt lgkmcnt(0)
	s_barrier
	ds_read2_b64 v[34:37], v65 offset1:32
	ds_read_u16 v39, v64
	ds_read_u16 v72, v64 offset:4
	ds_read_u16 v73, v64 offset:8
	;; [unrolled: 1-line block ×15, first 2 shown]
	ds_read2_b64 v[68:71], v65 offset0:128 offset1:160
	s_waitcnt lgkmcnt(14)
	v_mul_u32_u24_e32 v39, 0x10001, v39
	v_pk_mul_f16 v34, v34, v39
	v_pk_mul_f16 v35, v35, v39
	v_pk_fma_f16 v0, v0, v38, v34
	v_pk_fma_f16 v34, v1, v38, v35
	;; [unrolled: 1-line block ×4, first 2 shown]
	v_mul_u32_u24_e32 v37, 0x10001, v72
	s_waitcnt lgkmcnt(0)
	v_pk_fma_f16 v38, v68, v37, v0
	ds_read2_b64 v[0:3], v111 offset1:32
	v_pk_fma_f16 v39, v69, v37, v34
	v_pk_fma_f16 v68, v70, v37, v35
	;; [unrolled: 1-line block ×3, first 2 shown]
	ds_read2_b64 v[34:37], v111 offset0:128 offset1:160
	v_mul_u32_u24_e32 v70, 0x10001, v73
	s_waitcnt lgkmcnt(1)
	v_pk_fma_f16 v0, v0, v70, v38
	v_pk_fma_f16 v38, v1, v70, v39
	;; [unrolled: 1-line block ×4, first 2 shown]
	v_mul_u32_u24_e32 v69, 0x10001, v74
	s_waitcnt lgkmcnt(0)
	v_pk_fma_f16 v34, v34, v69, v0
	ds_read2_b64 v[0:3], v112 offset1:32
	v_pk_fma_f16 v38, v35, v69, v38
	v_pk_fma_f16 v39, v36, v69, v39
	;; [unrolled: 1-line block ×3, first 2 shown]
	v_mul_u32_u24_e32 v69, 0x10001, v75
	s_waitcnt lgkmcnt(0)
	v_pk_fma_f16 v0, v0, v69, v34
	ds_read2_b64 v[34:37], v112 offset0:128 offset1:160
	v_pk_fma_f16 v38, v1, v69, v38
	v_pk_fma_f16 v39, v2, v69, v39
	;; [unrolled: 1-line block ×3, first 2 shown]
	v_mul_u32_u24_e32 v69, 0x10001, v76
	s_waitcnt lgkmcnt(0)
	v_pk_fma_f16 v34, v34, v69, v0
	ds_read2_b64 v[0:3], v113 offset1:32
	v_pk_fma_f16 v38, v35, v69, v38
	v_pk_fma_f16 v39, v36, v69, v39
	;; [unrolled: 1-line block ×3, first 2 shown]
	v_mul_u32_u24_e32 v69, 0x10001, v77
	s_waitcnt lgkmcnt(0)
	v_pk_fma_f16 v0, v0, v69, v34
	ds_read2_b64 v[34:37], v113 offset0:128 offset1:160
	v_pk_fma_f16 v1, v1, v69, v38
	v_pk_fma_f16 v2, v2, v69, v39
	v_pk_fma_f16 v3, v3, v69, v68
	v_mul_u32_u24_e32 v38, 0x10001, v78
	s_waitcnt lgkmcnt(0)
	v_pk_fma_f16 v114, v34, v38, v0
	v_pk_fma_f16 v115, v35, v38, v1
	;; [unrolled: 1-line block ×4, first 2 shown]
	ds_read2_b64 v[0:3], v118 offset1:32
	ds_read2_b64 v[34:37], v118 offset0:128 offset1:160
	v_lshl_add_u64 v[38:39], s[6:7], 0, v[26:27]
	v_lshl_add_u64 v[38:39], v[38:39], 0, v[6:7]
	ds_read2_b64 v[68:71], v119 offset1:32
	ds_read2_b64 v[72:75], v119 offset0:128 offset1:160
	ds_read2_b64 v[76:79], v120 offset1:32
	ds_read2_b64 v[80:83], v120 offset0:128 offset1:160
	;; [unrolled: 2-line block ×3, first 2 shown]
	s_waitcnt lgkmcnt(0)
	s_barrier
	global_load_dwordx4 v[92:95], v[38:39], off
	global_load_dwordx4 v[96:99], v[100:101], off
	v_mul_u32_u24_e32 v38, 0x10001, v103
	v_pk_fma_f16 v103, v0, v38, v114
	v_pk_fma_f16 v114, v1, v38, v115
	v_lshl_add_u64 v[0:1], s[6:7], 0, v[30:31]
	v_pk_fma_f16 v2, v2, v38, v116
	v_pk_fma_f16 v3, v3, v38, v117
	v_lshl_add_u64 v[38:39], v[0:1], 0, v[6:7]
	v_lshl_add_u64 v[0:1], s[6:7], 0, v[32:33]
	;; [unrolled: 1-line block ×3, first 2 shown]
	v_mul_u32_u24_e32 v0, 0x10001, v104
	v_pk_fma_f16 v103, v34, v0, v103
	v_pk_fma_f16 v104, v35, v0, v114
	;; [unrolled: 1-line block ×4, first 2 shown]
	global_load_dwordx4 v[0:3], v[38:39], off
	global_load_dwordx4 v[34:37], v[100:101], off
	v_mul_u32_u24_e32 v11, 0x10001, v105
	v_pk_fma_f16 v38, v68, v11, v103
	v_pk_fma_f16 v39, v69, v11, v104
	v_pk_fma_f16 v68, v70, v11, v114
	v_pk_fma_f16 v11, v71, v11, v115
	v_mul_u32_u24_e32 v69, 0x10001, v106
	v_pk_fma_f16 v38, v72, v69, v38
	v_pk_fma_f16 v39, v73, v69, v39
	v_pk_fma_f16 v68, v74, v69, v68
	v_pk_fma_f16 v11, v75, v69, v11
	;; [unrolled: 5-line block ×6, first 2 shown]
	s_waitcnt vmcnt(3)
	ds_write_b128 v60, v[92:95]
	s_waitcnt vmcnt(2)
	ds_write_b128 v61, v[96:99]
	;; [unrolled: 2-line block ×4, first 2 shown]
	s_waitcnt lgkmcnt(0)
	s_barrier
	ds_read2_b64 v[0:3], v65 offset1:32
	ds_read_u16 v34, v64 offset:64
	ds_read_u16 v69, v64 offset:68
	;; [unrolled: 1-line block ×16, first 2 shown]
	s_waitcnt lgkmcnt(14)
	v_mul_u32_u24_e32 v84, 0x10001, v34
	ds_read2_b64 v[34:37], v65 offset0:128 offset1:160
	v_pk_fma_f16 v0, v0, v84, v38
	v_pk_fma_f16 v38, v1, v84, v39
	;; [unrolled: 1-line block ×3, first 2 shown]
	v_mul_u32_u24_e32 v68, 0x10001, v69
	v_pk_fma_f16 v11, v3, v84, v11
	s_waitcnt lgkmcnt(0)
	v_pk_fma_f16 v34, v34, v68, v0
	ds_read2_b64 v[0:3], v111 offset1:32
	v_pk_fma_f16 v38, v35, v68, v38
	v_pk_fma_f16 v39, v36, v68, v39
	v_pk_fma_f16 v11, v37, v68, v11
	v_mul_u32_u24_e32 v68, 0x10001, v70
	s_waitcnt lgkmcnt(0)
	v_pk_fma_f16 v0, v0, v68, v34
	ds_read2_b64 v[34:37], v111 offset0:128 offset1:160
	v_pk_fma_f16 v38, v1, v68, v38
	v_pk_fma_f16 v39, v2, v68, v39
	v_pk_fma_f16 v11, v3, v68, v11
	v_mul_u32_u24_e32 v68, 0x10001, v71
	s_waitcnt lgkmcnt(0)
	v_pk_fma_f16 v34, v34, v68, v0
	ds_read2_b64 v[0:3], v112 offset1:32
	v_pk_fma_f16 v38, v35, v68, v38
	v_pk_fma_f16 v39, v36, v68, v39
	v_pk_fma_f16 v11, v37, v68, v11
	v_mul_u32_u24_e32 v68, 0x10001, v72
	s_waitcnt lgkmcnt(0)
	v_pk_fma_f16 v0, v0, v68, v34
	ds_read2_b64 v[34:37], v112 offset0:128 offset1:160
	v_pk_fma_f16 v38, v1, v68, v38
	v_pk_fma_f16 v39, v2, v68, v39
	v_pk_fma_f16 v11, v3, v68, v11
	v_mul_u32_u24_e32 v68, 0x10001, v73
	;; [unrolled: 14-line block ×6, first 2 shown]
	s_waitcnt lgkmcnt(0)
	v_pk_fma_f16 v34, v34, v68, v0
	ds_read2_b64 v[0:3], v121 offset1:32
	v_pk_fma_f16 v35, v35, v68, v38
	v_pk_fma_f16 v36, v36, v68, v39
	;; [unrolled: 1-line block ×3, first 2 shown]
	v_mul_u32_u24_e32 v37, 0x10001, v82
	s_waitcnt lgkmcnt(0)
	v_pk_fma_f16 v34, v0, v37, v34
	v_pk_fma_f16 v35, v1, v37, v35
	;; [unrolled: 1-line block ×4, first 2 shown]
	ds_read2_b64 v[0:3], v121 offset0:128 offset1:160
	s_waitcnt lgkmcnt(0)
	s_barrier
	s_load_dword s6, s[18:19], 0x4
	v_mul_u32_u24_e32 v37, 0x10001, v83
	v_pk_fma_f16 v0, v0, v37, v34
	v_pk_fma_f16 v1, v1, v37, v35
	;; [unrolled: 1-line block ×3, first 2 shown]
	s_waitcnt lgkmcnt(0)
	s_lshl_b32 s6, s6, 6
	s_add_i32 s25, s6, s25
	s_cmp_lt_i32 s25, s39
	v_pk_fma_f16 v3, v3, v37, v11
	s_cbranch_scc0 .LBB73_20
; %bb.18:                               ;   in Loop: Header=BB73_8 Depth=1
	v_mov_b32_e32 v68, v10
	s_branch .LBB73_8
.LBB73_19:
	v_mov_b32_e32 v3, 0
	v_mov_b32_e32 v10, 0xfeffffff
	;; [unrolled: 1-line block ×5, first 2 shown]
.LBB73_20:
	s_cmp_gt_i32 s38, s25
	s_cbranch_scc1 .LBB73_23
; %bb.21:
	v_mbcnt_hi_u32_b32 v14, -1, v50
	v_and_b32_e32 v7, 0x60, v14
	v_add_u32_e32 v15, 32, v7
	v_xor_b32_e32 v16, 16, v14
	v_xor_b32_e32 v17, 8, v14
	;; [unrolled: 1-line block ×5, first 2 shown]
	v_and_b32_e32 v7, 1, v43
	s_cbranch_execz .LBB73_24
; %bb.22:
	v_mov_b32_e32 v44, v7
	s_branch .LBB73_36
.LBB73_23:
                                        ; implicit-def: $vgpr14
                                        ; implicit-def: $vgpr15
                                        ; implicit-def: $vgpr16
                                        ; implicit-def: $vgpr17
                                        ; implicit-def: $vgpr18
                                        ; implicit-def: $vgpr19
                                        ; implicit-def: $vgpr20
                                        ; implicit-def: $vgpr7
.LBB73_24:
	s_mul_hi_i32 s7, s25, s29
	s_mul_i32 s6, s25, s29
	s_sub_i32 s10, s38, s25
	s_lshl_b64 s[6:7], s[6:7], 2
	v_lshl_add_u32 v7, v43, 1, v13
	s_add_u32 s6, s30, s6
	v_mul_lo_u32 v16, s29, v7
	s_addc_u32 s7, s31, s7
	v_ashrrev_i32_e32 v17, 31, v16
	s_mov_b32 s40, 0
	s_mov_b64 s[4:5], src_private_base
	v_lshlrev_b32_e32 v12, 2, v12
	v_mov_b32_e32 v13, 0
	s_mov_b32 s41, s40
	s_mov_b32 s42, s40
	v_mov_b32_e32 v24, s40
	v_lshl_add_u64 v[14:15], v[16:17], 2, s[6:7]
	v_mov_b32_e32 v25, s41
	v_mov_b32_e32 v26, s42
	v_lshl_add_u64 v[14:15], v[14:15], 0, v[12:13]
	v_mov_b32_e32 v27, s5
	v_cmp_gt_i32_e32 vcc, s10, v7
	v_mov_b32_e32 v36, 0
	scratch_store_dword off, v13, off
	scratch_store_dwordx3 off, v[24:26], off offset:4
	v_cndmask_b32_e32 v19, v27, v15, vcc
	v_cndmask_b32_e32 v18, v36, v14, vcc
	flat_load_dwordx4 v[18:21], v[18:19]
	s_lshl_b32 s11, s29, 4
	v_add_u32_e32 v28, s11, v16
	v_ashrrev_i32_e32 v29, 31, v28
	s_movk_i32 s4, 0x110
	v_add_u32_e32 v9, 16, v7
	v_lshl_add_u64 v[16:17], v[28:29], 2, s[6:7]
	v_mad_u32_u24 v37, v7, s4, v12
	v_lshl_add_u64 v[16:17], v[16:17], 0, v[12:13]
	v_cmp_gt_i32_e64 s[8:9], s10, v9
	scratch_store_dword off, v13, off
	scratch_store_dwordx3 off, v[24:26], off offset:4
	v_cndmask_b32_e64 v23, v27, v17, s[8:9]
	v_cndmask_b32_e64 v22, v36, v16, s[8:9]
	v_add_u32_e32 v32, s11, v28
	v_ashrrev_i32_e32 v33, 31, v32
	v_add_u32_e32 v9, 32, v7
	v_cmp_gt_i32_e64 s[4:5], s10, v9
	v_add_u32_e32 v7, 48, v7
	v_and_b32_e32 v11, 0xff80, v51
	s_mov_b64 s[12:13], 0x100
	v_lshl_add_u64 v[14:15], v[14:15], 0, s[12:13]
	v_cndmask_b32_e32 v15, v27, v15, vcc
	v_cndmask_b32_e32 v14, v36, v14, vcc
	s_waitcnt vmcnt(0) lgkmcnt(0)
	ds_write_b128 v37, v[18:21]
	flat_load_dwordx4 v[20:23], v[22:23]
	v_lshl_add_u64 v[18:19], v[32:33], 2, s[6:7]
	v_lshl_add_u64 v[18:19], v[18:19], 0, v[12:13]
	v_cndmask_b32_e64 v29, v27, v19, s[4:5]
	v_cndmask_b32_e64 v28, v36, v18, s[4:5]
	scratch_store_dword off, v13, off
	scratch_store_dwordx3 off, v[24:26], off offset:4
	v_lshl_add_u64 v[18:19], v[18:19], 0, s[12:13]
	v_cndmask_b32_e64 v19, v27, v19, s[4:5]
	v_cndmask_b32_e64 v18, v36, v18, s[4:5]
	s_mov_b32 s4, 0x3f200000
	s_waitcnt vmcnt(0) lgkmcnt(0)
	ds_write_b128 v37, v[20:23] offset:4352
	flat_load_dwordx4 v[28:31], v[28:29]
	v_add_u32_e32 v20, s11, v32
	v_ashrrev_i32_e32 v21, 31, v20
	v_lshl_add_u64 v[20:21], v[20:21], 2, s[6:7]
	v_lshl_add_u64 v[20:21], v[20:21], 0, v[12:13]
	v_cmp_gt_i32_e64 s[6:7], s10, v7
	scratch_store_dword off, v13, off
	scratch_store_dwordx3 off, v[24:26], off offset:4
	v_cndmask_b32_e64 v23, v27, v21, s[6:7]
	v_cndmask_b32_e64 v22, v36, v20, s[6:7]
	v_and_b32_e32 v7, 32, v48
	v_add_u32_e32 v9, v7, v41
	v_lshlrev_b32_e32 v12, 2, v11
	v_mov_b32_e32 v11, v13
	s_waitcnt vmcnt(0) lgkmcnt(0)
	ds_write_b128 v37, v[28:31] offset:8704
	flat_load_dwordx4 v[28:31], v[22:23]
	v_mul_u32_u24_e32 v22, 0x110, v9
	s_waitcnt vmcnt(0) lgkmcnt(0)
	ds_write_b128 v37, v[28:31] offset:13056
	s_waitcnt lgkmcnt(0)
	s_barrier
	ds_read_b128 v[28:31], v22
	ds_read_b128 v[32:35], v12 offset:17408
	s_waitcnt lgkmcnt(0)
	;;#ASMSTART
	v_dot2_f32_f16 v11, v28, v32, v11
	;;#ASMEND
	s_nop 0
	;;#ASMSTART
	v_dot2_f32_f16 v11, v29, v33, v11
	;;#ASMEND
	s_nop 0
	;;#ASMSTART
	v_dot2_f32_f16 v11, v30, v34, v11
	;;#ASMEND
	s_nop 0
	;;#ASMSTART
	v_dot2_f32_f16 v11, v31, v35, v11
	;;#ASMEND
	ds_read_b128 v[28:31], v22 offset:16
	ds_read_b128 v[32:35], v12 offset:17424
	s_waitcnt lgkmcnt(0)
	;;#ASMSTART
	v_dot2_f32_f16 v11, v28, v32, v11
	;;#ASMEND
	s_nop 0
	;;#ASMSTART
	v_dot2_f32_f16 v11, v29, v33, v11
	;;#ASMEND
	s_nop 0
	;;#ASMSTART
	v_dot2_f32_f16 v11, v30, v34, v11
	;;#ASMEND
	s_nop 0
	;;#ASMSTART
	v_dot2_f32_f16 v11, v31, v35, v11
	;;#ASMEND
	ds_read_b128 v[28:31], v22 offset:32
	;; [unrolled: 18-line block ×15, first 2 shown]
	ds_read_b128 v[32:35], v12 offset:17648
	s_waitcnt lgkmcnt(0)
	;;#ASMSTART
	v_dot2_f32_f16 v11, v28, v32, v11
	;;#ASMEND
	s_nop 0
	;;#ASMSTART
	v_dot2_f32_f16 v11, v29, v33, v11
	;;#ASMEND
	s_nop 0
	;; [unrolled: 4-line block ×3, first 2 shown]
	;;#ASMSTART
	v_dot2_f32_f16 v11, v31, v35, v11
	;;#ASMEND
	s_barrier
	scratch_store_dword off, v13, off
	scratch_store_dwordx3 off, v[24:26], off offset:4
	flat_load_dwordx4 v[28:31], v[14:15]
	v_lshl_add_u64 v[14:15], v[16:17], 0, s[12:13]
	v_cndmask_b32_e64 v15, v27, v15, s[8:9]
	v_cndmask_b32_e64 v14, v36, v14, s[8:9]
	scratch_store_dword off, v13, off
	scratch_store_dwordx3 off, v[24:26], off offset:4
	s_waitcnt vmcnt(0) lgkmcnt(0)
	ds_write_b128 v37, v[28:31]
	flat_load_dwordx4 v[14:17], v[14:15]
	s_nop 0
	scratch_store_dword off, v13, off
	scratch_store_dwordx3 off, v[24:26], off offset:4
	s_waitcnt vmcnt(0) lgkmcnt(0)
	ds_write_b128 v37, v[14:17] offset:4352
	flat_load_dwordx4 v[14:17], v[18:19]
	v_lshl_add_u64 v[18:19], v[20:21], 0, s[12:13]
	v_cndmask_b32_e64 v19, v27, v19, s[6:7]
	v_cndmask_b32_e64 v18, v36, v18, s[6:7]
	scratch_store_dword off, v13, off
	scratch_store_dwordx3 off, v[24:26], off offset:4
	s_waitcnt vmcnt(0) lgkmcnt(0)
	ds_write_b128 v37, v[14:17] offset:8704
	flat_load_dwordx4 v[14:17], v[18:19]
	s_waitcnt vmcnt(0) lgkmcnt(0)
	ds_write_b128 v37, v[14:17] offset:13056
	s_waitcnt lgkmcnt(0)
	s_barrier
	ds_read_b128 v[14:17], v22
	ds_read_b128 v[18:21], v12 offset:17664
	s_waitcnt lgkmcnt(0)
	;;#ASMSTART
	v_dot2_f32_f16 v11, v14, v18, v11
	;;#ASMEND
	s_nop 0
	;;#ASMSTART
	v_dot2_f32_f16 v11, v15, v19, v11
	;;#ASMEND
	s_nop 0
	;;#ASMSTART
	v_dot2_f32_f16 v11, v16, v20, v11
	;;#ASMEND
	s_nop 0
	;;#ASMSTART
	v_dot2_f32_f16 v11, v17, v21, v11
	;;#ASMEND
	ds_read_b128 v[14:17], v22 offset:16
	ds_read_b128 v[18:21], v12 offset:17680
	s_waitcnt lgkmcnt(0)
	;;#ASMSTART
	v_dot2_f32_f16 v11, v14, v18, v11
	;;#ASMEND
	s_nop 0
	;;#ASMSTART
	v_dot2_f32_f16 v11, v15, v19, v11
	;;#ASMEND
	s_nop 0
	;;#ASMSTART
	v_dot2_f32_f16 v11, v16, v20, v11
	;;#ASMEND
	s_nop 0
	;;#ASMSTART
	v_dot2_f32_f16 v11, v17, v21, v11
	;;#ASMEND
	ds_read_b128 v[14:17], v22 offset:32
	;; [unrolled: 18-line block ×15, first 2 shown]
	ds_read_b128 v[18:21], v12 offset:17904
	s_waitcnt lgkmcnt(0)
	;;#ASMSTART
	v_dot2_f32_f16 v11, v14, v18, v11
	;;#ASMEND
	s_nop 0
	;;#ASMSTART
	v_dot2_f32_f16 v11, v15, v19, v11
	;;#ASMEND
                                        ; implicit-def: $vgpr12
	s_nop 0
	;;#ASMSTART
	v_dot2_f32_f16 v11, v16, v20, v11
	;;#ASMEND
	s_nop 0
	;;#ASMSTART
	v_dot2_f32_f16 v11, v17, v21, v11
	;;#ASMEND
	s_nop 0
	v_cmp_nlt_f32_e64 s[4:5], |v11|, s4
	s_and_saveexec_b64 s[6:7], s[4:5]
	s_xor_b64 s[4:5], exec, s[6:7]
	s_cbranch_execz .LBB73_26
; %bb.25:
	v_add_f32_e64 v12, |v11|, |v11|
	v_mul_f32_e32 v13, 0x3fb8aa3b, v12
	s_mov_b32 s6, 0x3fb8aa3b
	v_rndne_f32_e32 v14, v13
	v_sub_f32_e32 v15, v13, v14
	v_fma_f32 v13, v12, s6, -v13
	v_fmamk_f32 v13, v12, 0x32a5705f, v13
	v_add_f32_e32 v13, v15, v13
	v_exp_f32_e32 v13, v13
	v_cvt_i32_f32_e32 v14, v14
	s_mov_b32 s6, 0xc2ce8ed0
	v_cmp_ngt_f32_e32 vcc, s6, v12
	s_mov_b32 s6, 0x42b17218
	v_ldexp_f32 v13, v13, v14
	v_cndmask_b32_e32 v13, 0, v13, vcc
	v_mov_b32_e32 v14, 0x7f800000
	v_cmp_nlt_f32_e32 vcc, s6, v12
	s_nop 1
	v_cndmask_b32_e32 v12, v14, v13, vcc
	v_add_f32_e32 v12, 1.0, v12
	v_rcp_f32_e32 v12, v12
	s_nop 0
	v_fma_f32 v12, v12, -2.0, 1.0
.LBB73_26:
	s_andn2_saveexec_b64 s[4:5], s[4:5]
; %bb.27:
	v_mul_f32_e32 v12, v11, v11
	v_mov_b32_e32 v13, 0x3ca908c9
	v_fmac_f32_e32 v13, 0xbbbac73d, v12
	v_fmaak_f32 v13, v12, v13, 0xbd5c1c4e
	v_fmaak_f32 v13, v12, v13, 0x3e088382
	;; [unrolled: 1-line block ×3, first 2 shown]
	v_mul_f32_e64 v13, |v11|, v13
	v_fma_f32 v12, v12, v13, |v11|
; %bb.28:
	s_or_b64 exec, exec, s[4:5]
	s_brev_b32 s4, -2
	v_bfi_b32 v11, s4, v12, v11
	v_cmp_gt_i32_e32 vcc, s10, v9
	v_mul_f32_e32 v11, s15, v11
	v_mov_b32_e32 v12, v10
	s_and_saveexec_b64 s[4:5], vcc
	s_cbranch_execz .LBB73_33
; %bb.29:
	s_cmp_eq_u64 s[36:37], 0
	s_cbranch_scc1 .LBB73_31
; %bb.30:
	v_mul_lo_u32 v12, v47, s28
	v_add3_u32 v12, v12, v9, s25
	v_ashrrev_i32_e32 v13, 31, v12
	v_lshl_add_u64 v[12:13], v[12:13], 1, s[36:37]
	global_load_ushort v12, v[12:13], off
	s_waitcnt vmcnt(0)
	v_cvt_f32_f16_e32 v12, v12
	v_mul_f32_e32 v12, v46, v12
	s_branch .LBB73_32
.LBB73_31:
	v_mov_b32_e32 v12, 0
.LBB73_32:
	v_add_f32_e32 v11, v11, v12
	v_add_f32_e32 v12, 0x40051340, v11
	v_max_f32_e32 v13, v10, v10
	v_max_f32_e32 v12, v13, v12
.LBB73_33:
	s_or_b64 exec, exec, s[4:5]
	v_mbcnt_hi_u32_b32 v14, -1, v50
	v_and_b32_e32 v13, 0x60, v14
	v_add_u32_e32 v15, 32, v13
	v_xor_b32_e32 v16, 16, v14
	v_cmp_lt_i32_e32 vcc, v16, v15
	v_xor_b32_e32 v17, 8, v14
	s_nop 0
	v_cndmask_b32_e32 v13, v14, v16, vcc
	v_lshlrev_b32_e32 v13, 2, v13
	ds_bpermute_b32 v13, v13, v12
	v_cmp_lt_i32_e32 vcc, v17, v15
	v_max_f32_e32 v12, v12, v12
	s_waitcnt lgkmcnt(0)
	v_max_f32_e32 v13, v13, v13
	v_cndmask_b32_e32 v18, v14, v17, vcc
	v_lshlrev_b32_e32 v18, 2, v18
	v_max_f32_e32 v12, v12, v13
	ds_bpermute_b32 v13, v18, v12
	v_xor_b32_e32 v18, 4, v14
	v_cmp_lt_i32_e32 vcc, v18, v15
	s_waitcnt lgkmcnt(0)
	v_max_f32_e32 v13, v13, v13
	v_cndmask_b32_e32 v19, v14, v18, vcc
	v_lshlrev_b32_e32 v19, 2, v19
	v_max_f32_e32 v12, v12, v13
	ds_bpermute_b32 v13, v19, v12
	v_xor_b32_e32 v19, 2, v14
	v_cmp_lt_i32_e32 vcc, v19, v15
	;; [unrolled: 8-line block ×3, first 2 shown]
	s_waitcnt lgkmcnt(0)
	v_max_f32_e32 v13, v13, v13
	v_cndmask_b32_e32 v21, v14, v20, vcc
	v_lshlrev_b32_e32 v21, 2, v21
	v_max_f32_e32 v12, v12, v13
	ds_bpermute_b32 v13, v21, v12
	v_cmp_eq_u32_e32 vcc, 0, v41
	s_and_saveexec_b64 s[4:5], vcc
	s_cbranch_execz .LBB73_35
; %bb.34:
	s_waitcnt lgkmcnt(0)
	v_max_f32_e32 v13, v13, v13
	v_max_f32_e32 v12, v12, v12
	v_lshlrev_b32_e32 v21, 2, v43
	v_max_f32_e32 v12, v12, v13
	ds_write_b32 v21, v12 offset:20000
.LBB73_35:
	s_or_b64 exec, exec, s[4:5]
	s_movk_i32 s4, 0x3fe
	v_and_or_b32 v12, v43, s4, v49
	v_lshlrev_b32_e32 v12, 2, v12
	s_waitcnt lgkmcnt(0)
	s_barrier
	ds_read_b32 v12, v12 offset:20000
	v_and_b32_e32 v13, 0x7e, v14
	v_add_u32_e32 v13, 2, v13
	v_cmp_lt_i32_e32 vcc, v20, v13
	s_mov_b32 s6, 0x3fb8aa3b
	s_mov_b32 s7, 0xc2ce8ed0
	v_cndmask_b32_e32 v13, v14, v20, vcc
	v_lshlrev_b32_e32 v13, 2, v13
	s_waitcnt lgkmcnt(0)
	ds_bpermute_b32 v13, v13, v12
	v_max_f32_e32 v12, v12, v12
	v_cmp_gt_u32_e32 vcc, s10, v9
	s_mov_b32 s8, 0x42b17218
	s_mov_b32 s28, 0
	s_waitcnt lgkmcnt(0)
	v_max_f32_e32 v13, v13, v13
	v_max_f32_e32 v21, v12, v13
	v_sub_f32_e32 v9, v11, v21
	v_mul_f32_e32 v11, 0x3fb8aa3b, v9
	v_fma_f32 v12, v9, s6, -v11
	v_rndne_f32_e32 v13, v11
	v_fmac_f32_e32 v12, 0x32a5705f, v9
	v_sub_f32_e32 v11, v11, v13
	v_add_f32_e32 v11, v11, v12
	v_exp_f32_e32 v11, v11
	v_cvt_i32_f32_e32 v12, v13
	v_mov_b32_e32 v13, 0x4c00
	v_sub_f32_e32 v10, v10, v21
	v_cmp_ngt_f32_e64 s[4:5], s7, v9
	v_ldexp_f32 v11, v11, v12
	v_and_b32_e32 v12, 0x7fc0, v48
	v_lshl_add_u32 v12, v12, 1, v13
	v_mul_f32_e32 v13, 0x3fb8aa3b, v10
	v_fma_f32 v22, v10, s6, -v13
	v_rndne_f32_e32 v23, v13
	v_fmac_f32_e32 v22, 0x32a5705f, v10
	v_sub_f32_e32 v13, v13, v23
	v_add_f32_e32 v13, v13, v22
	v_exp_f32_e32 v13, v13
	v_cvt_i32_f32_e32 v22, v23
	v_cndmask_b32_e64 v11, 0, v11, s[4:5]
	v_cmp_nlt_f32_e64 s[4:5], s8, v9
	v_mov_b32_e32 v9, 0x7f800000
	v_ldexp_f32 v13, v13, v22
	v_cndmask_b32_e64 v11, v9, v11, s[4:5]
	v_cndmask_b32_e32 v11, 0, v11, vcc
	v_cmp_ngt_f32_e32 vcc, s7, v10
	s_mov_b64 s[4:5], src_private_base
	s_mul_hi_i32 s7, s25, s2
	v_cndmask_b32_e32 v13, 0, v13, vcc
	v_cmp_nlt_f32_e32 vcc, s8, v10
	s_mul_i32 s6, s25, s2
	s_lshl_b32 s4, s2, 3
	v_cndmask_b32_e32 v9, v9, v13, vcc
	v_fma_f32 v5, v5, v9, v11
	v_cvt_f16_f32_e32 v9, v9
	s_lshl_b64 s[6:7], s[6:7], 2
	v_lshl_or_b32 v7, v7, 1, v12
	s_add_u32 s6, s14, s6
	v_mul_u32_u24_e32 v32, 0x10001, v9
	v_pk_mul_f16 v38, v2, v32
	v_cvt_f16_f32_e32 v2, v11
	v_ashrrev_i32_e32 v9, 31, v8
	v_pk_mul_f16 v39, v3, v32
	v_lshl_add_u32 v3, v41, 1, v7
	v_lshl_or_b32 v22, v44, 1, v12
	s_addc_u32 s7, s24, s7
	s_mov_b32 s30, s28
	v_lshlrev_b64 v[12:13], 2, v[8:9]
	ds_write_b16 v3, v2
	v_add_u32_e32 v2, s4, v8
	v_mov_b32_e32 v7, 0
	s_mov_b32 s29, s28
	v_mov_b32_e32 v48, s30
	v_lshl_add_u64 v[8:9], s[6:7], 0, v[12:13]
	v_mov_b32_e32 v47, s29
	v_mov_b32_e32 v46, s28
	v_cmp_gt_i32_e32 vcc, s10, v43
	v_lshl_add_u64 v[8:9], v[8:9], 0, v[6:7]
	v_mov_b32_e32 v33, s5
	v_mov_b32_e32 v35, 0
	scratch_store_dword off, v7, off
	scratch_store_dwordx3 off, v[46:48], off offset:4
	v_cndmask_b32_e32 v9, v33, v9, vcc
	v_cndmask_b32_e32 v8, v35, v8, vcc
	flat_load_dwordx4 v[8:11], v[8:9]
	v_ashrrev_i32_e32 v3, 31, v2
	v_lshl_add_u32 v24, v43, 9, v6
	v_add_u32_e32 v26, s4, v2
	v_lshlrev_b64 v[2:3], 2, v[2:3]
	v_add_u32_e32 v37, 8, v43
	v_cmp_gt_i32_e32 vcc, s10, v37
	v_lshl_add_u32 v34, v37, 9, v6
	v_ashrrev_i32_e32 v27, 31, v26
	v_add_u32_e32 v36, 16, v43
	v_add_u32_e32 v30, s4, v26
	v_ashrrev_i32_e32 v31, 31, v30
	v_add_u32_e32 v29, 24, v43
	v_lshl_add_u32 v28, v36, 9, v6
	v_lshl_add_u32 v23, v29, 9, v6
	;; [unrolled: 1-line block ×3, first 2 shown]
	s_or_b32 s4, s25, 32
	s_mul_hi_i32 s5, s4, s2
	s_mul_i32 s4, s4, s2
	s_lshl_b64 s[4:5], s[4:5], 2
	s_add_u32 s4, s14, s4
	s_addc_u32 s5, s24, s5
	s_sub_i32 s2, s10, 32
	v_lshl_add_u64 v[12:13], s[4:5], 0, v[12:13]
	v_lshl_add_u64 v[12:13], v[12:13], 0, v[6:7]
	s_waitcnt vmcnt(0) lgkmcnt(0)
	ds_write_b128 v24, v[8:11]
	v_lshl_add_u64 v[8:9], s[6:7], 0, v[2:3]
	v_lshl_add_u64 v[8:9], v[8:9], 0, v[6:7]
	scratch_store_dword off, v7, off
	scratch_store_dwordx3 off, v[46:48], off offset:4
	v_cndmask_b32_e32 v9, v33, v9, vcc
	v_cndmask_b32_e32 v8, v35, v8, vcc
	flat_load_dwordx4 v[8:11], v[8:9]
	v_cmp_gt_i32_e32 vcc, s10, v36
	v_lshl_add_u64 v[2:3], s[4:5], 0, v[2:3]
	v_lshl_add_u64 v[2:3], v[2:3], 0, v[6:7]
	s_waitcnt vmcnt(0) lgkmcnt(0)
	ds_write_b128 v34, v[8:11]
	v_lshlrev_b64 v[10:11], 2, v[26:27]
	v_lshl_add_u64 v[8:9], s[6:7], 0, v[10:11]
	v_lshl_add_u64 v[8:9], v[8:9], 0, v[6:7]
	scratch_store_dword off, v7, off
	scratch_store_dwordx3 off, v[46:48], off offset:4
	v_cndmask_b32_e32 v9, v33, v9, vcc
	v_cndmask_b32_e32 v8, v35, v8, vcc
	flat_load_dwordx4 v[50:53], v[8:9]
	v_lshlrev_b64 v[8:9], 2, v[30:31]
	v_lshl_add_u64 v[26:27], s[6:7], 0, v[8:9]
	v_cmp_gt_i32_e32 vcc, s10, v29
	v_lshl_add_u64 v[26:27], v[26:27], 0, v[6:7]
	s_waitcnt vmcnt(0) lgkmcnt(0)
	ds_write_b128 v28, v[50:53]
	scratch_store_dword off, v7, off
	scratch_store_dwordx3 off, v[46:48], off offset:4
	v_cndmask_b32_e32 v27, v33, v27, vcc
	v_cndmask_b32_e32 v26, v35, v26, vcc
	flat_load_dwordx4 v[50:53], v[26:27]
	v_cmp_gt_i32_e32 vcc, s2, v43
	s_waitcnt vmcnt(0) lgkmcnt(0)
	ds_write_b128 v23, v[50:53]
	s_waitcnt lgkmcnt(0)
	s_barrier
	ds_read2_b64 v[50:53], v25 offset1:32
	ds_read_u16 v26, v22
	ds_read_u16 v27, v22 offset:4
	ds_read_u16 v30, v22 offset:8
	;; [unrolled: 1-line block ×15, first 2 shown]
	s_waitcnt lgkmcnt(14)
	v_mul_u32_u24_e32 v26, 0x10001, v26
	v_pk_mul_f16 v50, v50, v26
	v_mul_u32_u24_e32 v27, 0x10001, v27
	v_pk_fma_f16 v0, v0, v32, v50
	v_pk_mul_f16 v50, v51, v26
	v_cndmask_b32_e32 v13, v33, v13, vcc
	v_pk_fma_f16 v1, v1, v32, v50
	v_pk_fma_f16 v32, v52, v26, v38
	;; [unrolled: 1-line block ×3, first 2 shown]
	ds_read2_b64 v[50:53], v25 offset0:128 offset1:160
	s_waitcnt lgkmcnt(8)
	v_mul_u32_u24_e32 v39, 0x10001, v56
	v_cndmask_b32_e32 v12, v35, v12, vcc
	v_cmp_gt_i32_e32 vcc, s2, v37
	s_waitcnt lgkmcnt(0)
	v_pk_fma_f16 v38, v50, v27, v0
	v_add_u32_e32 v0, 0x800, v25
	v_pk_fma_f16 v1, v51, v27, v1
	v_pk_fma_f16 v32, v52, v27, v32
	;; [unrolled: 1-line block ×3, first 2 shown]
	ds_read2_b64 v[50:53], v0 offset1:32
	v_mul_u32_u24_e32 v27, 0x10001, v30
	v_cndmask_b32_e32 v3, v33, v3, vcc
	v_cndmask_b32_e32 v2, v35, v2, vcc
	v_cmp_gt_i32_e32 vcc, s2, v36
	s_waitcnt lgkmcnt(0)
	v_pk_fma_f16 v30, v50, v27, v38
	v_pk_fma_f16 v1, v51, v27, v1
	v_pk_fma_f16 v32, v52, v27, v32
	v_pk_fma_f16 v26, v53, v27, v26
	ds_read2_b64 v[50:53], v0 offset0:128 offset1:160
	v_mul_u32_u24_e32 v27, 0x10001, v31
	v_mul_u32_u24_e32 v38, 0x10001, v54
	s_waitcnt lgkmcnt(0)
	v_pk_fma_f16 v31, v51, v27, v1
	v_add_u32_e32 v1, 0x1000, v25
	v_pk_fma_f16 v30, v50, v27, v30
	v_pk_fma_f16 v32, v52, v27, v32
	;; [unrolled: 1-line block ×3, first 2 shown]
	ds_read2_b64 v[50:53], v1 offset1:32
	v_mul_u32_u24_e32 v27, 0x10001, v45
	s_waitcnt lgkmcnt(0)
	v_pk_fma_f16 v30, v50, v27, v30
	v_pk_fma_f16 v31, v51, v27, v31
	;; [unrolled: 1-line block ×4, first 2 shown]
	ds_read2_b64 v[50:53], v1 offset0:128 offset1:160
	v_mul_u32_u24_e32 v27, 0x10001, v49
	s_waitcnt lgkmcnt(0)
	v_pk_fma_f16 v30, v50, v27, v30
	v_pk_fma_f16 v31, v51, v27, v31
	;; [unrolled: 1-line block ×4, first 2 shown]
	v_add_u32_e32 v26, 0x1800, v25
	ds_read2_b64 v[50:53], v26 offset1:32
	s_waitcnt lgkmcnt(0)
	v_pk_fma_f16 v30, v50, v38, v30
	v_pk_fma_f16 v31, v51, v38, v31
	;; [unrolled: 1-line block ×4, first 2 shown]
	ds_read2_b64 v[50:53], v26 offset0:128 offset1:160
	v_mul_u32_u24_e32 v38, 0x10001, v55
	s_waitcnt lgkmcnt(0)
	v_pk_fma_f16 v30, v50, v38, v30
	v_pk_fma_f16 v31, v51, v38, v31
	;; [unrolled: 1-line block ×4, first 2 shown]
	v_add_u32_e32 v27, 0x2000, v25
	ds_read2_b64 v[50:53], v27 offset1:32
	s_waitcnt lgkmcnt(0)
	v_pk_fma_f16 v30, v50, v39, v30
	v_pk_fma_f16 v31, v51, v39, v31
	v_pk_fma_f16 v32, v52, v39, v32
	v_pk_fma_f16 v38, v53, v39, v38
	ds_read2_b64 v[50:53], v27 offset0:128 offset1:160
	v_mul_u32_u24_e32 v39, 0x10001, v57
	s_waitcnt lgkmcnt(0)
	v_pk_fma_f16 v45, v50, v39, v30
	v_add_u32_e32 v30, 0x2800, v25
	v_pk_fma_f16 v31, v51, v39, v31
	v_pk_fma_f16 v32, v52, v39, v32
	v_pk_fma_f16 v38, v53, v39, v38
	ds_read2_b64 v[50:53], v30 offset1:32
	v_mul_u32_u24_e32 v39, 0x10001, v58
	s_waitcnt lgkmcnt(0)
	v_pk_fma_f16 v45, v50, v39, v45
	v_pk_fma_f16 v31, v51, v39, v31
	v_pk_fma_f16 v32, v52, v39, v32
	v_pk_fma_f16 v38, v53, v39, v38
	ds_read2_b64 v[50:53], v30 offset0:128 offset1:160
	v_mul_u32_u24_e32 v39, 0x10001, v59
	s_waitcnt lgkmcnt(0)
	v_pk_fma_f16 v49, v51, v39, v31
	v_add_u32_e32 v31, 0x3000, v25
	v_pk_fma_f16 v45, v50, v39, v45
	v_pk_fma_f16 v32, v52, v39, v32
	v_pk_fma_f16 v38, v53, v39, v38
	ds_read2_b64 v[50:53], v31 offset1:32
	v_mul_u32_u24_e32 v39, 0x10001, v60
	;; [unrolled: 15-line block ×3, first 2 shown]
	s_waitcnt lgkmcnt(0)
	v_pk_fma_f16 v45, v50, v39, v45
	v_pk_fma_f16 v49, v51, v39, v49
	;; [unrolled: 1-line block ×4, first 2 shown]
	ds_read2_b64 v[50:53], v32 offset0:128 offset1:160
	v_mul_u32_u24_e32 v39, 0x10001, v63
	s_waitcnt lgkmcnt(0)
	s_barrier
	scratch_store_dword off, v7, off
	scratch_store_dwordx3 off, v[46:48], off offset:4
	v_pk_fma_f16 v45, v50, v39, v45
	v_pk_fma_f16 v49, v51, v39, v49
	;; [unrolled: 1-line block ×4, first 2 shown]
	flat_load_dwordx4 v[50:53], v[12:13]
	s_waitcnt vmcnt(0) lgkmcnt(0)
	ds_write_b128 v24, v[50:53]
	scratch_store_dword off, v7, off
	scratch_store_dwordx3 off, v[46:48], off offset:4
	flat_load_dwordx4 v[50:53], v[2:3]
	v_lshl_add_u64 v[2:3], s[4:5], 0, v[10:11]
	v_lshl_add_u64 v[2:3], v[2:3], 0, v[6:7]
	v_cndmask_b32_e32 v3, v33, v3, vcc
	v_cndmask_b32_e32 v2, v35, v2, vcc
	v_cmp_gt_i32_e32 vcc, s2, v29
	s_waitcnt vmcnt(0) lgkmcnt(0)
	ds_write_b128 v34, v[50:53]
	scratch_store_dword off, v7, off
	scratch_store_dwordx3 off, v[46:48], off offset:4
	flat_load_dwordx4 v[10:13], v[2:3]
	v_lshl_add_u64 v[2:3], s[4:5], 0, v[8:9]
	v_lshl_add_u64 v[2:3], v[2:3], 0, v[6:7]
	v_cndmask_b32_e32 v3, v33, v3, vcc
	v_cndmask_b32_e32 v2, v35, v2, vcc
	s_waitcnt vmcnt(0) lgkmcnt(0)
	ds_write_b128 v28, v[10:13]
	scratch_store_dword off, v7, off
	scratch_store_dwordx3 off, v[46:48], off offset:4
	flat_load_dwordx4 v[6:9], v[2:3]
	s_waitcnt vmcnt(0) lgkmcnt(0)
	ds_write_b128 v23, v[6:9]
	s_waitcnt lgkmcnt(0)
	s_barrier
	ds_read2_b64 v[6:9], v25 offset1:32
	ds_read_u16 v2, v22 offset:64
	ds_read_u16 v3, v22 offset:68
	;; [unrolled: 1-line block ×16, first 2 shown]
	s_waitcnt lgkmcnt(14)
	v_mul_u32_u24_e32 v2, 0x10001, v2
	v_pk_fma_f16 v39, v6, v2, v45
	v_pk_fma_f16 v45, v7, v2, v49
	v_pk_fma_f16 v46, v8, v2, v54
	v_pk_fma_f16 v2, v9, v2, v38
	ds_read2_b64 v[6:9], v25 offset0:128 offset1:160
	v_mul_u32_u24_e32 v3, 0x10001, v3
	s_waitcnt lgkmcnt(0)
	v_pk_fma_f16 v25, v6, v3, v39
	v_pk_fma_f16 v38, v7, v3, v45
	v_pk_fma_f16 v39, v8, v3, v46
	v_pk_fma_f16 v2, v9, v3, v2
	ds_read2_b64 v[6:9], v0 offset1:32
	v_mul_u32_u24_e32 v3, 0x10001, v10
	s_waitcnt lgkmcnt(0)
	v_pk_fma_f16 v10, v6, v3, v25
	v_pk_fma_f16 v25, v7, v3, v38
	v_pk_fma_f16 v38, v8, v3, v39
	v_pk_fma_f16 v2, v9, v3, v2
	ds_read2_b64 v[6:9], v0 offset0:128 offset1:160
	v_mul_u32_u24_e32 v0, 0x10001, v11
	s_waitcnt lgkmcnt(0)
	v_pk_fma_f16 v3, v6, v0, v10
	v_pk_fma_f16 v10, v7, v0, v25
	v_pk_fma_f16 v11, v8, v0, v38
	v_pk_fma_f16 v0, v9, v0, v2
	ds_read2_b64 v[6:9], v1 offset1:32
	v_mul_u32_u24_e32 v2, 0x10001, v12
	s_waitcnt lgkmcnt(0)
	;; [unrolled: 14-line block ×7, first 2 shown]
	v_pk_fma_f16 v6, v0, v10, v6
	v_pk_fma_f16 v7, v1, v10, v7
	;; [unrolled: 1-line block ×4, first 2 shown]
	ds_read2_b64 v[0:3], v32 offset0:128 offset1:160
	v_mul_u32_u24_e32 v10, 0x10001, v22
	s_waitcnt lgkmcnt(0)
	s_barrier
	v_pk_fma_f16 v0, v0, v10, v6
	v_pk_fma_f16 v1, v1, v10, v7
	;; [unrolled: 1-line block ×4, first 2 shown]
	v_mov_b32_e32 v10, v21
.LBB73_36:
	v_cmp_lt_i32_e32 vcc, v16, v15
	v_cmp_ne_u32_e64 s[4:5], 0, v44
	s_nop 0
	v_cndmask_b32_e32 v6, v14, v16, vcc
	v_lshlrev_b32_e32 v6, 2, v6
	ds_bpermute_b32 v6, v6, v5
	v_cmp_lt_i32_e32 vcc, v17, v15
	s_waitcnt lgkmcnt(0)
	v_add_f32_e32 v5, v5, v6
	v_cndmask_b32_e32 v7, v14, v17, vcc
	v_lshlrev_b32_e32 v7, 2, v7
	ds_bpermute_b32 v6, v7, v5
	v_cmp_lt_i32_e32 vcc, v18, v15
	s_waitcnt lgkmcnt(0)
	v_add_f32_e32 v5, v5, v6
	;; [unrolled: 6-line block ×4, first 2 shown]
	v_cndmask_b32_e32 v7, v14, v20, vcc
	v_lshlrev_b32_e32 v7, 2, v7
	ds_bpermute_b32 v6, v7, v5
	v_cmp_eq_u32_e32 vcc, 0, v44
	s_waitcnt lgkmcnt(0)
	v_add_f32_e32 v11, v5, v6
	s_and_saveexec_b64 s[6:7], s[4:5]
	s_xor_b64 s[6:7], exec, s[6:7]
	s_cbranch_execnz .LBB73_40
; %bb.37:
	s_andn2_saveexec_b64 s[4:5], s[6:7]
	s_cbranch_execnz .LBB73_43
.LBB73_38:
	s_or_b64 exec, exec, s[4:5]
	s_and_saveexec_b64 s[4:5], vcc
	s_cbranch_execnz .LBB73_44
.LBB73_39:
	s_endpgm
.LBB73_40:
	v_lshl_add_u32 v4, v43, 9, v4
	v_cmp_eq_u32_e64 s[4:5], 0, v41
	ds_write_b128 v4, v[0:3]
	s_and_saveexec_b64 s[8:9], s[4:5]
; %bb.41:
	v_lshlrev_b32_e32 v4, 2, v43
	ds_write_b32 v4, v11 offset:17408
; %bb.42:
	s_or_b64 exec, exec, s[8:9]
                                        ; implicit-def: $vgpr43
                                        ; implicit-def: $vgpr4
	s_andn2_saveexec_b64 s[4:5], s[6:7]
	s_cbranch_execz .LBB73_38
.LBB73_43:
	v_lshl_add_u32 v4, v43, 9, v4
	v_lshlrev_b32_e32 v8, 2, v43
	s_waitcnt lgkmcnt(0)
	s_barrier
	ds_read_b128 v[4:7], v4 offset:512
	ds_read_b32 v8, v8 offset:17412
	s_waitcnt lgkmcnt(1)
	v_pk_add_f16 v0, v4, v0
	v_pk_add_f16 v1, v5, v1
	;; [unrolled: 1-line block ×4, first 2 shown]
	s_waitcnt lgkmcnt(0)
	v_add_f32_e32 v11, v11, v8
	s_or_b64 exec, exec, s[4:5]
	s_and_saveexec_b64 s[4:5], vcc
	s_cbranch_execz .LBB73_39
.LBB73_44:
	s_cmp_eq_u64 s[16:17], 0
	s_cselect_b64 s[4:5], -1, 0
	s_cmp_lg_u32 s3, 0
	s_cselect_b64 s[6:7], -1, 0
	s_or_b64 s[4:5], s[6:7], s[4:5]
	s_and_b64 vcc, exec, s[4:5]
	s_cbranch_vccnz .LBB73_46
; %bb.45:
	s_lshl_b64 s[4:5], s[34:35], 2
	s_add_u32 s4, s16, s4
	s_addc_u32 s5, s17, s5
	v_mov_b32_e32 v4, 0
	global_load_dword v5, v4, s[4:5]
	v_max_f32_e32 v4, v10, v10
	s_mov_b32 s2, 0x3fb8aa3b
	s_mov_b32 s4, 0xc2ce8ed0
	s_waitcnt vmcnt(0)
	v_max_f32_e32 v6, v5, v5
	v_max_f32_e32 v4, v4, v6
	v_sub_f32_e32 v6, v10, v4
	v_sub_f32_e32 v5, v5, v4
	v_mul_f32_e32 v7, 0x3fb8aa3b, v6
	v_mul_f32_e32 v8, 0x3fb8aa3b, v5
	v_fma_f32 v9, v6, s2, -v7
	v_rndne_f32_e32 v10, v7
	v_fma_f32 v12, v5, s2, -v8
	v_rndne_f32_e32 v13, v8
	v_fmac_f32_e32 v9, 0x32a5705f, v6
	v_sub_f32_e32 v7, v7, v10
	v_fmac_f32_e32 v12, 0x32a5705f, v5
	v_sub_f32_e32 v8, v8, v13
	v_add_f32_e32 v7, v7, v9
	v_cvt_i32_f32_e32 v10, v10
	v_add_f32_e32 v8, v8, v12
	v_exp_f32_e32 v7, v7
	v_cvt_i32_f32_e32 v13, v13
	v_exp_f32_e32 v8, v8
	v_cmp_ngt_f32_e32 vcc, s4, v6
	v_ldexp_f32 v7, v7, v10
	s_mov_b32 s2, 0x42b17218
	v_ldexp_f32 v8, v8, v13
	v_cndmask_b32_e32 v7, 0, v7, vcc
	v_cmp_ngt_f32_e32 vcc, s4, v5
	v_mov_b32_e32 v9, 0x7f800000
	s_nop 0
	v_cndmask_b32_e32 v8, 0, v8, vcc
	v_cmp_nlt_f32_e32 vcc, s2, v6
	s_nop 1
	v_cndmask_b32_e32 v6, v9, v7, vcc
	v_cvt_f16_f32_e32 v7, v6
	v_cmp_nlt_f32_e32 vcc, s2, v5
	s_nop 1
	v_cndmask_b32_e32 v5, v9, v8, vcc
	v_fmac_f32_e32 v5, v11, v6
	v_mul_u32_u24_e32 v6, 0x10001, v7
	v_pk_mul_f16 v0, v0, v6
	v_pk_mul_f16 v1, v1, v6
	;; [unrolled: 1-line block ×4, first 2 shown]
	v_mov_b64_e32 v[10:11], v[4:5]
	v_cmp_gt_i32_e32 vcc, s26, v40
	s_and_b64 exec, exec, vcc
	s_cbranch_execz .LBB73_39
	s_branch .LBB73_47
.LBB73_46:
	v_mov_b32_e32 v5, v11
	v_cmp_gt_i32_e32 vcc, s26, v40
	s_and_b64 exec, exec, vcc
	s_cbranch_execz .LBB73_39
.LBB73_47:
	s_load_dword s2, s[0:1], 0xd4
	v_div_scale_f32 v4, s[0:1], v5, v5, 1.0
	v_rcp_f32_e32 v6, v4
	s_mul_i32 s33, s33, s26
	s_waitcnt lgkmcnt(0)
	s_cmp_lg_u32 s2, 1
	s_cselect_b64 s[0:1], -1, 0
	v_fma_f32 v7, -v4, v6, 1.0
	v_fmac_f32_e32 v6, v7, v6
	v_div_scale_f32 v7, vcc, 1.0, v5, 1.0
	v_mul_f32_e32 v8, v7, v6
	v_fma_f32 v9, -v4, v8, v7
	v_fmac_f32_e32 v8, v9, v6
	v_fma_f32 v4, -v4, v8, v7
	v_div_fmas_f32 v4, v4, v6, v8
	v_div_fixup_f32 v4, v4, v5, 1.0
	v_cndmask_b32_e64 v12, v4, 1.0, s[0:1]
	v_add_u32_e32 v4, s33, v40
	v_mul_lo_u32 v4, v4, s27
	v_add_u32_e32 v4, s34, v4
	v_cvt_f32_f16_sdwa v7, v0 dst_sel:DWORD dst_unused:UNUSED_PAD src0_sel:WORD_1
	v_cvt_f32_f16_e32 v6, v0
	v_cvt_f32_f16_sdwa v9, v1 dst_sel:DWORD dst_unused:UNUSED_PAD src0_sel:WORD_1
	v_cvt_f32_f16_e32 v8, v1
	v_mul_lo_u32 v4, s2, v4
	v_add_u32_e32 v4, s3, v4
	v_lshl_add_u32 v14, v4, 8, v42
	v_mov_b32_e32 v15, 0
	v_lshl_add_u64 v[0:1], v[14:15], 2, s[20:21]
	v_pk_mul_f32 v[6:7], v[12:13], v[6:7] op_sel_hi:[0,1]
	v_pk_mul_f32 v[8:9], v[12:13], v[8:9] op_sel_hi:[0,1]
	global_store_dwordx4 v[0:1], v[6:9], off
	v_cvt_f32_f16_sdwa v1, v2 dst_sel:DWORD dst_unused:UNUSED_PAD src0_sel:WORD_1
	v_cvt_f32_f16_e32 v0, v2
	v_cvt_f32_f16_sdwa v7, v3 dst_sel:DWORD dst_unused:UNUSED_PAD src0_sel:WORD_1
	v_cvt_f32_f16_e32 v6, v3
	v_cmp_eq_u32_e32 vcc, 0, v41
	v_add_u32_e32 v14, 0x80, v14
	s_and_b64 s[0:1], vcc, s[0:1]
	v_lshl_add_u64 v[8:9], v[14:15], 2, s[20:21]
	v_pk_mul_f32 v[0:1], v[12:13], v[0:1] op_sel_hi:[0,1]
	v_pk_mul_f32 v[2:3], v[12:13], v[6:7] op_sel_hi:[0,1]
	global_store_dwordx4 v[8:9], v[0:3], off
	s_and_b64 exec, exec, s[0:1]
	s_cbranch_execz .LBB73_39
; %bb.48:
	v_mov_b32_e32 v0, s22
	v_mov_b32_e32 v1, s23
	v_ashrrev_i32_e32 v5, 31, v4
	v_lshl_add_u64 v[0:1], v[4:5], 3, v[0:1]
	global_store_dwordx2 v[0:1], v[10:11], off
	s_endpgm
	.section	.rodata,"a",@progbits
	.p2align	6, 0x0
	.amdhsa_kernel _ZL15flash_attn_tileILi256ELi256ELi4ELi1ELb1EEvPKcS1_S1_S1_S1_PKiPfP15HIP_vector_typeIfLj2EEffffjfiS5_IjLj3EEiiiiiiiiiiiliiliiiiil
		.amdhsa_group_segment_fixed_size 20032
		.amdhsa_private_segment_fixed_size 32
		.amdhsa_kernarg_size 464
		.amdhsa_user_sgpr_count 2
		.amdhsa_user_sgpr_dispatch_ptr 0
		.amdhsa_user_sgpr_queue_ptr 0
		.amdhsa_user_sgpr_kernarg_segment_ptr 1
		.amdhsa_user_sgpr_dispatch_id 0
		.amdhsa_user_sgpr_kernarg_preload_length 0
		.amdhsa_user_sgpr_kernarg_preload_offset 0
		.amdhsa_user_sgpr_private_segment_size 0
		.amdhsa_uses_dynamic_stack 0
		.amdhsa_enable_private_segment 1
		.amdhsa_system_sgpr_workgroup_id_x 1
		.amdhsa_system_sgpr_workgroup_id_y 1
		.amdhsa_system_sgpr_workgroup_id_z 1
		.amdhsa_system_sgpr_workgroup_info 0
		.amdhsa_system_vgpr_workitem_id 1
		.amdhsa_next_free_vgpr 122
		.amdhsa_next_free_sgpr 48
		.amdhsa_accum_offset 124
		.amdhsa_reserve_vcc 1
		.amdhsa_float_round_mode_32 0
		.amdhsa_float_round_mode_16_64 0
		.amdhsa_float_denorm_mode_32 3
		.amdhsa_float_denorm_mode_16_64 3
		.amdhsa_dx10_clamp 1
		.amdhsa_ieee_mode 1
		.amdhsa_fp16_overflow 0
		.amdhsa_tg_split 0
		.amdhsa_exception_fp_ieee_invalid_op 0
		.amdhsa_exception_fp_denorm_src 0
		.amdhsa_exception_fp_ieee_div_zero 0
		.amdhsa_exception_fp_ieee_overflow 0
		.amdhsa_exception_fp_ieee_underflow 0
		.amdhsa_exception_fp_ieee_inexact 0
		.amdhsa_exception_int_div_zero 0
	.end_amdhsa_kernel
	.section	.text._ZL15flash_attn_tileILi256ELi256ELi4ELi1ELb1EEvPKcS1_S1_S1_S1_PKiPfP15HIP_vector_typeIfLj2EEffffjfiS5_IjLj3EEiiiiiiiiiiiliiliiiiil,"axG",@progbits,_ZL15flash_attn_tileILi256ELi256ELi4ELi1ELb1EEvPKcS1_S1_S1_S1_PKiPfP15HIP_vector_typeIfLj2EEffffjfiS5_IjLj3EEiiiiiiiiiiiliiliiiiil,comdat
.Lfunc_end73:
	.size	_ZL15flash_attn_tileILi256ELi256ELi4ELi1ELb1EEvPKcS1_S1_S1_S1_PKiPfP15HIP_vector_typeIfLj2EEffffjfiS5_IjLj3EEiiiiiiiiiiiliiliiiiil, .Lfunc_end73-_ZL15flash_attn_tileILi256ELi256ELi4ELi1ELb1EEvPKcS1_S1_S1_S1_PKiPfP15HIP_vector_typeIfLj2EEffffjfiS5_IjLj3EEiiiiiiiiiiiliiliiiiil
                                        ; -- End function
	.set _ZL15flash_attn_tileILi256ELi256ELi4ELi1ELb1EEvPKcS1_S1_S1_S1_PKiPfP15HIP_vector_typeIfLj2EEffffjfiS5_IjLj3EEiiiiiiiiiiiliiliiiiil.num_vgpr, 122
	.set _ZL15flash_attn_tileILi256ELi256ELi4ELi1ELb1EEvPKcS1_S1_S1_S1_PKiPfP15HIP_vector_typeIfLj2EEffffjfiS5_IjLj3EEiiiiiiiiiiiliiliiiiil.num_agpr, 0
	.set _ZL15flash_attn_tileILi256ELi256ELi4ELi1ELb1EEvPKcS1_S1_S1_S1_PKiPfP15HIP_vector_typeIfLj2EEffffjfiS5_IjLj3EEiiiiiiiiiiiliiliiiiil.numbered_sgpr, 48
	.set _ZL15flash_attn_tileILi256ELi256ELi4ELi1ELb1EEvPKcS1_S1_S1_S1_PKiPfP15HIP_vector_typeIfLj2EEffffjfiS5_IjLj3EEiiiiiiiiiiiliiliiiiil.num_named_barrier, 0
	.set _ZL15flash_attn_tileILi256ELi256ELi4ELi1ELb1EEvPKcS1_S1_S1_S1_PKiPfP15HIP_vector_typeIfLj2EEffffjfiS5_IjLj3EEiiiiiiiiiiiliiliiiiil.private_seg_size, 32
	.set _ZL15flash_attn_tileILi256ELi256ELi4ELi1ELb1EEvPKcS1_S1_S1_S1_PKiPfP15HIP_vector_typeIfLj2EEffffjfiS5_IjLj3EEiiiiiiiiiiiliiliiiiil.uses_vcc, 1
	.set _ZL15flash_attn_tileILi256ELi256ELi4ELi1ELb1EEvPKcS1_S1_S1_S1_PKiPfP15HIP_vector_typeIfLj2EEffffjfiS5_IjLj3EEiiiiiiiiiiiliiliiiiil.uses_flat_scratch, 0
	.set _ZL15flash_attn_tileILi256ELi256ELi4ELi1ELb1EEvPKcS1_S1_S1_S1_PKiPfP15HIP_vector_typeIfLj2EEffffjfiS5_IjLj3EEiiiiiiiiiiiliiliiiiil.has_dyn_sized_stack, 0
	.set _ZL15flash_attn_tileILi256ELi256ELi4ELi1ELb1EEvPKcS1_S1_S1_S1_PKiPfP15HIP_vector_typeIfLj2EEffffjfiS5_IjLj3EEiiiiiiiiiiiliiliiiiil.has_recursion, 0
	.set _ZL15flash_attn_tileILi256ELi256ELi4ELi1ELb1EEvPKcS1_S1_S1_S1_PKiPfP15HIP_vector_typeIfLj2EEffffjfiS5_IjLj3EEiiiiiiiiiiiliiliiiiil.has_indirect_call, 0
	.section	.AMDGPU.csdata,"",@progbits
; Kernel info:
; codeLenInByte = 17728
; TotalNumSgprs: 54
; NumVgprs: 122
; NumAgprs: 0
; TotalNumVgprs: 122
; ScratchSize: 32
; MemoryBound: 0
; FloatMode: 240
; IeeeMode: 1
; LDSByteSize: 20032 bytes/workgroup (compile time only)
; SGPRBlocks: 6
; VGPRBlocks: 15
; NumSGPRsForWavesPerEU: 54
; NumVGPRsForWavesPerEU: 122
; AccumOffset: 124
; Occupancy: 4
; WaveLimiterHint : 1
; COMPUTE_PGM_RSRC2:SCRATCH_EN: 1
; COMPUTE_PGM_RSRC2:USER_SGPR: 2
; COMPUTE_PGM_RSRC2:TRAP_HANDLER: 0
; COMPUTE_PGM_RSRC2:TGID_X_EN: 1
; COMPUTE_PGM_RSRC2:TGID_Y_EN: 1
; COMPUTE_PGM_RSRC2:TGID_Z_EN: 1
; COMPUTE_PGM_RSRC2:TIDIG_COMP_CNT: 1
; COMPUTE_PGM_RSRC3_GFX90A:ACCUM_OFFSET: 30
; COMPUTE_PGM_RSRC3_GFX90A:TG_SPLIT: 0
	.section	.text._ZL15flash_attn_tileILi256ELi256ELi2ELi1ELb1EEvPKcS1_S1_S1_S1_PKiPfP15HIP_vector_typeIfLj2EEffffjfiS5_IjLj3EEiiiiiiiiiiiliiliiiiil,"axG",@progbits,_ZL15flash_attn_tileILi256ELi256ELi2ELi1ELb1EEvPKcS1_S1_S1_S1_PKiPfP15HIP_vector_typeIfLj2EEffffjfiS5_IjLj3EEiiiiiiiiiiiliiliiiiil,comdat
	.globl	_ZL15flash_attn_tileILi256ELi256ELi2ELi1ELb1EEvPKcS1_S1_S1_S1_PKiPfP15HIP_vector_typeIfLj2EEffffjfiS5_IjLj3EEiiiiiiiiiiiliiliiiiil ; -- Begin function _ZL15flash_attn_tileILi256ELi256ELi2ELi1ELb1EEvPKcS1_S1_S1_S1_PKiPfP15HIP_vector_typeIfLj2EEffffjfiS5_IjLj3EEiiiiiiiiiiiliiliiiiil
	.p2align	8
	.type	_ZL15flash_attn_tileILi256ELi256ELi2ELi1ELb1EEvPKcS1_S1_S1_S1_PKiPfP15HIP_vector_typeIfLj2EEffffjfiS5_IjLj3EEiiiiiiiiiiiliiliiiiil,@function
_ZL15flash_attn_tileILi256ELi256ELi2ELi1ELb1EEvPKcS1_S1_S1_S1_PKiPfP15HIP_vector_typeIfLj2EEffffjfiS5_IjLj3EEiiiiiiiiiiiliiliiiiil: ; @_ZL15flash_attn_tileILi256ELi256ELi2ELi1ELb1EEvPKcS1_S1_S1_S1_PKiPfP15HIP_vector_typeIfLj2EEffffjfiS5_IjLj3EEiiiiiiiiiiiliiliiiiil
; %bb.0:
	s_load_dwordx4 s[24:27], s[0:1], 0x5c
	s_load_dwordx2 s[38:39], s[0:1], 0x80
	s_load_dwordx2 s[40:41], s[0:1], 0xb8
	s_mov_b64 s[36:37], 0
	s_waitcnt lgkmcnt(0)
	v_cvt_f32_u32_e32 v1, s27
	s_sub_i32 s5, 0, s27
	v_rcp_iflag_f32_e32 v1, v1
	s_nop 0
	v_mul_f32_e32 v1, 0x4f7ffffe, v1
	v_cvt_u32_f32_e32 v1, v1
	s_nop 0
	v_readfirstlane_b32 s6, v1
	s_mul_i32 s5, s5, s6
	s_mul_hi_u32 s5, s6, s5
	s_add_i32 s6, s6, s5
	s_mul_hi_u32 s5, s4, s6
	s_mul_i32 s6, s5, s27
	s_sub_i32 s6, s4, s6
	s_add_i32 s7, s5, 1
	s_sub_i32 s8, s6, s27
	s_cmp_ge_u32 s6, s27
	s_cselect_b32 s5, s7, s5
	s_cselect_b32 s6, s8, s6
	s_add_i32 s7, s5, 1
	s_cmp_ge_u32 s6, s27
	s_cselect_b32 s33, s7, s5
	s_abs_i32 s5, s39
	v_cvt_f32_u32_e32 v1, s5
	s_mul_i32 s8, s33, s27
	s_sub_i32 s9, 0, s5
	s_sub_i32 s34, s4, s8
	v_rcp_iflag_f32_e32 v1, v1
	s_abs_i32 s7, s27
	s_xor_b32 s6, s27, s39
	s_ashr_i32 s6, s6, 31
	v_mul_f32_e32 v1, 0x4f7ffffe, v1
	v_cvt_u32_f32_e32 v1, v1
	s_nop 0
	v_readfirstlane_b32 s4, v1
	s_mul_i32 s9, s9, s4
	s_mul_hi_u32 s8, s4, s9
	s_add_i32 s4, s4, s8
	s_mul_hi_u32 s4, s7, s4
	s_mul_i32 s8, s4, s5
	s_sub_i32 s7, s7, s8
	s_add_i32 s9, s4, 1
	s_sub_i32 s8, s7, s5
	s_cmp_ge_u32 s7, s5
	s_cselect_b32 s4, s9, s4
	s_cselect_b32 s7, s8, s7
	s_add_i32 s8, s4, 1
	s_cmp_ge_u32 s7, s5
	s_cselect_b32 s4, s8, s4
	s_xor_b32 s4, s4, s6
	s_sub_i32 s42, s4, s6
	s_abs_i32 s39, s42
	v_cvt_f32_u32_e32 v1, s39
	s_load_dwordx16 s[8:23], s[0:1], 0x0
	s_sub_i32 s4, 0, s39
	v_rcp_iflag_f32_e32 v1, v1
	s_waitcnt lgkmcnt(0)
	s_cmp_eq_u64 s[14:15], 0
	v_mul_f32_e32 v1, 0x4f7ffffe, v1
	v_cvt_u32_f32_e32 v1, v1
	s_nop 0
	v_readfirstlane_b32 s35, v1
	s_mul_i32 s4, s4, s35
	s_mul_hi_u32 s4, s35, s4
	s_cbranch_scc1 .LBB74_2
; %bb.1:
	s_abs_i32 s5, s40
	v_cvt_f32_u32_e32 v1, s5
	s_sub_i32 s30, 0, s5
	s_abs_i32 s29, s33
	s_ashr_i32 s28, s33, 31
	v_rcp_iflag_f32_e32 v1, v1
	s_load_dwordx2 s[6:7], s[0:1], 0xc8
	v_mul_f32_e32 v1, 0x4f7ffffe, v1
	v_cvt_u32_f32_e32 v1, v1
	s_nop 0
	v_readfirstlane_b32 s31, v1
	s_mul_i32 s30, s30, s31
	s_mul_hi_u32 s30, s31, s30
	s_add_i32 s31, s31, s30
	s_mul_hi_u32 s30, s29, s31
	s_mul_i32 s30, s30, s5
	s_sub_i32 s29, s29, s30
	s_sub_i32 s30, s29, s5
	s_cmp_ge_u32 s29, s5
	s_cselect_b32 s29, s30, s29
	s_sub_i32 s30, s29, s5
	s_cmp_ge_u32 s29, s5
	s_cselect_b32 s5, s30, s29
	s_xor_b32 s5, s5, s28
	s_sub_i32 s5, s5, s28
	s_ashr_i32 s28, s5, 31
	s_waitcnt lgkmcnt(0)
	s_mul_hi_u32 s29, s6, s5
	s_mul_i32 s28, s6, s28
	s_mul_i32 s7, s7, s5
	s_add_i32 s28, s29, s28
	s_add_i32 s28, s28, s7
	s_mul_i32 s5, s6, s5
	s_add_u32 s36, s14, s5
	s_addc_u32 s37, s15, s28
.LBB74_2:
	s_load_dwordx4 s[28:31], s[0:1], 0x40
	s_load_dwordx2 s[14:15], s[0:1], 0x50
	s_add_i32 s35, s35, s4
	s_abs_i32 s40, s34
	v_mov_b32_e32 v64, 1.0
	s_waitcnt lgkmcnt(0)
	v_cmp_le_f32_e64 s[4:5], s29, 0
	s_and_b64 vcc, exec, s[4:5]
	s_cbranch_vccnz .LBB74_4
; %bb.3:
	v_mov_b32_e32 v1, s14
	v_sub_co_u32_e32 v1, vcc, s34, v1
	v_mov_b32_e32 v2, s31
	v_mov_b32_e32 v3, s30
	s_add_i32 s4, s34, 1
	v_lshlrev_b32_e32 v1, 1, v1
	v_cndmask_b32_e32 v2, v2, v3, vcc
	v_or_b32_e32 v1, 1, v1
	v_mov_b32_e32 v3, s4
	v_cndmask_b32_e32 v1, v1, v3, vcc
	v_cvt_f32_i32_e32 v1, v1
	v_cmp_neq_f32_e32 vcc, 1.0, v2
	s_mov_b32 s4, 0x3f2aaaab
	s_movk_i32 s6, 0x204
	v_cndmask_b32_e32 v1, 1.0, v1, vcc
	v_cmp_neq_f32_e32 vcc, 0, v1
	s_mov_b32 s5, 0x42b17218
	s_mov_b32 s7, 0x3fb8aa3b
	v_cndmask_b32_e32 v18, 1.0, v2, vcc
	v_frexp_mant_f32_e64 v2, |v18|
	v_cmp_gt_f32_e32 vcc, s4, v2
	s_mov_b32 s4, 0x3f317218
	s_brev_b32 s14, -2
	v_cndmask_b32_e64 v3, 1.0, 2.0, vcc
	v_mul_f32_e32 v2, v2, v3
	v_add_f32_e32 v5, 1.0, v2
	v_rcp_f32_e32 v10, v5
	v_add_f32_e32 v3, -1.0, v5
	v_sub_f32_e32 v7, v2, v3
	v_add_f32_e32 v3, -1.0, v2
	v_mul_f32_e32 v11, v3, v10
	v_mul_f32_e32 v4, v5, v11
	v_fma_f32 v6, v11, v5, -v4
	v_fmac_f32_e32 v6, v11, v7
	v_add_f32_e32 v2, v4, v6
	v_sub_f32_e32 v5, v3, v2
	v_pk_add_f32 v[8:9], v[2:3], v[4:5] neg_lo:[0,1] neg_hi:[0,1]
	v_mov_b32_e32 v7, v2
	v_pk_add_f32 v[2:3], v[8:9], v[6:7] neg_lo:[0,1] neg_hi:[0,1]
	v_mov_b32_e32 v6, 0x3e91f4c4
	v_add_f32_e32 v2, v2, v3
	v_add_f32_e32 v2, v5, v2
	v_mul_f32_e32 v3, v10, v2
	v_add_f32_e32 v2, v11, v3
	v_sub_f32_e32 v4, v2, v11
	v_sub_f32_e32 v12, v3, v4
	v_mul_f32_e32 v3, v2, v2
	v_fma_f32 v5, v2, v2, -v3
	v_add_f32_e32 v4, v12, v12
	v_fmac_f32_e32 v5, v2, v4
	v_add_f32_e32 v4, v3, v5
	v_fmac_f32_e32 v6, 0x3e76c4e1, v4
	v_fmaak_f32 v6, v4, v6, 0x3ecccdef
	v_sub_f32_e32 v3, v4, v3
	v_sub_f32_e32 v13, v5, v3
	v_mul_f32_e32 v3, v4, v6
	v_fma_f32 v5, v4, v6, -v3
	v_fmac_f32_e32 v5, v13, v6
	v_add_f32_e32 v6, v3, v5
	v_add_f32_e32 v7, 0x3f2aaaaa, v6
	v_sub_f32_e32 v3, v6, v3
	v_sub_f32_e32 v3, v5, v3
	v_add_f32_e32 v5, 0xbf2aaaaa, v7
	v_add_f32_e32 v3, 0x31739010, v3
	v_sub_f32_e32 v5, v6, v5
	v_pk_mul_f32 v[8:9], v[2:3], v[4:5]
	v_pk_add_f32 v[10:11], v[2:3], v[4:5]
	v_fma_f32 v6, v4, v2, -v8
	v_fmac_f32_e32 v6, v4, v12
	v_mov_b32_e32 v9, v11
	v_fmac_f32_e32 v6, v13, v2
	v_pk_add_f32 v[4:5], v[8:9], v[6:7]
	v_ldexp_f32 v14, v12, 1
	v_sub_f32_e32 v3, v4, v8
	v_sub_f32_e32 v3, v6, v3
	;; [unrolled: 1-line block ×3, first 2 shown]
	v_add_f32_e32 v9, v11, v6
	v_pk_mul_f32 v[6:7], v[4:5], v[4:5] op_sel:[0,1] op_sel_hi:[1,0]
	v_cvt_f64_f32_e64 v[10:11], |v18|
	v_frexp_exp_i32_f64_e32 v7, v[10:11]
	v_subbrev_co_u32_e32 v7, vcc, 0, v7, vcc
	v_cvt_f32_i32_e32 v7, v7
	v_fma_f32 v8, v4, v5, -v6
	v_fmac_f32_e32 v8, v4, v9
	v_fmac_f32_e32 v8, v3, v5
	v_mul_f32_e32 v4, 0x3f317218, v7
	v_fma_f32 v3, v7, s4, -v4
	v_fmamk_f32 v10, v7, 0xb102e308, v3
	v_ldexp_f32 v11, v2, 1
	v_add_f32_e32 v5, v6, v8
	v_pk_add_f32 v[2:3], v[4:5], v[10:11]
	v_mov_b32_e32 v12, v5
	v_mov_b32_e32 v13, v3
	v_mov_b32_e32 v7, v11
	v_pk_add_f32 v[6:7], v[12:13], v[6:7] neg_lo:[0,1] neg_hi:[0,1]
	v_mov_b32_e32 v9, v5
	v_pk_add_f32 v[6:7], v[8:9], v[6:7] neg_lo:[0,1] neg_hi:[0,1]
	v_mov_b32_e32 v11, v2
	v_add_f32_e32 v5, v14, v6
	v_add_f32_e32 v5, v5, v7
	v_pk_add_f32 v[6:7], v[2:3], v[4:5] neg_lo:[0,1] neg_hi:[0,1]
	v_pk_add_f32 v[8:9], v[2:3], v[4:5]
	v_mov_b32_e32 v16, v3
	v_mov_b32_e32 v7, v9
	v_pk_add_f32 v[12:13], v[10:11], v[6:7] neg_lo:[0,1] neg_hi:[0,1]
	v_pk_add_f32 v[6:7], v[10:11], v[6:7]
	v_mov_b32_e32 v4, v5
	v_pk_add_f32 v[10:11], v[6:7], v[2:3] op_sel:[1,0] op_sel_hi:[0,1] neg_lo:[0,1] neg_hi:[0,1]
	v_pk_add_f32 v[14:15], v[8:9], v[10:11] op_sel_hi:[1,0] neg_lo:[0,1] neg_hi:[0,1]
	v_mov_b32_e32 v8, v9
	v_mov_b32_e32 v9, v7
	;; [unrolled: 1-line block ×3, first 2 shown]
	v_pk_add_f32 v[8:9], v[8:9], v[16:17] neg_lo:[0,1] neg_hi:[0,1]
	v_mov_b32_e32 v5, v2
	v_pk_add_f32 v[2:3], v[4:5], v[8:9] neg_lo:[0,1] neg_hi:[0,1]
	v_mov_b32_e32 v14, v12
	v_pk_add_f32 v[4:5], v[14:15], v[2:3]
	v_mov_b32_e32 v13, v7
	v_pk_add_f32 v[8:9], v[4:5], v[4:5] op_sel:[0,1] op_sel_hi:[1,0]
	s_mov_b32 s4, 0x7f800000
	v_pk_add_f32 v[6:7], v[6:7], v[8:9] op_sel:[1,0] op_sel_hi:[0,1]
	v_mov_b32_e32 v5, v6
	v_pk_add_f32 v[10:11], v[4:5], v[12:13] neg_lo:[0,1] neg_hi:[0,1]
	v_mov_b32_e32 v3, v8
	v_sub_f32_e32 v4, v4, v10
	v_pk_add_f32 v[2:3], v[2:3], v[10:11] neg_lo:[0,1] neg_hi:[0,1]
	v_sub_f32_e32 v4, v12, v4
	v_add_f32_e32 v2, v2, v4
	v_add_f32_e32 v2, v2, v3
	v_add_f32_e32 v3, v6, v2
	v_sub_f32_e32 v4, v3, v6
	v_sub_f32_e32 v2, v2, v4
	v_mul_f32_e32 v4, v1, v3
	v_fma_f32 v3, v1, v3, -v4
	v_fmac_f32_e32 v3, v1, v2
	v_add_f32_e32 v2, v4, v3
	v_cmp_class_f32_e64 vcc, v4, s6
	v_sub_f32_e32 v5, v2, v4
	v_sub_f32_e32 v3, v3, v5
	v_cndmask_b32_e32 v2, v2, v4, vcc
	v_mov_b32_e32 v4, 0x37000000
	v_cmp_eq_f32_e32 vcc, s5, v2
	v_cmp_class_f32_e64 s[30:31], v18, s6
	s_nop 0
	v_cndmask_b32_e32 v4, 0, v4, vcc
	v_sub_f32_e32 v5, v2, v4
	v_mul_f32_e32 v6, 0x3fb8aa3b, v5
	v_fma_f32 v7, v5, s7, -v6
	v_rndne_f32_e32 v8, v6
	v_fmamk_f32 v7, v5, 0x32a5705f, v7
	v_sub_f32_e32 v6, v6, v8
	v_add_f32_e32 v6, v6, v7
	v_exp_f32_e32 v6, v6
	v_cvt_i32_f32_e32 v7, v8
	v_cmp_neq_f32_e64 vcc, |v2|, s4
	s_mov_b32 s4, 0xc2ce8ed0
	s_nop 0
	v_cndmask_b32_e32 v2, 0, v3, vcc
	v_ldexp_f32 v3, v6, v7
	v_cmp_ngt_f32_e32 vcc, s4, v5
	v_add_f32_e32 v2, v4, v2
	v_mov_b32_e32 v4, 0x7f800000
	v_cndmask_b32_e32 v3, 0, v3, vcc
	v_cmp_nlt_f32_e32 vcc, s5, v5
	v_mov_b32_e32 v5, 0x7fc00000
	s_nop 0
	v_cndmask_b32_e32 v3, v4, v3, vcc
	v_fma_f32 v2, v3, v2, v3
	v_cmp_class_f32_e64 vcc, v3, s6
	v_cmp_gt_f32_e64 s[6:7], 0, v1
	s_nop 0
	v_cndmask_b32_e32 v2, v2, v3, vcc
	v_trunc_f32_e32 v3, v1
	v_cmp_eq_f32_e32 vcc, v3, v1
	v_mul_f32_e32 v3, 0.5, v1
	v_trunc_f32_e32 v6, v3
	v_cmp_neq_f32_e64 s[4:5], v6, v3
	s_and_b64 s[4:5], vcc, s[4:5]
	s_nop 0
	v_cndmask_b32_e64 v3, 1.0, v18, s[4:5]
	v_bfi_b32 v2, s14, v2, v3
	v_cndmask_b32_e32 v3, v5, v2, vcc
	v_cmp_gt_f32_e32 vcc, 0, v18
	s_nop 1
	v_cndmask_b32_e32 v2, v2, v3, vcc
	v_cmp_eq_f32_e32 vcc, 0, v18
	s_xor_b64 s[6:7], s[6:7], vcc
	v_cndmask_b32_e64 v1, v4, 0, s[6:7]
	v_cndmask_b32_e64 v3, 0, v18, s[4:5]
	v_bfi_b32 v1, s14, v1, v3
	s_or_b64 vcc, vcc, s[30:31]
	v_cndmask_b32_e32 v1, v2, v1, vcc
	v_cmp_o_f32_e32 vcc, v18, v18
	s_nop 1
	v_cndmask_b32_e32 v64, v5, v1, vcc
.LBB74_4:
	v_bfe_u32 v60, v0, 10, 10
	v_lshlrev_b32_e32 v2, 7, v60
	v_and_b32_e32 v29, 0x3ff, v0
	v_lshrrev_b32_e32 v1, 10, v0
	v_and_b32_e32 v2, 0x180, v2
	v_lshlrev_b32_e32 v28, 2, v29
	s_lshl_b32 s4, s2, 1
	v_bfe_u32 v1, v1, 2, 8
	v_add_u32_e32 v0, v2, v28
	s_movk_i32 s5, 0x100
	s_mul_hi_u32 s6, s40, s35
	v_cmp_gt_u32_e32 vcc, s5, v0
	v_lshlrev_b32_e32 v63, 3, v29
	v_add_u32_e32 v37, s4, v1
	v_lshlrev_b32_e32 v30, 2, v28
	s_and_saveexec_b64 s[4:5], vcc
	s_cbranch_execz .LBB74_6
; %bb.5:
	s_load_dwordx4 s[44:47], s[0:1], 0x70
	v_mul_hi_u32 v0, s24, v37
	v_add_u32_e32 v0, v37, v0
	v_lshrrev_b32_e32 v0, s25, v0
	v_mul_lo_u32 v0, v0, s26
	s_waitcnt lgkmcnt(0)
	s_mul_i32 s7, s33, s46
	s_ashr_i32 s30, s7, 31
	s_mul_i32 s14, s34, s45
	s_add_u32 s7, s8, s7
	s_addc_u32 s9, s9, s30
	s_ashr_i32 s30, s14, 31
	s_add_u32 s8, s7, s14
	s_addc_u32 s9, s9, s30
	s_ashr_i32 s45, s44, 31
	s_lshr_b64 s[30:31], s[44:45], 2
	v_sub_u32_e32 v3, v37, v0
	v_mad_u64_u32 v[4:5], s[30:31], s30, v3, 0
	v_mov_b32_e32 v0, v5
	s_lshr_b32 s7, s45, 2
	v_mad_u64_u32 v[6:7], s[30:31], s7, v3, v[0:1]
	v_mov_b32_e32 v5, v6
	v_lshl_add_u64 v[4:5], v[4:5], 2, s[8:9]
	v_lshlrev_b32_e32 v2, 2, v2
	v_mov_b32_e32 v3, 0
	v_lshl_add_u64 v[4:5], v[4:5], 0, v[2:3]
	v_mov_b32_e32 v31, v3
	v_lshl_add_u64 v[2:3], v[4:5], 0, v[30:31]
	global_load_dwordx4 v[2:5], v[2:3], off
	v_lshlrev_b32_e32 v0, 9, v1
	v_lshlrev_b32_e32 v1, 8, v60
	v_and_b32_e32 v1, 0x300, v1
	v_add3_u32 v6, v0, v1, v63
	s_waitcnt vmcnt(0)
	v_fma_mixlo_f16 v0, s28, v2, 0
	v_fma_mixlo_f16 v1, s28, v4, 0
	v_mov_b32_e32 v2, v5
	v_and_b32_e32 v4, 0xffff, v0
	v_and_b32_e32 v5, 0xffff, v1
	v_pk_mul_f32 v[0:1], s[28:29], v[2:3] op_sel_hi:[0,1]
	v_cvt_pk_f16_f32 v0, v0, v1
	v_lshlrev_b32_e32 v1, 16, v0
	v_and_b32_e32 v0, 0xffff0000, v0
	v_or_b32_e32 v0, v0, v4
	v_or3_b32 v1, v1, v5, 0
	v_or3_b32 v0, 0, 0, v0
	ds_write_b64 v6, v[0:1] offset:18432
.LBB74_6:
	s_or_b64 exec, exec, s[4:5]
	s_ashr_i32 s35, s34, 31
	s_ashr_i32 s4, s42, 31
	s_cmp_eq_u64 s[18:19], 0
	s_waitcnt lgkmcnt(0)
	s_barrier
	s_cbranch_scc1 .LBB74_8
; %bb.7:
	s_load_dword s5, s[0:1], 0xd0
	s_mov_b32 s9, 0
	s_waitcnt lgkmcnt(0)
	s_mul_i32 s5, s5, s33
	s_add_i32 s8, s5, s2
	s_lshl_b64 s[8:9], s[8:9], 2
	s_add_u32 s8, s18, s8
	s_addc_u32 s9, s19, s9
	s_load_dword s38, s[8:9], 0x0
.LBB74_8:
	s_nop 0
	s_load_dwordx2 s[8:9], s[0:1], 0x8c
	s_load_dwordx4 s[44:47], s[0:1], 0x98
	s_load_dwordx2 s[18:19], s[0:1], 0xa8
	s_ashr_i32 s5, s33, 31
	s_ashr_i32 s30, s41, 1
	s_waitcnt lgkmcnt(0)
	s_ashr_i32 s31, s8, 2
	s_mul_hi_u32 s7, s44, s33
	s_mul_i32 s8, s44, s5
	s_add_i32 s7, s7, s8
	s_mul_i32 s8, s45, s33
	s_ashr_i32 s2, s46, 2
	s_add_i32 s7, s7, s8
	s_mul_i32 s8, s44, s33
	s_add_u32 s8, s10, s8
	s_mul_i32 s10, s6, s39
	s_addc_u32 s7, s11, s7
	s_sub_i32 s10, s40, s10
	s_xor_b32 s4, s35, s4
	s_add_i32 s11, s6, 1
	s_sub_i32 s14, s10, s39
	s_cmp_ge_u32 s10, s39
	s_cselect_b32 s6, s11, s6
	s_cselect_b32 s10, s14, s10
	s_add_i32 s11, s6, 1
	s_cmp_ge_u32 s10, s39
	s_cselect_b32 s6, s11, s6
	s_xor_b32 s6, s6, s4
	s_sub_i32 s4, s6, s4
	s_mul_i32 s6, s4, s9
	s_ashr_i32 s9, s6, 31
	s_add_u32 s39, s8, s6
	s_mul_hi_u32 s6, s18, s33
	s_mul_i32 s5, s18, s5
	s_addc_u32 s40, s7, s9
	s_add_i32 s5, s6, s5
	s_mul_i32 s6, s19, s33
	s_add_i32 s5, s5, s6
	s_mul_i32 s6, s18, s33
	s_add_u32 s6, s12, s6
	s_mul_i32 s4, s4, s47
	s_addc_u32 s5, s13, s5
	s_ashr_i32 s7, s4, 31
	s_add_u32 s14, s6, s4
	s_addc_u32 s28, s5, s7
	s_lshl_b32 s29, s3, 7
	s_add_i32 s41, s38, 0xffffff80
	s_cmp_ge_i32 s29, s41
	v_lshlrev_b32_e32 v61, 2, v60
	v_lshrrev_b32_e32 v67, 3, v29
	v_and_b32_e32 v36, 28, v28
	v_lshlrev_b32_e32 v66, 5, v60
	v_and_b32_e32 v31, 3, v29
	v_mul_lo_u32 v32, s2, v60
	v_and_b32_e32 v62, 3, v60
	v_mbcnt_lo_u32_b32 v65, -1, 0
	s_cbranch_scc1 .LBB74_21
; %bb.9:
	v_and_b32_e32 v2, 0x7f80, v66
	v_mov_b32_e32 v3, 0x4800
	v_lshl_add_u32 v73, v2, 2, v3
	v_mul_hi_u32 v3, s24, v37
	v_add_u32_e32 v0, v67, v61
	v_lshlrev_b32_e32 v1, 2, v36
	s_movk_i32 s4, 0x90
	v_add_u32_e32 v3, v37, v3
	v_mad_u32_u24 v68, v0, s4, v1
	v_mul_lo_u32 v40, s31, v0
	s_lshl_b32 s4, s31, 5
	v_lshrrev_b32_e32 v3, s25, v3
	v_add_u32_e32 v42, s4, v40
	v_and_b32_e32 v1, 0x60, v66
	v_mul_lo_u32 v3, v3, s26
	v_add_u32_e32 v44, s4, v42
	v_add_u32_e32 v0, v1, v29
	v_sub_u32_e32 v3, v37, v3
	s_movk_i32 s6, 0x3fc
	v_add_u32_e32 v46, s4, v44
	v_mul_u32_u24_e32 v72, 0x90, v0
	v_mad_u64_u32 v[48:49], s[4:5], v3, s30, v[0:1]
	v_and_or_b32 v0, v60, s6, v31
	v_mov_b32_e32 v3, 0x4e00
	v_lshl_add_u32 v74, v0, 2, v3
	v_mov_b32_e32 v0, 0x4c00
	s_cmp_lg_u64 s[36:37], 0
	v_lshl_add_u32 v6, v2, 1, v0
	s_cselect_b64 s[12:13], -1, 0
	v_lshl_or_b32 v0, v1, 1, v6
	s_lshl_b32 s6, s2, 3
	v_lshl_add_u32 v75, v29, 1, v0
	v_add_u32_e32 v0, s6, v32
	v_add_u32_e32 v2, s6, v0
	;; [unrolled: 1-line block ×3, first 2 shown]
	v_mov_b32_e32 v39, 0
	v_lshl_add_u32 v76, v60, 9, v30
	v_ashrrev_i32_e32 v33, 31, v32
	v_ashrrev_i32_e32 v1, 31, v0
	;; [unrolled: 1-line block ×4, first 2 shown]
	v_and_b32_e32 v7, 3, v60
	s_add_u32 s18, s0, 0xd0
	v_ashrrev_i32_e32 v41, 31, v40
	v_add_u32_e32 v69, 0x1200, v68
	v_ashrrev_i32_e32 v43, 31, v42
	v_add_u32_e32 v70, 0x2400, v68
	;; [unrolled: 2-line block ×3, first 2 shown]
	v_ashrrev_i32_e32 v47, 31, v46
	v_cmp_eq_u32_e64 s[4:5], 0, v29
	v_add_u32_e32 v49, 0x4e00, v61
	v_add_u32_e32 v77, 0x1000, v76
	;; [unrolled: 1-line block ×4, first 2 shown]
	v_lshl_or_b32 v80, v7, 1, v6
	v_lshl_add_u32 v81, v7, 9, v63
	s_addc_u32 s19, s1, 0
	v_mov_b32_e32 v12, 0xfeffffff
	v_lshlrev_b32_e32 v50, 2, v36
	v_mov_b32_e32 v51, v39
	s_mov_b32 s42, 0x3f200000
	s_mov_b32 s43, 0x3fb8aa3b
	s_mov_b32 s44, 0xc2ce8ed0
	s_mov_b32 s45, 0x42b17218
	v_mov_b32_e32 v82, 0x3ca908c9
	s_brev_b32 s46, -2
	v_mbcnt_hi_u32_b32 v83, -1, v65
	v_lshlrev_b32_e32 v38, 2, v28
	v_lshlrev_b64 v[52:53], 2, v[0:1]
	v_lshlrev_b64 v[54:55], 2, v[2:3]
	v_lshlrev_b64 v[56:57], 2, v[4:5]
	v_mov_b32_e32 v84, 0x7f800000
	v_mov_b32_e32 v1, v39
	;; [unrolled: 1-line block ×6, first 2 shown]
	v_lshlrev_b64 v[58:59], 2, v[32:33]
                                        ; implicit-def: $vgpr6
                                        ; implicit-def: $vgpr6
	;; [unrolled: 1-line block ×3, first 2 shown]
.LBB74_10:                              ; =>This Inner Loop Header: Depth=1
	s_mul_hi_i32 s7, s29, s31
	s_mul_i32 s6, s29, s31
	s_lshl_b64 s[6:7], s[6:7], 2
	s_add_u32 s6, s39, s6
	s_addc_u32 s7, s40, s7
	v_lshl_add_u64 v[4:5], v[40:41], 2, s[6:7]
	v_lshl_add_u64 v[8:9], v[44:45], 2, s[6:7]
	;; [unrolled: 1-line block ×7, first 2 shown]
	global_load_dwordx4 v[14:17], v[4:5], off
	global_load_dwordx4 v[18:21], v[6:7], off
	v_lshl_add_u64 v[10:11], v[10:11], 0, v[50:51]
	global_load_dwordx4 v[22:25], v[8:9], off
	global_load_dwordx4 v[86:89], v[10:11], off
	v_mov_b32_e32 v13, 0
	s_waitcnt vmcnt(3)
	ds_write_b128 v68, v[14:17]
	s_waitcnt vmcnt(2)
	ds_write_b128 v69, v[18:21]
	;; [unrolled: 2-line block ×4, first 2 shown]
	s_waitcnt lgkmcnt(0)
	s_barrier
	ds_read_b128 v[14:17], v72
	ds_read_b128 v[18:21], v73
	s_waitcnt lgkmcnt(0)
	;;#ASMSTART
	v_dot2_f32_f16 v13, v14, v18, v13
	;;#ASMEND
	s_nop 0
	;;#ASMSTART
	v_dot2_f32_f16 v13, v15, v19, v13
	;;#ASMEND
	s_nop 0
	;;#ASMSTART
	v_dot2_f32_f16 v13, v16, v20, v13
	;;#ASMEND
	s_nop 0
	;;#ASMSTART
	v_dot2_f32_f16 v13, v17, v21, v13
	;;#ASMEND
	ds_read_b128 v[14:17], v72 offset:16
	ds_read_b128 v[18:21], v73 offset:16
	s_waitcnt lgkmcnt(0)
	;;#ASMSTART
	v_dot2_f32_f16 v13, v14, v18, v13
	;;#ASMEND
	s_nop 0
	;;#ASMSTART
	v_dot2_f32_f16 v13, v15, v19, v13
	;;#ASMEND
	s_nop 0
	;;#ASMSTART
	v_dot2_f32_f16 v13, v16, v20, v13
	;;#ASMEND
	s_nop 0
	;;#ASMSTART
	v_dot2_f32_f16 v13, v17, v21, v13
	;;#ASMEND
	ds_read_b128 v[14:17], v72 offset:32
	ds_read_b128 v[18:21], v73 offset:32
	;; [unrolled: 18-line block ×7, first 2 shown]
	s_waitcnt lgkmcnt(0)
	;;#ASMSTART
	v_dot2_f32_f16 v13, v14, v18, v13
	;;#ASMEND
	s_nop 0
	;;#ASMSTART
	v_dot2_f32_f16 v13, v15, v19, v13
	;;#ASMEND
	s_nop 0
	;; [unrolled: 4-line block ×3, first 2 shown]
	;;#ASMSTART
	v_dot2_f32_f16 v13, v17, v21, v13
	;;#ASMEND
	s_barrier
	global_load_dwordx4 v[14:17], v[4:5], off offset:128
	global_load_dwordx4 v[18:21], v[6:7], off offset:128
	;; [unrolled: 1-line block ×4, first 2 shown]
	s_waitcnt vmcnt(3)
	ds_write_b128 v68, v[14:17]
	s_waitcnt vmcnt(2)
	ds_write_b128 v69, v[18:21]
	;; [unrolled: 2-line block ×4, first 2 shown]
	s_waitcnt lgkmcnt(0)
	s_barrier
	ds_read_b128 v[14:17], v72
	ds_read_b128 v[18:21], v73 offset:128
	s_waitcnt lgkmcnt(0)
	;;#ASMSTART
	v_dot2_f32_f16 v13, v14, v18, v13
	;;#ASMEND
	s_nop 0
	;;#ASMSTART
	v_dot2_f32_f16 v13, v15, v19, v13
	;;#ASMEND
	s_nop 0
	;;#ASMSTART
	v_dot2_f32_f16 v13, v16, v20, v13
	;;#ASMEND
	s_nop 0
	;;#ASMSTART
	v_dot2_f32_f16 v13, v17, v21, v13
	;;#ASMEND
	ds_read_b128 v[14:17], v72 offset:16
	ds_read_b128 v[18:21], v73 offset:144
	s_waitcnt lgkmcnt(0)
	;;#ASMSTART
	v_dot2_f32_f16 v13, v14, v18, v13
	;;#ASMEND
	s_nop 0
	;;#ASMSTART
	v_dot2_f32_f16 v13, v15, v19, v13
	;;#ASMEND
	s_nop 0
	;;#ASMSTART
	v_dot2_f32_f16 v13, v16, v20, v13
	;;#ASMEND
	s_nop 0
	;;#ASMSTART
	v_dot2_f32_f16 v13, v17, v21, v13
	;;#ASMEND
	ds_read_b128 v[14:17], v72 offset:32
	;; [unrolled: 18-line block ×7, first 2 shown]
	ds_read_b128 v[18:21], v73 offset:240
	s_waitcnt lgkmcnt(0)
	;;#ASMSTART
	v_dot2_f32_f16 v13, v14, v18, v13
	;;#ASMEND
	s_nop 0
	;;#ASMSTART
	v_dot2_f32_f16 v13, v15, v19, v13
	;;#ASMEND
	s_nop 0
	;; [unrolled: 4-line block ×3, first 2 shown]
	;;#ASMSTART
	v_dot2_f32_f16 v13, v17, v21, v13
	;;#ASMEND
	s_barrier
	global_load_dwordx4 v[14:17], v[4:5], off offset:256
	global_load_dwordx4 v[18:21], v[6:7], off offset:256
	;; [unrolled: 1-line block ×4, first 2 shown]
	s_waitcnt vmcnt(3)
	ds_write_b128 v68, v[14:17]
	s_waitcnt vmcnt(2)
	ds_write_b128 v69, v[18:21]
	;; [unrolled: 2-line block ×4, first 2 shown]
	s_waitcnt lgkmcnt(0)
	s_barrier
	ds_read_b128 v[14:17], v72
	ds_read_b128 v[18:21], v73 offset:256
	s_waitcnt lgkmcnt(0)
	;;#ASMSTART
	v_dot2_f32_f16 v13, v14, v18, v13
	;;#ASMEND
	s_nop 0
	;;#ASMSTART
	v_dot2_f32_f16 v13, v15, v19, v13
	;;#ASMEND
	s_nop 0
	;;#ASMSTART
	v_dot2_f32_f16 v13, v16, v20, v13
	;;#ASMEND
	s_nop 0
	;;#ASMSTART
	v_dot2_f32_f16 v13, v17, v21, v13
	;;#ASMEND
	ds_read_b128 v[14:17], v72 offset:16
	ds_read_b128 v[18:21], v73 offset:272
	s_waitcnt lgkmcnt(0)
	;;#ASMSTART
	v_dot2_f32_f16 v13, v14, v18, v13
	;;#ASMEND
	s_nop 0
	;;#ASMSTART
	v_dot2_f32_f16 v13, v15, v19, v13
	;;#ASMEND
	s_nop 0
	;;#ASMSTART
	v_dot2_f32_f16 v13, v16, v20, v13
	;;#ASMEND
	s_nop 0
	;;#ASMSTART
	v_dot2_f32_f16 v13, v17, v21, v13
	;;#ASMEND
	ds_read_b128 v[14:17], v72 offset:32
	;; [unrolled: 18-line block ×7, first 2 shown]
	ds_read_b128 v[18:21], v73 offset:368
	s_waitcnt lgkmcnt(0)
	;;#ASMSTART
	v_dot2_f32_f16 v13, v14, v18, v13
	;;#ASMEND
	s_nop 0
	;;#ASMSTART
	v_dot2_f32_f16 v13, v15, v19, v13
	;;#ASMEND
	s_nop 0
	;; [unrolled: 4-line block ×3, first 2 shown]
	;;#ASMSTART
	v_dot2_f32_f16 v13, v17, v21, v13
	;;#ASMEND
	s_barrier
	global_load_dwordx4 v[14:17], v[4:5], off offset:384
	global_load_dwordx4 v[18:21], v[6:7], off offset:384
	;; [unrolled: 1-line block ×4, first 2 shown]
	s_waitcnt vmcnt(3)
	ds_write_b128 v68, v[14:17]
	s_waitcnt vmcnt(2)
	ds_write_b128 v69, v[18:21]
	;; [unrolled: 2-line block ×4, first 2 shown]
	s_waitcnt lgkmcnt(0)
	s_barrier
	ds_read_b128 v[4:7], v72
	ds_read_b128 v[8:11], v73 offset:384
	s_waitcnt lgkmcnt(0)
	;;#ASMSTART
	v_dot2_f32_f16 v13, v4, v8, v13
	;;#ASMEND
	s_nop 0
	;;#ASMSTART
	v_dot2_f32_f16 v13, v5, v9, v13
	;;#ASMEND
	s_nop 0
	;;#ASMSTART
	v_dot2_f32_f16 v13, v6, v10, v13
	;;#ASMEND
	s_nop 0
	;;#ASMSTART
	v_dot2_f32_f16 v13, v7, v11, v13
	;;#ASMEND
	ds_read_b128 v[4:7], v72 offset:16
	ds_read_b128 v[8:11], v73 offset:400
	s_waitcnt lgkmcnt(0)
	;;#ASMSTART
	v_dot2_f32_f16 v13, v4, v8, v13
	;;#ASMEND
	s_nop 0
	;;#ASMSTART
	v_dot2_f32_f16 v13, v5, v9, v13
	;;#ASMEND
	s_nop 0
	;;#ASMSTART
	v_dot2_f32_f16 v13, v6, v10, v13
	;;#ASMEND
	s_nop 0
	;;#ASMSTART
	v_dot2_f32_f16 v13, v7, v11, v13
	;;#ASMEND
	ds_read_b128 v[4:7], v72 offset:32
	;; [unrolled: 18-line block ×7, first 2 shown]
	ds_read_b128 v[8:11], v73 offset:496
	s_waitcnt lgkmcnt(0)
	;;#ASMSTART
	v_dot2_f32_f16 v13, v4, v8, v13
	;;#ASMEND
	s_nop 0
	;;#ASMSTART
	v_dot2_f32_f16 v13, v5, v9, v13
	;;#ASMEND
                                        ; implicit-def: $vgpr5
	s_nop 0
	;;#ASMSTART
	v_dot2_f32_f16 v13, v6, v10, v13
	;;#ASMEND
	s_nop 0
	;;#ASMSTART
	v_dot2_f32_f16 v13, v7, v11, v13
	;;#ASMEND
	s_nop 0
	v_cmp_nlt_f32_e64 s[6:7], |v13|, s42
	s_and_saveexec_b64 s[8:9], s[6:7]
	s_xor_b64 s[6:7], exec, s[8:9]
	s_cbranch_execnz .LBB74_14
; %bb.11:                               ;   in Loop: Header=BB74_10 Depth=1
	s_andn2_saveexec_b64 s[6:7], s[6:7]
	s_cbranch_execnz .LBB74_15
.LBB74_12:                              ;   in Loop: Header=BB74_10 Depth=1
	s_or_b64 exec, exec, s[6:7]
	s_andn2_b64 vcc, exec, s[12:13]
	s_cbranch_vccnz .LBB74_16
.LBB74_13:                              ;   in Loop: Header=BB74_10 Depth=1
	v_add_u32_e32 v6, s29, v48
	v_ashrrev_i32_e32 v7, 31, v6
	v_lshl_add_u64 v[6:7], v[6:7], 1, s[36:37]
	global_load_ushort v4, v[6:7], off
	s_waitcnt vmcnt(0)
	v_cvt_f32_f16_e32 v4, v4
	v_mul_f32_e32 v4, v64, v4
	s_branch .LBB74_17
.LBB74_14:                              ;   in Loop: Header=BB74_10 Depth=1
	v_add_f32_e64 v4, |v13|, |v13|
	v_mul_f32_e32 v5, 0x3fb8aa3b, v4
	v_rndne_f32_e32 v6, v5
	v_sub_f32_e32 v7, v5, v6
	v_fma_f32 v5, v4, s43, -v5
	v_fmac_f32_e32 v5, 0x32a5705f, v4
	v_add_f32_e32 v5, v7, v5
	v_cvt_i32_f32_e32 v6, v6
	v_exp_f32_e32 v5, v5
	v_cmp_ngt_f32_e32 vcc, s44, v4
	v_ldexp_f32 v5, v5, v6
	s_nop 0
	v_cndmask_b32_e32 v5, 0, v5, vcc
	v_cmp_nlt_f32_e32 vcc, s45, v4
	s_nop 1
	v_cndmask_b32_e32 v4, v84, v5, vcc
	v_add_f32_e32 v4, 1.0, v4
	v_rcp_f32_e32 v4, v4
	s_nop 0
	v_fma_f32 v5, v4, -2.0, 1.0
	s_andn2_saveexec_b64 s[6:7], s[6:7]
	s_cbranch_execz .LBB74_12
.LBB74_15:                              ;   in Loop: Header=BB74_10 Depth=1
	v_mul_f32_e32 v4, v13, v13
	v_fmamk_f32 v5, v4, 0xbbbac73d, v82
	v_fmaak_f32 v5, v4, v5, 0xbd5c1c4e
	v_fmaak_f32 v5, v4, v5, 0x3e088382
	;; [unrolled: 1-line block ×3, first 2 shown]
	v_mul_f32_e64 v5, |v13|, v5
	v_fma_f32 v5, v4, v5, |v13|
	s_or_b64 exec, exec, s[6:7]
	s_andn2_b64 vcc, exec, s[12:13]
	s_cbranch_vccz .LBB74_13
.LBB74_16:                              ;   in Loop: Header=BB74_10 Depth=1
	v_mov_b32_e32 v4, 0
.LBB74_17:                              ;   in Loop: Header=BB74_10 Depth=1
	v_and_b32_e32 v6, 0x60, v83
	v_bfi_b32 v5, s46, v5, v13
	v_add_u32_e32 v7, 32, v6
	v_xor_b32_e32 v6, 16, v83
	v_cmp_lt_i32_e32 vcc, v6, v7
	v_fmac_f32_e32 v4, s15, v5
	v_add_f32_e32 v5, 0x40051340, v4
	v_cndmask_b32_e32 v6, v83, v6, vcc
	v_max_f32_e32 v8, v12, v12
	v_lshlrev_b32_e32 v6, 2, v6
	v_max_f32_e32 v5, v8, v5
	ds_bpermute_b32 v6, v6, v5
	v_xor_b32_e32 v8, 8, v83
	v_cmp_lt_i32_e32 vcc, v8, v7
	s_waitcnt lgkmcnt(0)
	v_max_f32_e32 v6, v6, v6
	v_cndmask_b32_e32 v8, v83, v8, vcc
	v_lshlrev_b32_e32 v8, 2, v8
	v_max_f32_e32 v5, v5, v6
	ds_bpermute_b32 v6, v8, v5
	v_xor_b32_e32 v8, 4, v83
	v_cmp_lt_i32_e32 vcc, v8, v7
	s_waitcnt lgkmcnt(0)
	v_max_f32_e32 v6, v6, v6
	v_cndmask_b32_e32 v8, v83, v8, vcc
	;; [unrolled: 8-line block ×3, first 2 shown]
	v_lshlrev_b32_e32 v9, 2, v9
	v_max_f32_e32 v8, v6, v8
	ds_bpermute_b32 v9, v9, v8
	v_xor_b32_e32 v6, 1, v83
	v_cmp_lt_i32_e32 vcc, v6, v7
	s_nop 1
	v_cndmask_b32_e32 v7, v83, v6, vcc
	v_lshlrev_b32_e32 v10, 2, v7
	s_waitcnt lgkmcnt(0)
	v_max_f32_e32 v7, v9, v9
	v_max_f32_e32 v7, v8, v7
	ds_bpermute_b32 v8, v10, v7
	s_and_saveexec_b64 s[6:7], s[4:5]
	s_cbranch_execz .LBB74_19
; %bb.18:                               ;   in Loop: Header=BB74_10 Depth=1
	s_waitcnt lgkmcnt(0)
	v_max_f32_e32 v8, v8, v8
	v_max_f32_e32 v7, v7, v7
	v_max_f32_e32 v7, v7, v8
	ds_write_b32 v49, v7
.LBB74_19:                              ;   in Loop: Header=BB74_10 Depth=1
	s_or_b64 exec, exec, s[6:7]
	s_mul_hi_i32 s7, s29, s2
	s_mul_i32 s6, s29, s2
	s_lshl_b64 s[6:7], s[6:7], 2
	s_add_u32 s6, s14, s6
	s_addc_u32 s7, s28, s7
	s_waitcnt lgkmcnt(0)
	v_lshl_add_u64 v[8:9], s[6:7], 0, v[58:59]
	v_lshl_add_u64 v[18:19], v[8:9], 0, v[38:39]
	;; [unrolled: 1-line block ×3, first 2 shown]
	s_barrier
	v_lshl_add_u64 v[20:21], v[8:9], 0, v[38:39]
	global_load_dwordx4 v[8:11], v[18:19], off
	global_load_dwordx4 v[14:17], v[20:21], off
	v_lshl_add_u64 v[18:19], s[6:7], 0, v[54:55]
	v_lshl_add_u64 v[26:27], v[18:19], 0, v[38:39]
	;; [unrolled: 1-line block ×4, first 2 shown]
	global_load_dwordx4 v[18:21], v[26:27], off
	global_load_dwordx4 v[22:25], v[86:87], off
	ds_read_b32 v7, v74
	v_and_b32_e32 v13, 0x7c, v83
	v_add_u32_e32 v13, 4, v13
	v_cmp_lt_i32_e32 vcc, v5, v13
	v_add_u32_e32 v33, 0x800, v81
	v_add_u32_e32 v88, 0x1000, v81
	v_cndmask_b32_e32 v5, v83, v5, vcc
	v_lshlrev_b32_e32 v5, 2, v5
	s_waitcnt lgkmcnt(0)
	ds_bpermute_b32 v5, v5, v7
	v_cmp_lt_i32_e32 vcc, v6, v13
	v_max_f32_e32 v7, v7, v7
	v_add_u32_e32 v87, 0x1800, v81
	v_cndmask_b32_e32 v6, v83, v6, vcc
	s_waitcnt lgkmcnt(0)
	v_max_f32_e32 v5, v5, v5
	v_lshlrev_b32_e32 v6, 2, v6
	v_max_f32_e32 v5, v7, v5
	ds_bpermute_b32 v6, v6, v5
	v_add_u32_e32 v91, 0x2000, v81
	v_add_u32_e32 v90, 0x2800, v81
	;; [unrolled: 1-line block ×4, first 2 shown]
	s_waitcnt lgkmcnt(0)
	v_max_f32_e32 v6, v6, v6
	v_max_f32_e32 v34, v5, v6
	v_sub_f32_e32 v5, v12, v34
	v_sub_f32_e32 v4, v4, v34
	v_mul_f32_e32 v7, 0x3fb8aa3b, v5
	v_mul_f32_e32 v6, 0x3fb8aa3b, v4
	v_fma_f32 v26, v5, s43, -v7
	v_rndne_f32_e32 v27, v7
	v_fma_f32 v12, v4, s43, -v6
	v_rndne_f32_e32 v13, v6
	v_fmac_f32_e32 v26, 0x32a5705f, v5
	v_sub_f32_e32 v7, v7, v27
	v_fmac_f32_e32 v12, 0x32a5705f, v4
	v_sub_f32_e32 v6, v6, v13
	v_add_f32_e32 v7, v7, v26
	v_cvt_i32_f32_e32 v27, v27
	v_add_f32_e32 v6, v6, v12
	v_exp_f32_e32 v7, v7
	v_cvt_i32_f32_e32 v13, v13
	v_exp_f32_e32 v6, v6
	v_cmp_ngt_f32_e64 s[6:7], s44, v5
	v_cmp_nlt_f32_e64 s[10:11], s45, v5
	v_ldexp_f32 v5, v7, v27
	v_cmp_ngt_f32_e32 vcc, s44, v4
	v_cmp_nlt_f32_e64 s[8:9], s45, v4
	v_ldexp_f32 v4, v6, v13
	v_cndmask_b32_e64 v5, 0, v5, s[6:7]
	v_cndmask_b32_e32 v4, 0, v4, vcc
	v_cndmask_b32_e64 v86, v84, v5, s[10:11]
	v_cndmask_b32_e64 v85, v84, v4, s[8:9]
	v_cvt_f16_f32_e32 v4, v86
	v_cvt_f16_f32_e32 v5, v85
	s_or_b32 s6, s29, 32
	s_mul_hi_i32 s7, s6, s2
	s_mul_i32 s6, s6, s2
	s_lshl_b64 s[6:7], s[6:7], 2
	v_mul_u32_u24_e32 v93, 0x10001, v4
	s_add_u32 s6, s14, s6
	ds_write_b16 v75, v5
	v_pk_mul_f16 v12, v2, v93
	v_pk_mul_f16 v13, v3, v93
	s_addc_u32 s7, s28, s7
	v_lshl_add_u64 v[26:27], s[6:7], 0, v[58:59]
	v_lshl_add_u64 v[26:27], v[26:27], 0, v[38:39]
	;; [unrolled: 1-line block ×4, first 2 shown]
	v_fma_f32 v35, v35, v86, v85
	s_waitcnt vmcnt(3)
	ds_write_b128 v76, v[8:11]
	s_waitcnt vmcnt(2)
	ds_write_b128 v77, v[14:17]
	;; [unrolled: 2-line block ×4, first 2 shown]
	s_waitcnt lgkmcnt(0)
	s_barrier
	ds_read2_b64 v[2:5], v81 offset1:32
	ds_read_u16 v10, v80
	ds_read_u16 v110, v80 offset:8
	ds_read_u16 v111, v80 offset:16
	;; [unrolled: 1-line block ×7, first 2 shown]
	ds_read2_b64 v[6:9], v33 offset1:32
	s_waitcnt lgkmcnt(8)
	v_mul_u32_u24_e32 v10, 0x10001, v10
	v_pk_mul_f16 v108, v2, v10
	v_pk_mul_f16 v109, v3, v10
	v_pk_fma_f16 v117, v4, v10, v12
	v_pk_fma_f16 v118, v5, v10, v13
	ds_read2_b64 v[2:5], v88 offset1:32
	ds_read2_b64 v[10:13], v87 offset1:32
	;; [unrolled: 1-line block ×6, first 2 shown]
	s_waitcnt lgkmcnt(0)
	s_barrier
	global_load_dwordx4 v[98:101], v[26:27], off
	global_load_dwordx4 v[102:105], v[106:107], off
	v_pk_fma_f16 v119, v0, v93, v108
	v_pk_fma_f16 v93, v1, v93, v109
	v_lshl_add_u64 v[0:1], s[6:7], 0, v[54:55]
	v_lshl_add_u64 v[0:1], v[0:1], 0, v[38:39]
	;; [unrolled: 1-line block ×4, first 2 shown]
	global_load_dwordx4 v[106:109], v[0:1], off
	v_mul_u32_u24_e32 v0, 0x10001, v110
	v_pk_fma_f16 v1, v8, v0, v117
	v_pk_fma_f16 v110, v9, v0, v118
	;; [unrolled: 1-line block ×4, first 2 shown]
	global_load_dwordx4 v[6:9], v[26:27], off
	s_or_b32 s6, s29, 64
	v_mul_u32_u24_e32 v26, 0x10001, v111
	s_mul_hi_i32 s7, s6, s2
	s_mul_i32 s6, s6, s2
	v_mul_u32_u24_e32 v27, 0x10001, v112
	v_pk_fma_f16 v1, v4, v26, v1
	v_pk_fma_f16 v4, v5, v26, v110
	;; [unrolled: 1-line block ×4, first 2 shown]
	s_lshl_b64 s[6:7], s[6:7], 2
	v_mul_u32_u24_e32 v93, 0x10001, v113
	v_pk_fma_f16 v1, v12, v27, v1
	v_pk_fma_f16 v3, v13, v27, v4
	;; [unrolled: 1-line block ×4, first 2 shown]
	s_add_u32 s6, s14, s6
	v_mul_u32_u24_e32 v111, 0x10001, v114
	v_pk_fma_f16 v1, v16, v93, v1
	v_pk_fma_f16 v3, v17, v93, v3
	v_pk_fma_f16 v2, v14, v93, v2
	v_pk_fma_f16 v0, v15, v93, v0
	s_addc_u32 s7, s28, s7
	v_mul_u32_u24_e32 v112, 0x10001, v115
	v_pk_fma_f16 v1, v20, v111, v1
	v_pk_fma_f16 v3, v21, v111, v3
	;; [unrolled: 1-line block ×4, first 2 shown]
	v_mul_u32_u24_e32 v113, 0x10001, v116
	v_pk_fma_f16 v1, v24, v112, v1
	v_pk_fma_f16 v3, v25, v112, v3
	;; [unrolled: 1-line block ×8, first 2 shown]
	s_waitcnt vmcnt(3)
	ds_write_b128 v76, v[98:101]
	s_waitcnt vmcnt(2)
	ds_write_b128 v77, v[102:105]
	;; [unrolled: 2-line block ×4, first 2 shown]
	v_lshl_add_u64 v[98:99], s[6:7], 0, v[58:59]
	v_lshl_add_u64 v[106:107], v[98:99], 0, v[38:39]
	v_lshl_add_u64 v[98:99], s[6:7], 0, v[52:53]
	s_waitcnt lgkmcnt(0)
	s_barrier
	ds_read2_b64 v[4:7], v81 offset1:32
	ds_read_u16 v113, v80 offset:64
	ds_read_u16 v114, v80 offset:72
	;; [unrolled: 1-line block ×8, first 2 shown]
	ds_read2_b64 v[8:11], v33 offset1:32
	ds_read2_b64 v[12:15], v88 offset1:32
	;; [unrolled: 1-line block ×7, first 2 shown]
	s_waitcnt lgkmcnt(0)
	s_barrier
	v_lshl_add_u64 v[108:109], v[98:99], 0, v[38:39]
	global_load_dwordx4 v[98:101], v[106:107], off
	global_load_dwordx4 v[102:105], v[108:109], off
	v_mul_u32_u24_e32 v106, 0x10001, v113
	v_pk_fma_f16 v108, v4, v106, v111
	v_pk_fma_f16 v109, v5, v106, v112
	v_lshl_add_u64 v[4:5], s[6:7], 0, v[54:55]
	v_pk_fma_f16 v93, v6, v106, v93
	v_pk_fma_f16 v110, v7, v106, v110
	v_lshl_add_u64 v[4:5], v[4:5], 0, v[38:39]
	v_lshl_add_u64 v[6:7], s[6:7], 0, v[56:57]
	;; [unrolled: 1-line block ×3, first 2 shown]
	global_load_dwordx4 v[4:7], v[4:5], off
	v_mul_u32_u24_e32 v111, 0x10001, v114
	v_pk_fma_f16 v108, v8, v111, v108
	v_pk_fma_f16 v109, v9, v111, v109
	;; [unrolled: 1-line block ×4, first 2 shown]
	global_load_dwordx4 v[8:11], v[106:107], off
	s_or_b32 s6, s29, 0x60
	v_mul_u32_u24_e32 v106, 0x10001, v115
	s_mul_hi_i32 s7, s6, s2
	s_mul_i32 s6, s6, s2
	v_pk_fma_f16 v12, v12, v106, v108
	v_pk_fma_f16 v13, v13, v106, v109
	;; [unrolled: 1-line block ×4, first 2 shown]
	v_mul_u32_u24_e32 v93, 0x10001, v116
	s_lshl_b64 s[6:7], s[6:7], 2
	v_pk_fma_f16 v12, v16, v93, v12
	v_pk_fma_f16 v13, v17, v93, v13
	;; [unrolled: 1-line block ×4, first 2 shown]
	v_mul_u32_u24_e32 v16, 0x10001, v117
	s_add_u32 s6, s14, s6
	v_pk_fma_f16 v12, v20, v16, v12
	v_pk_fma_f16 v13, v21, v16, v13
	;; [unrolled: 1-line block ×4, first 2 shown]
	v_mul_u32_u24_e32 v16, 0x10001, v118
	s_addc_u32 s7, s28, s7
	v_pk_fma_f16 v12, v24, v16, v12
	v_pk_fma_f16 v13, v25, v16, v13
	;; [unrolled: 1-line block ×4, first 2 shown]
	v_mul_u32_u24_e32 v16, 0x10001, v119
	s_waitcnt vmcnt(3)
	ds_write_b128 v76, v[98:101]
	s_waitcnt vmcnt(2)
	ds_write_b128 v77, v[102:105]
	;; [unrolled: 2-line block ×4, first 2 shown]
	v_lshl_add_u64 v[98:99], s[6:7], 0, v[58:59]
	v_pk_fma_f16 v12, v94, v16, v12
	v_pk_fma_f16 v13, v95, v16, v13
	;; [unrolled: 1-line block ×4, first 2 shown]
	v_mul_u32_u24_e32 v16, 0x10001, v120
	v_lshl_add_u64 v[106:107], v[98:99], 0, v[38:39]
	v_lshl_add_u64 v[98:99], s[6:7], 0, v[52:53]
	v_pk_fma_f16 v93, v0, v16, v12
	v_pk_fma_f16 v110, v1, v16, v13
	;; [unrolled: 1-line block ×4, first 2 shown]
	s_waitcnt lgkmcnt(0)
	s_barrier
	ds_read2_b64 v[94:97], v81 offset1:32
	ds_read_u16 v113, v80 offset:128
	ds_read_u16 v114, v80 offset:136
	;; [unrolled: 1-line block ×8, first 2 shown]
	ds_read2_b64 v[24:27], v33 offset1:32
	ds_read2_b64 v[20:23], v88 offset1:32
	ds_read2_b64 v[16:19], v87 offset1:32
	ds_read2_b64 v[12:15], v91 offset1:32
	ds_read2_b64 v[8:11], v90 offset1:32
	ds_read2_b64 v[4:7], v89 offset1:32
	ds_read2_b64 v[0:3], v92 offset1:32
	s_waitcnt lgkmcnt(0)
	s_barrier
	v_lshl_add_u64 v[108:109], v[98:99], 0, v[38:39]
	global_load_dwordx4 v[98:101], v[106:107], off
	global_load_dwordx4 v[102:105], v[108:109], off
	v_mul_u32_u24_e32 v106, 0x10001, v113
	v_pk_fma_f16 v93, v94, v106, v93
	v_pk_fma_f16 v110, v95, v106, v110
	v_lshl_add_u64 v[94:95], s[6:7], 0, v[54:55]
	v_pk_fma_f16 v111, v96, v106, v111
	v_pk_fma_f16 v112, v97, v106, v112
	v_lshl_add_u64 v[94:95], v[94:95], 0, v[38:39]
	v_lshl_add_u64 v[96:97], s[6:7], 0, v[56:57]
	;; [unrolled: 1-line block ×3, first 2 shown]
	global_load_dwordx4 v[94:97], v[94:95], off
	v_mul_u32_u24_e32 v85, 0x10001, v114
	global_load_dwordx4 v[106:109], v[106:107], off
	v_pk_fma_f16 v24, v24, v85, v93
	v_pk_fma_f16 v25, v25, v85, v110
	v_pk_fma_f16 v26, v26, v85, v111
	v_pk_fma_f16 v27, v27, v85, v112
	v_mul_u32_u24_e32 v85, 0x10001, v115
	v_pk_fma_f16 v20, v20, v85, v24
	v_pk_fma_f16 v21, v21, v85, v25
	v_pk_fma_f16 v22, v22, v85, v26
	v_pk_fma_f16 v23, v23, v85, v27
	v_mul_u32_u24_e32 v24, 0x10001, v116
	;; [unrolled: 5-line block ×6, first 2 shown]
	v_pk_fma_f16 v4, v0, v8, v4
	v_pk_fma_f16 v9, v1, v8, v5
	;; [unrolled: 1-line block ×4, first 2 shown]
	s_waitcnt vmcnt(3)
	ds_write_b128 v76, v[98:101]
	s_waitcnt vmcnt(2)
	ds_write_b128 v77, v[102:105]
	;; [unrolled: 2-line block ×4, first 2 shown]
	s_waitcnt lgkmcnt(0)
	s_barrier
	ds_read2_b64 v[0:3], v81 offset1:32
	ds_read_u16 v5, v80 offset:192
	ds_read_u16 v11, v80 offset:200
	;; [unrolled: 1-line block ×8, first 2 shown]
	s_waitcnt lgkmcnt(7)
	v_mul_u32_u24_e32 v18, 0x10001, v5
	v_pk_fma_f16 v0, v0, v18, v4
	ds_read2_b64 v[4:7], v33 offset1:32
	s_waitcnt lgkmcnt(7)
	v_mul_u32_u24_e32 v11, 0x10001, v11
	v_pk_fma_f16 v9, v1, v18, v9
	v_pk_fma_f16 v10, v2, v18, v10
	;; [unrolled: 1-line block ×3, first 2 shown]
	s_waitcnt lgkmcnt(0)
	v_pk_fma_f16 v4, v4, v11, v0
	ds_read2_b64 v[0:3], v88 offset1:32
	v_pk_fma_f16 v9, v5, v11, v9
	v_pk_fma_f16 v10, v6, v11, v10
	v_pk_fma_f16 v8, v7, v11, v8
	v_mul_u32_u24_e32 v11, 0x10001, v12
	s_waitcnt lgkmcnt(0)
	v_pk_fma_f16 v0, v0, v11, v4
	ds_read2_b64 v[4:7], v87 offset1:32
	v_pk_fma_f16 v9, v1, v11, v9
	v_pk_fma_f16 v10, v2, v11, v10
	v_pk_fma_f16 v8, v3, v11, v8
	v_mul_u32_u24_e32 v11, 0x10001, v13
	;; [unrolled: 7-line block ×5, first 2 shown]
	s_waitcnt lgkmcnt(0)
	v_pk_fma_f16 v4, v0, v8, v4
	v_pk_fma_f16 v5, v1, v8, v5
	;; [unrolled: 1-line block ×4, first 2 shown]
	ds_read2_b64 v[0:3], v92 offset1:32
	s_waitcnt lgkmcnt(0)
	s_barrier
	s_load_dword s6, s[18:19], 0x4
	v_mul_u32_u24_e32 v8, 0x10001, v17
	v_pk_fma_f16 v0, v0, v8, v4
	v_pk_fma_f16 v1, v1, v8, v5
	;; [unrolled: 1-line block ×3, first 2 shown]
	s_waitcnt lgkmcnt(0)
	s_lshl_b32 s6, s6, 7
	s_add_i32 s29, s6, s29
	s_cmp_lt_i32 s29, s41
	v_pk_fma_f16 v3, v3, v8, v7
	s_cbranch_scc0 .LBB74_22
; %bb.20:                               ;   in Loop: Header=BB74_10 Depth=1
	v_mov_b32_e32 v12, v34
	s_branch .LBB74_10
.LBB74_21:
	v_mov_b32_e32 v3, 0
	v_mov_b32_e32 v35, 0
	;; [unrolled: 1-line block ×6, first 2 shown]
.LBB74_22:
	s_cmp_gt_i32 s38, s29
	s_cbranch_scc1 .LBB74_25
; %bb.23:
	v_mbcnt_hi_u32_b32 v10, -1, v65
	v_and_b32_e32 v4, 0x60, v10
	v_add_u32_e32 v11, 32, v4
	v_xor_b32_e32 v12, 16, v10
	v_xor_b32_e32 v13, 8, v10
	;; [unrolled: 1-line block ×5, first 2 shown]
	v_and_b32_e32 v4, 3, v60
	s_cbranch_execz .LBB74_26
; %bb.24:
	v_mov_b32_e32 v62, v4
	s_branch .LBB74_38
.LBB74_25:
                                        ; implicit-def: $vgpr10
                                        ; implicit-def: $vgpr11
                                        ; implicit-def: $vgpr12
                                        ; implicit-def: $vgpr13
                                        ; implicit-def: $vgpr14
                                        ; implicit-def: $vgpr15
                                        ; implicit-def: $vgpr16
                                        ; implicit-def: $vgpr4
.LBB74_26:
	s_mul_hi_i32 s7, s29, s31
	s_mul_i32 s6, s29, s31
	s_sub_i32 s10, s38, s29
	s_lshl_b64 s[6:7], s[6:7], 2
	v_lshl_add_u32 v16, v60, 2, v67
	s_add_u32 s6, s39, s6
	v_mul_lo_u32 v8, s31, v16
	s_addc_u32 s7, s40, s7
	v_ashrrev_i32_e32 v9, 31, v8
	s_mov_b32 s40, 0
	s_mov_b64 s[4:5], src_private_base
	v_lshlrev_b32_e32 v4, 2, v36
	v_mov_b32_e32 v5, 0
	s_mov_b32 s41, s40
	s_mov_b32 s42, s40
	v_mov_b32_e32 v22, s40
	v_lshl_add_u64 v[6:7], v[8:9], 2, s[6:7]
	v_mov_b32_e32 v23, s41
	v_mov_b32_e32 v24, s42
	v_lshl_add_u64 v[6:7], v[6:7], 0, v[4:5]
	v_mov_b32_e32 v17, s5
	v_cmp_gt_i32_e32 vcc, s10, v16
	v_mov_b32_e32 v21, 0
	scratch_store_dword off, v5, off
	scratch_store_dwordx3 off, v[22:24], off offset:4
	v_cndmask_b32_e32 v11, v17, v7, vcc
	v_cndmask_b32_e32 v10, v21, v6, vcc
	flat_load_dwordx4 v[10:13], v[10:11]
	s_lshl_b32 s11, s31, 5
	v_add_u32_e32 v18, s11, v8
	v_ashrrev_i32_e32 v19, 31, v18
	s_movk_i32 s4, 0x90
	v_add_u32_e32 v14, 32, v16
	v_lshl_add_u64 v[8:9], v[18:19], 2, s[6:7]
	v_mad_u32_u24 v20, v16, s4, v4
	v_lshl_add_u64 v[8:9], v[8:9], 0, v[4:5]
	v_cmp_gt_i32_e64 s[8:9], s10, v14
	scratch_store_dword off, v5, off
	scratch_store_dwordx3 off, v[22:24], off offset:4
	v_cndmask_b32_e64 v15, v17, v9, s[8:9]
	v_cndmask_b32_e64 v14, v21, v8, s[8:9]
	v_add_u32_e32 v18, s11, v18
	v_ashrrev_i32_e32 v19, 31, v18
	v_add_u32_e32 v25, 64, v16
	v_cmp_gt_i32_e64 s[4:5], s10, v25
	s_mov_b64 s[12:13], 0x80
	s_waitcnt vmcnt(0) lgkmcnt(0)
	ds_write_b128 v20, v[10:13]
	flat_load_dwordx4 v[12:15], v[14:15]
	v_lshl_add_u64 v[10:11], v[18:19], 2, s[6:7]
	v_lshl_add_u64 v[10:11], v[10:11], 0, v[4:5]
	v_cndmask_b32_e64 v27, v17, v11, s[4:5]
	v_cndmask_b32_e64 v26, v21, v10, s[4:5]
	scratch_store_dword off, v5, off
	scratch_store_dwordx3 off, v[22:24], off offset:4
	s_waitcnt vmcnt(0) lgkmcnt(0)
	ds_write_b128 v20, v[12:15] offset:4608
	flat_load_dwordx4 v[38:41], v[26:27]
	v_add_u32_e32 v12, s11, v18
	v_ashrrev_i32_e32 v13, 31, v12
	v_add_u32_e32 v14, 0x60, v16
	v_lshl_add_u64 v[12:13], v[12:13], 2, s[6:7]
	v_lshl_add_u64 v[12:13], v[12:13], 0, v[4:5]
	v_cmp_gt_i32_e64 s[6:7], s10, v14
	scratch_store_dword off, v5, off
	scratch_store_dwordx3 off, v[22:24], off offset:4
	v_cndmask_b32_e64 v15, v17, v13, s[6:7]
	v_cndmask_b32_e64 v14, v21, v12, s[6:7]
	v_and_b32_e32 v4, 0x60, v66
	v_add_u32_e32 v19, v4, v29
	v_and_b32_e32 v18, 0x7f80, v66
	v_mul_u32_u24_e32 v16, 0x90, v19
	v_lshl_add_u64 v[26:27], v[6:7], 0, s[12:13]
	v_cndmask_b32_e32 v27, v17, v27, vcc
	v_cndmask_b32_e32 v26, v21, v26, vcc
	s_waitcnt vmcnt(0) lgkmcnt(0)
	ds_write_b128 v20, v[38:41] offset:9216
	flat_load_dwordx4 v[38:41], v[14:15]
	v_lshlrev_b32_e32 v15, 2, v18
	v_mov_b32_e32 v14, v5
	s_waitcnt vmcnt(0) lgkmcnt(0)
	ds_write_b128 v20, v[38:41] offset:13824
	s_waitcnt lgkmcnt(0)
	s_barrier
	ds_read_b128 v[38:41], v16
	ds_read_b128 v[42:45], v15 offset:18432
	s_waitcnt lgkmcnt(0)
	;;#ASMSTART
	v_dot2_f32_f16 v14, v38, v42, v14
	;;#ASMEND
	s_nop 0
	;;#ASMSTART
	v_dot2_f32_f16 v14, v39, v43, v14
	;;#ASMEND
	s_nop 0
	;;#ASMSTART
	v_dot2_f32_f16 v14, v40, v44, v14
	;;#ASMEND
	s_nop 0
	;;#ASMSTART
	v_dot2_f32_f16 v14, v41, v45, v14
	;;#ASMEND
	ds_read_b128 v[38:41], v16 offset:16
	ds_read_b128 v[42:45], v15 offset:18448
	s_waitcnt lgkmcnt(0)
	;;#ASMSTART
	v_dot2_f32_f16 v14, v38, v42, v14
	;;#ASMEND
	s_nop 0
	;;#ASMSTART
	v_dot2_f32_f16 v14, v39, v43, v14
	;;#ASMEND
	s_nop 0
	;;#ASMSTART
	v_dot2_f32_f16 v14, v40, v44, v14
	;;#ASMEND
	s_nop 0
	;;#ASMSTART
	v_dot2_f32_f16 v14, v41, v45, v14
	;;#ASMEND
	ds_read_b128 v[38:41], v16 offset:32
	;; [unrolled: 18-line block ×7, first 2 shown]
	ds_read_b128 v[42:45], v15 offset:18544
	s_waitcnt lgkmcnt(0)
	;;#ASMSTART
	v_dot2_f32_f16 v14, v38, v42, v14
	;;#ASMEND
	s_nop 0
	;;#ASMSTART
	v_dot2_f32_f16 v14, v39, v43, v14
	;;#ASMEND
	s_nop 0
	;; [unrolled: 4-line block ×3, first 2 shown]
	;;#ASMSTART
	v_dot2_f32_f16 v14, v41, v45, v14
	;;#ASMEND
	s_barrier
	scratch_store_dword off, v5, off
	scratch_store_dwordx3 off, v[22:24], off offset:4
	flat_load_dwordx4 v[38:41], v[26:27]
	v_lshl_add_u64 v[26:27], v[8:9], 0, s[12:13]
	v_cndmask_b32_e64 v27, v17, v27, s[8:9]
	v_cndmask_b32_e64 v26, v21, v26, s[8:9]
	scratch_store_dword off, v5, off
	scratch_store_dwordx3 off, v[22:24], off offset:4
	s_waitcnt vmcnt(0) lgkmcnt(0)
	ds_write_b128 v20, v[38:41]
	flat_load_dwordx4 v[38:41], v[26:27]
	v_lshl_add_u64 v[26:27], v[10:11], 0, s[12:13]
	v_cndmask_b32_e64 v27, v17, v27, s[4:5]
	v_cndmask_b32_e64 v26, v21, v26, s[4:5]
	scratch_store_dword off, v5, off
	scratch_store_dwordx3 off, v[22:24], off offset:4
	s_waitcnt vmcnt(0) lgkmcnt(0)
	ds_write_b128 v20, v[38:41] offset:4608
	flat_load_dwordx4 v[38:41], v[26:27]
	v_lshl_add_u64 v[26:27], v[12:13], 0, s[12:13]
	v_cndmask_b32_e64 v27, v17, v27, s[6:7]
	v_cndmask_b32_e64 v26, v21, v26, s[6:7]
	scratch_store_dword off, v5, off
	scratch_store_dwordx3 off, v[22:24], off offset:4
	s_mov_b64 s[12:13], 0x100
	s_waitcnt vmcnt(0) lgkmcnt(0)
	ds_write_b128 v20, v[38:41] offset:9216
	flat_load_dwordx4 v[38:41], v[26:27]
	v_lshl_add_u64 v[26:27], v[6:7], 0, s[12:13]
	v_cndmask_b32_e32 v27, v17, v27, vcc
	v_cndmask_b32_e32 v26, v21, v26, vcc
	s_waitcnt vmcnt(0) lgkmcnt(0)
	ds_write_b128 v20, v[38:41] offset:13824
	s_waitcnt lgkmcnt(0)
	s_barrier
	ds_read_b128 v[38:41], v16
	ds_read_b128 v[42:45], v15 offset:18560
	s_waitcnt lgkmcnt(0)
	;;#ASMSTART
	v_dot2_f32_f16 v14, v38, v42, v14
	;;#ASMEND
	s_nop 0
	;;#ASMSTART
	v_dot2_f32_f16 v14, v39, v43, v14
	;;#ASMEND
	s_nop 0
	;;#ASMSTART
	v_dot2_f32_f16 v14, v40, v44, v14
	;;#ASMEND
	s_nop 0
	;;#ASMSTART
	v_dot2_f32_f16 v14, v41, v45, v14
	;;#ASMEND
	ds_read_b128 v[38:41], v16 offset:16
	ds_read_b128 v[42:45], v15 offset:18576
	s_waitcnt lgkmcnt(0)
	;;#ASMSTART
	v_dot2_f32_f16 v14, v38, v42, v14
	;;#ASMEND
	s_nop 0
	;;#ASMSTART
	v_dot2_f32_f16 v14, v39, v43, v14
	;;#ASMEND
	s_nop 0
	;;#ASMSTART
	v_dot2_f32_f16 v14, v40, v44, v14
	;;#ASMEND
	s_nop 0
	;;#ASMSTART
	v_dot2_f32_f16 v14, v41, v45, v14
	;;#ASMEND
	ds_read_b128 v[38:41], v16 offset:32
	;; [unrolled: 18-line block ×7, first 2 shown]
	ds_read_b128 v[42:45], v15 offset:18672
	s_waitcnt lgkmcnt(0)
	;;#ASMSTART
	v_dot2_f32_f16 v14, v38, v42, v14
	;;#ASMEND
	s_nop 0
	;;#ASMSTART
	v_dot2_f32_f16 v14, v39, v43, v14
	;;#ASMEND
	s_nop 0
	;; [unrolled: 4-line block ×3, first 2 shown]
	;;#ASMSTART
	v_dot2_f32_f16 v14, v41, v45, v14
	;;#ASMEND
	s_barrier
	scratch_store_dword off, v5, off
	scratch_store_dwordx3 off, v[22:24], off offset:4
	flat_load_dwordx4 v[38:41], v[26:27]
	v_lshl_add_u64 v[26:27], v[8:9], 0, s[12:13]
	v_cndmask_b32_e64 v27, v17, v27, s[8:9]
	v_cndmask_b32_e64 v26, v21, v26, s[8:9]
	scratch_store_dword off, v5, off
	scratch_store_dwordx3 off, v[22:24], off offset:4
	s_waitcnt vmcnt(0) lgkmcnt(0)
	ds_write_b128 v20, v[38:41]
	flat_load_dwordx4 v[38:41], v[26:27]
	v_lshl_add_u64 v[26:27], v[10:11], 0, s[12:13]
	v_cndmask_b32_e64 v27, v17, v27, s[4:5]
	v_cndmask_b32_e64 v26, v21, v26, s[4:5]
	scratch_store_dword off, v5, off
	scratch_store_dwordx3 off, v[22:24], off offset:4
	s_waitcnt vmcnt(0) lgkmcnt(0)
	ds_write_b128 v20, v[38:41] offset:4608
	flat_load_dwordx4 v[38:41], v[26:27]
	v_lshl_add_u64 v[26:27], v[12:13], 0, s[12:13]
	v_cndmask_b32_e64 v27, v17, v27, s[6:7]
	v_cndmask_b32_e64 v26, v21, v26, s[6:7]
	scratch_store_dword off, v5, off
	scratch_store_dwordx3 off, v[22:24], off offset:4
	s_mov_b64 s[12:13], 0x180
	v_lshl_add_u64 v[6:7], v[6:7], 0, s[12:13]
	v_cndmask_b32_e32 v7, v17, v7, vcc
	v_cndmask_b32_e32 v6, v21, v6, vcc
	v_lshl_add_u64 v[10:11], v[10:11], 0, s[12:13]
	v_cndmask_b32_e64 v11, v17, v11, s[4:5]
	v_cndmask_b32_e64 v10, v21, v10, s[4:5]
	s_mov_b32 s4, 0x3f200000
	s_waitcnt vmcnt(0) lgkmcnt(0)
	ds_write_b128 v20, v[38:41] offset:9216
	flat_load_dwordx4 v[38:41], v[26:27]
	s_waitcnt vmcnt(0) lgkmcnt(0)
	ds_write_b128 v20, v[38:41] offset:13824
	s_waitcnt lgkmcnt(0)
	s_barrier
	ds_read_b128 v[38:41], v16
	ds_read_b128 v[42:45], v15 offset:18688
	s_waitcnt lgkmcnt(0)
	;;#ASMSTART
	v_dot2_f32_f16 v14, v38, v42, v14
	;;#ASMEND
	s_nop 0
	;;#ASMSTART
	v_dot2_f32_f16 v14, v39, v43, v14
	;;#ASMEND
	s_nop 0
	;;#ASMSTART
	v_dot2_f32_f16 v14, v40, v44, v14
	;;#ASMEND
	s_nop 0
	;;#ASMSTART
	v_dot2_f32_f16 v14, v41, v45, v14
	;;#ASMEND
	ds_read_b128 v[38:41], v16 offset:16
	ds_read_b128 v[42:45], v15 offset:18704
	s_waitcnt lgkmcnt(0)
	;;#ASMSTART
	v_dot2_f32_f16 v14, v38, v42, v14
	;;#ASMEND
	s_nop 0
	;;#ASMSTART
	v_dot2_f32_f16 v14, v39, v43, v14
	;;#ASMEND
	s_nop 0
	;;#ASMSTART
	v_dot2_f32_f16 v14, v40, v44, v14
	;;#ASMEND
	s_nop 0
	;;#ASMSTART
	v_dot2_f32_f16 v14, v41, v45, v14
	;;#ASMEND
	ds_read_b128 v[38:41], v16 offset:32
	;; [unrolled: 18-line block ×7, first 2 shown]
	ds_read_b128 v[42:45], v15 offset:18800
	s_waitcnt lgkmcnt(0)
	;;#ASMSTART
	v_dot2_f32_f16 v14, v38, v42, v14
	;;#ASMEND
	s_nop 0
	;;#ASMSTART
	v_dot2_f32_f16 v14, v39, v43, v14
	;;#ASMEND
	s_nop 0
	;; [unrolled: 4-line block ×3, first 2 shown]
	;;#ASMSTART
	v_dot2_f32_f16 v14, v41, v45, v14
	;;#ASMEND
	s_barrier
	scratch_store_dword off, v5, off
	scratch_store_dwordx3 off, v[22:24], off offset:4
	flat_load_dwordx4 v[38:41], v[6:7]
	v_lshl_add_u64 v[6:7], v[8:9], 0, s[12:13]
	v_cndmask_b32_e64 v7, v17, v7, s[8:9]
	v_cndmask_b32_e64 v6, v21, v6, s[8:9]
	scratch_store_dword off, v5, off
	scratch_store_dwordx3 off, v[22:24], off offset:4
	s_waitcnt vmcnt(0) lgkmcnt(0)
	ds_write_b128 v20, v[38:41]
	flat_load_dwordx4 v[6:9], v[6:7]
	s_nop 0
	scratch_store_dword off, v5, off
	scratch_store_dwordx3 off, v[22:24], off offset:4
	s_waitcnt vmcnt(0) lgkmcnt(0)
	ds_write_b128 v20, v[6:9] offset:4608
	flat_load_dwordx4 v[6:9], v[10:11]
	v_lshl_add_u64 v[10:11], v[12:13], 0, s[12:13]
	v_cndmask_b32_e64 v11, v17, v11, s[6:7]
	v_cndmask_b32_e64 v10, v21, v10, s[6:7]
	scratch_store_dword off, v5, off
	scratch_store_dwordx3 off, v[22:24], off offset:4
                                        ; implicit-def: $vgpr5
	s_waitcnt vmcnt(0) lgkmcnt(0)
	ds_write_b128 v20, v[6:9] offset:9216
	flat_load_dwordx4 v[6:9], v[10:11]
	s_waitcnt vmcnt(0) lgkmcnt(0)
	ds_write_b128 v20, v[6:9] offset:13824
	s_waitcnt lgkmcnt(0)
	s_barrier
	ds_read_b128 v[6:9], v16
	ds_read_b128 v[10:13], v15 offset:18816
	s_waitcnt lgkmcnt(0)
	;;#ASMSTART
	v_dot2_f32_f16 v14, v6, v10, v14
	;;#ASMEND
	s_nop 0
	;;#ASMSTART
	v_dot2_f32_f16 v14, v7, v11, v14
	;;#ASMEND
	s_nop 0
	;;#ASMSTART
	v_dot2_f32_f16 v14, v8, v12, v14
	;;#ASMEND
	s_nop 0
	;;#ASMSTART
	v_dot2_f32_f16 v14, v9, v13, v14
	;;#ASMEND
	ds_read_b128 v[6:9], v16 offset:16
	ds_read_b128 v[10:13], v15 offset:18832
	s_waitcnt lgkmcnt(0)
	;;#ASMSTART
	v_dot2_f32_f16 v14, v6, v10, v14
	;;#ASMEND
	s_nop 0
	;;#ASMSTART
	v_dot2_f32_f16 v14, v7, v11, v14
	;;#ASMEND
	s_nop 0
	;;#ASMSTART
	v_dot2_f32_f16 v14, v8, v12, v14
	;;#ASMEND
	s_nop 0
	;;#ASMSTART
	v_dot2_f32_f16 v14, v9, v13, v14
	;;#ASMEND
	ds_read_b128 v[6:9], v16 offset:32
	;; [unrolled: 18-line block ×7, first 2 shown]
	ds_read_b128 v[10:13], v15 offset:18928
	s_waitcnt lgkmcnt(0)
	;;#ASMSTART
	v_dot2_f32_f16 v14, v6, v10, v14
	;;#ASMEND
	s_nop 0
	;;#ASMSTART
	v_dot2_f32_f16 v14, v7, v11, v14
	;;#ASMEND
	s_nop 0
	;; [unrolled: 4-line block ×4, first 2 shown]
	v_cmp_nlt_f32_e64 s[4:5], |v14|, s4
	s_and_saveexec_b64 s[6:7], s[4:5]
	s_xor_b64 s[4:5], exec, s[6:7]
	s_cbranch_execz .LBB74_28
; %bb.27:
	v_add_f32_e64 v5, |v14|, |v14|
	v_mul_f32_e32 v6, 0x3fb8aa3b, v5
	s_mov_b32 s6, 0x3fb8aa3b
	v_rndne_f32_e32 v7, v6
	v_sub_f32_e32 v8, v6, v7
	v_fma_f32 v6, v5, s6, -v6
	v_fmamk_f32 v6, v5, 0x32a5705f, v6
	v_add_f32_e32 v6, v8, v6
	v_exp_f32_e32 v6, v6
	v_cvt_i32_f32_e32 v7, v7
	s_mov_b32 s6, 0xc2ce8ed0
	v_cmp_ngt_f32_e32 vcc, s6, v5
	s_mov_b32 s6, 0x42b17218
	v_ldexp_f32 v6, v6, v7
	v_cndmask_b32_e32 v6, 0, v6, vcc
	v_mov_b32_e32 v7, 0x7f800000
	v_cmp_nlt_f32_e32 vcc, s6, v5
	s_nop 1
	v_cndmask_b32_e32 v5, v7, v6, vcc
	v_add_f32_e32 v5, 1.0, v5
	v_rcp_f32_e32 v5, v5
	s_nop 0
	v_fma_f32 v5, v5, -2.0, 1.0
.LBB74_28:
	s_andn2_saveexec_b64 s[4:5], s[4:5]
; %bb.29:
	v_mul_f32_e32 v5, v14, v14
	v_mov_b32_e32 v6, 0x3ca908c9
	v_fmac_f32_e32 v6, 0xbbbac73d, v5
	v_fmaak_f32 v6, v5, v6, 0xbd5c1c4e
	v_fmaak_f32 v6, v5, v6, 0x3e088382
	;; [unrolled: 1-line block ×3, first 2 shown]
	v_mul_f32_e64 v6, |v14|, v6
	v_fma_f32 v5, v5, v6, |v14|
; %bb.30:
	s_or_b64 exec, exec, s[4:5]
	s_brev_b32 s4, -2
	v_bfi_b32 v5, s4, v5, v14
	v_cmp_gt_i32_e32 vcc, s10, v19
	v_mul_f32_e32 v5, s15, v5
	v_mov_b32_e32 v6, v34
	s_and_saveexec_b64 s[4:5], vcc
	s_cbranch_execz .LBB74_35
; %bb.31:
	s_cmp_eq_u64 s[36:37], 0
	s_cbranch_scc1 .LBB74_33
; %bb.32:
	v_mul_hi_u32 v6, s24, v37
	v_add_u32_e32 v6, v37, v6
	v_lshrrev_b32_e32 v6, s25, v6
	v_mul_lo_u32 v6, v6, s26
	v_sub_u32_e32 v6, v37, v6
	v_mul_lo_u32 v6, v6, s30
	v_add3_u32 v6, v6, v19, s29
	v_ashrrev_i32_e32 v7, 31, v6
	v_lshl_add_u64 v[6:7], v[6:7], 1, s[36:37]
	global_load_ushort v6, v[6:7], off
	s_waitcnt vmcnt(0)
	v_cvt_f32_f16_e32 v6, v6
	v_mul_f32_e32 v6, v64, v6
	s_branch .LBB74_34
.LBB74_33:
	v_mov_b32_e32 v6, 0
.LBB74_34:
	v_add_f32_e32 v5, v5, v6
	v_add_f32_e32 v6, 0x40051340, v5
	v_max_f32_e32 v7, v34, v34
	v_max_f32_e32 v6, v7, v6
.LBB74_35:
	s_or_b64 exec, exec, s[4:5]
	v_mbcnt_hi_u32_b32 v10, -1, v65
	v_and_b32_e32 v7, 0x60, v10
	v_add_u32_e32 v11, 32, v7
	v_xor_b32_e32 v12, 16, v10
	v_cmp_lt_i32_e32 vcc, v12, v11
	v_xor_b32_e32 v13, 8, v10
	v_xor_b32_e32 v14, 4, v10
	v_cndmask_b32_e32 v7, v10, v12, vcc
	v_lshlrev_b32_e32 v7, 2, v7
	ds_bpermute_b32 v7, v7, v6
	v_cmp_lt_i32_e32 vcc, v13, v11
	v_max_f32_e32 v6, v6, v6
	v_xor_b32_e32 v15, 2, v10
	v_cndmask_b32_e32 v8, v10, v13, vcc
	s_waitcnt lgkmcnt(0)
	v_max_f32_e32 v7, v7, v7
	v_lshlrev_b32_e32 v8, 2, v8
	v_max_f32_e32 v6, v6, v7
	ds_bpermute_b32 v7, v8, v6
	v_cmp_lt_i32_e32 vcc, v14, v11
	v_xor_b32_e32 v16, 1, v10
	s_waitcnt lgkmcnt(0)
	v_max_f32_e32 v7, v7, v7
	v_cndmask_b32_e32 v8, v10, v14, vcc
	v_lshlrev_b32_e32 v8, 2, v8
	v_max_f32_e32 v6, v6, v7
	ds_bpermute_b32 v7, v8, v6
	v_cmp_lt_i32_e32 vcc, v15, v11
	s_waitcnt lgkmcnt(0)
	v_max_f32_e32 v7, v7, v7
	v_cndmask_b32_e32 v8, v10, v15, vcc
	v_lshlrev_b32_e32 v8, 2, v8
	v_max_f32_e32 v6, v6, v7
	ds_bpermute_b32 v7, v8, v6
	v_cmp_lt_i32_e32 vcc, v16, v11
	s_waitcnt lgkmcnt(0)
	v_max_f32_e32 v7, v7, v7
	v_cndmask_b32_e32 v8, v10, v16, vcc
	v_lshlrev_b32_e32 v8, 2, v8
	v_max_f32_e32 v6, v6, v7
	ds_bpermute_b32 v7, v8, v6
	v_cmp_eq_u32_e32 vcc, 0, v29
	s_and_saveexec_b64 s[4:5], vcc
	s_cbranch_execz .LBB74_37
; %bb.36:
	s_waitcnt lgkmcnt(0)
	v_max_f32_e32 v7, v7, v7
	v_max_f32_e32 v6, v6, v6
	;; [unrolled: 1-line block ×3, first 2 shown]
	ds_write_b32 v61, v6 offset:20000
.LBB74_37:
	s_or_b64 exec, exec, s[4:5]
	s_movk_i32 s4, 0x3fc
	v_and_or_b32 v6, v60, s4, v31
	v_lshlrev_b32_e32 v6, 2, v6
	s_waitcnt lgkmcnt(0)
	s_barrier
	ds_read_b32 v6, v6 offset:20000
	v_and_b32_e32 v7, 0x7c, v10
	v_add_u32_e32 v7, 4, v7
	v_cmp_lt_i32_e32 vcc, v15, v7
	s_mov_b32 s6, 0x3fb8aa3b
	s_mov_b32 s7, 0xc2ce8ed0
	v_cndmask_b32_e32 v8, v10, v15, vcc
	v_lshlrev_b32_e32 v8, 2, v8
	s_waitcnt lgkmcnt(0)
	ds_bpermute_b32 v8, v8, v6
	v_cmp_lt_i32_e32 vcc, v16, v7
	v_max_f32_e32 v6, v6, v6
	s_mov_b32 s8, 0x42b17218
	v_cndmask_b32_e32 v7, v10, v16, vcc
	s_waitcnt lgkmcnt(0)
	v_max_f32_e32 v8, v8, v8
	v_max_f32_e32 v6, v6, v8
	v_lshlrev_b32_e32 v7, 2, v7
	ds_bpermute_b32 v7, v7, v6
	v_cmp_gt_u32_e32 vcc, s10, v19
	v_lshlrev_b32_e32 v4, 1, v4
	v_ashrrev_i32_e32 v33, 31, v32
	s_mov_b32 s36, 0
	s_waitcnt lgkmcnt(0)
	v_max_f32_e32 v7, v7, v7
	v_max_f32_e32 v17, v6, v7
	v_sub_f32_e32 v5, v5, v17
	v_mul_f32_e32 v6, 0x3fb8aa3b, v5
	v_fma_f32 v7, v5, s6, -v6
	v_rndne_f32_e32 v8, v6
	v_fmac_f32_e32 v7, 0x32a5705f, v5
	v_sub_f32_e32 v6, v6, v8
	v_add_f32_e32 v6, v6, v7
	v_exp_f32_e32 v6, v6
	v_cvt_i32_f32_e32 v7, v8
	v_cmp_ngt_f32_e64 s[4:5], s7, v5
	s_mov_b32 s38, s36
	v_mov_b32_e32 v31, 0
	v_ldexp_f32 v6, v6, v7
	v_mov_b32_e32 v7, 0x4c00
	v_lshl_add_u32 v8, v18, 1, v7
	v_sub_f32_e32 v7, v34, v17
	v_mul_f32_e32 v9, 0x3fb8aa3b, v7
	v_fma_f32 v18, v7, s6, -v9
	v_rndne_f32_e32 v19, v9
	v_fmac_f32_e32 v18, 0x32a5705f, v7
	v_sub_f32_e32 v9, v9, v19
	v_add_f32_e32 v9, v9, v18
	v_exp_f32_e32 v9, v9
	v_cvt_i32_f32_e32 v18, v19
	v_cndmask_b32_e64 v6, 0, v6, s[4:5]
	v_cmp_nlt_f32_e64 s[4:5], s8, v5
	v_mov_b32_e32 v5, 0x7f800000
	v_ldexp_f32 v9, v9, v18
	v_cndmask_b32_e64 v6, v5, v6, s[4:5]
	v_cndmask_b32_e32 v6, 0, v6, vcc
	v_cmp_ngt_f32_e32 vcc, s7, v7
	s_mov_b64 s[4:5], src_private_base
	s_mul_hi_i32 s7, s29, s2
	v_cndmask_b32_e32 v9, 0, v9, vcc
	v_cmp_nlt_f32_e32 vcc, s8, v7
	s_mul_i32 s6, s29, s2
	s_lshl_b32 s4, s2, 3
	v_cndmask_b32_e32 v5, v5, v9, vcc
	v_fma_f32 v35, v35, v5, v6
	v_cvt_f16_f32_e32 v5, v5
	s_lshl_b64 s[6:7], s[6:7], 2
	s_add_u32 s6, s14, s6
	v_lshl_add_u32 v18, v62, 1, v8
	v_mul_u32_u24_e32 v27, 0x10001, v5
	v_pk_mul_f16 v47, v2, v27
	v_cvt_f16_f32_e32 v2, v6
	v_pk_mul_f16 v50, v3, v27
	v_lshlrev_b32_e32 v3, 1, v29
	v_add3_u32 v3, v8, v4, v3
	s_addc_u32 s7, s28, s7
	v_lshlrev_b64 v[8:9], 2, v[32:33]
	ds_write_b16 v3, v2
	s_mov_b32 s37, s36
	v_mov_b32_e32 v46, s38
	v_lshl_add_u64 v[2:3], s[6:7], 0, v[8:9]
	v_mov_b32_e32 v45, s37
	v_mov_b32_e32 v44, s36
	v_cmp_gt_i32_e32 vcc, s10, v60
	v_lshl_add_u64 v[2:3], v[2:3], 0, v[30:31]
	v_mov_b32_e32 v38, s5
	v_mov_b32_e32 v39, 0
	scratch_store_dword off, v31, off
	scratch_store_dwordx3 off, v[44:46], off offset:4
	v_cndmask_b32_e32 v3, v38, v3, vcc
	v_cndmask_b32_e32 v2, v39, v2, vcc
	flat_load_dwordx4 v[2:5], v[2:3]
	v_add_u32_e32 v6, s4, v32
	v_lshl_add_u32 v20, v60, 9, v30
	v_ashrrev_i32_e32 v7, 31, v6
	v_add_u32_e32 v36, 8, v60
	v_cmp_gt_i32_e32 vcc, s10, v36
	v_add_u32_e32 v24, s4, v6
	v_lshl_add_u32 v26, v36, 9, v30
	v_ashrrev_i32_e32 v25, 31, v24
	v_add_u32_e32 v34, 16, v60
	v_add_u32_e32 v48, s4, v24
	v_ashrrev_i32_e32 v49, 31, v48
	v_add_u32_e32 v23, 24, v60
	v_lshl_add_u32 v22, v34, 9, v30
	v_lshl_add_u32 v19, v23, 9, v30
	;; [unrolled: 1-line block ×3, first 2 shown]
	s_or_b32 s4, s29, 32
	s_mul_hi_i32 s5, s4, s2
	s_mul_i32 s4, s4, s2
	s_lshl_b64 s[4:5], s[4:5], 2
	s_add_u32 s4, s14, s4
	s_addc_u32 s5, s28, s5
	s_waitcnt vmcnt(0) lgkmcnt(0)
	ds_write_b128 v20, v[2:5]
	v_lshlrev_b64 v[2:3], 2, v[6:7]
	v_lshl_add_u64 v[4:5], s[6:7], 0, v[2:3]
	v_lshl_add_u64 v[4:5], v[4:5], 0, v[30:31]
	scratch_store_dword off, v31, off
	scratch_store_dwordx3 off, v[44:46], off offset:4
	v_cndmask_b32_e32 v5, v38, v5, vcc
	v_cndmask_b32_e32 v4, v39, v4, vcc
	flat_load_dwordx4 v[4:7], v[4:5]
	v_cmp_gt_i32_e32 vcc, s10, v34
	s_waitcnt vmcnt(0) lgkmcnt(0)
	ds_write_b128 v26, v[4:7]
	v_lshlrev_b64 v[4:5], 2, v[24:25]
	v_lshl_add_u64 v[6:7], s[6:7], 0, v[4:5]
	v_lshl_add_u64 v[6:7], v[6:7], 0, v[30:31]
	scratch_store_dword off, v31, off
	scratch_store_dwordx3 off, v[44:46], off offset:4
	v_cndmask_b32_e32 v7, v38, v7, vcc
	v_cndmask_b32_e32 v6, v39, v6, vcc
	flat_load_dwordx4 v[40:43], v[6:7]
	v_lshlrev_b64 v[6:7], 2, v[48:49]
	v_lshl_add_u64 v[24:25], s[6:7], 0, v[6:7]
	v_cmp_gt_i32_e32 vcc, s10, v23
	v_lshl_add_u64 v[24:25], v[24:25], 0, v[30:31]
	s_sub_i32 s6, s10, 32
	v_cndmask_b32_e32 v25, v38, v25, vcc
	v_cndmask_b32_e32 v24, v39, v24, vcc
	v_cmp_gt_i32_e32 vcc, s6, v60
	s_waitcnt vmcnt(0) lgkmcnt(0)
	ds_write_b128 v22, v[40:43]
	scratch_store_dword off, v31, off
	scratch_store_dwordx3 off, v[44:46], off offset:4
	flat_load_dwordx4 v[40:43], v[24:25]
	s_waitcnt vmcnt(0) lgkmcnt(0)
	ds_write_b128 v19, v[40:43]
	s_waitcnt lgkmcnt(0)
	s_barrier
	ds_read2_b64 v[40:43], v21 offset1:32
	ds_read_u16 v24, v18
	ds_read_u16 v25, v18 offset:8
	ds_read_u16 v32, v18 offset:16
	;; [unrolled: 1-line block ×7, first 2 shown]
	s_waitcnt lgkmcnt(7)
	v_mul_u32_u24_e32 v24, 0x10001, v24
	v_pk_mul_f16 v40, v40, v24
	s_waitcnt lgkmcnt(6)
	v_mul_u32_u24_e32 v25, 0x10001, v25
	v_pk_fma_f16 v53, v0, v27, v40
	v_pk_mul_f16 v0, v41, v24
	s_waitcnt lgkmcnt(4)
	v_mul_u32_u24_e32 v33, 0x10001, v33
	v_pk_fma_f16 v1, v1, v27, v0
	v_add_u32_e32 v0, 0x800, v21
	v_pk_fma_f16 v27, v42, v24, v47
	v_pk_fma_f16 v24, v43, v24, v50
	ds_read2_b64 v[40:43], v0 offset1:32
	s_waitcnt lgkmcnt(4)
	v_mul_u32_u24_e32 v48, 0x10001, v48
	s_waitcnt lgkmcnt(0)
	v_pk_fma_f16 v50, v41, v25, v1
	v_add_u32_e32 v1, 0x1000, v21
	v_pk_fma_f16 v47, v40, v25, v53
	v_pk_fma_f16 v27, v42, v25, v27
	v_pk_fma_f16 v24, v43, v25, v24
	ds_read2_b64 v[40:43], v1 offset1:32
	v_mul_u32_u24_e32 v25, 0x10001, v32
	s_waitcnt lgkmcnt(0)
	v_pk_fma_f16 v32, v40, v25, v47
	v_pk_fma_f16 v47, v41, v25, v50
	;; [unrolled: 1-line block ×4, first 2 shown]
	v_add_u32_e32 v24, 0x1800, v21
	ds_read2_b64 v[40:43], v24 offset1:32
	s_waitcnt lgkmcnt(0)
	v_pk_fma_f16 v32, v40, v33, v32
	v_pk_fma_f16 v47, v41, v33, v47
	;; [unrolled: 1-line block ×4, first 2 shown]
	v_add_u32_e32 v25, 0x2000, v21
	ds_read2_b64 v[40:43], v25 offset1:32
	s_waitcnt lgkmcnt(0)
	v_pk_fma_f16 v50, v42, v48, v27
	v_add_u32_e32 v27, 0x2800, v21
	v_pk_fma_f16 v32, v40, v48, v32
	v_pk_fma_f16 v47, v41, v48, v47
	v_pk_fma_f16 v33, v43, v48, v33
	ds_read2_b64 v[40:43], v27 offset1:32
	v_mul_u32_u24_e32 v48, 0x10001, v49
	s_waitcnt lgkmcnt(0)
	v_pk_fma_f16 v49, v40, v48, v32
	v_add_u32_e32 v32, 0x3000, v21
	v_pk_fma_f16 v47, v41, v48, v47
	v_pk_fma_f16 v50, v42, v48, v50
	;; [unrolled: 1-line block ×3, first 2 shown]
	ds_read2_b64 v[40:43], v32 offset1:32
	v_mul_u32_u24_e32 v48, 0x10001, v51
	v_mul_u32_u24_e32 v51, 0x10001, v52
	s_waitcnt lgkmcnt(0)
	v_pk_fma_f16 v49, v40, v48, v49
	v_pk_fma_f16 v47, v41, v48, v47
	;; [unrolled: 1-line block ×4, first 2 shown]
	v_add_u32_e32 v33, 0x3800, v21
	ds_read2_b64 v[40:43], v33 offset1:32
	s_waitcnt lgkmcnt(0)
	s_barrier
	scratch_store_dword off, v31, off
	scratch_store_dwordx3 off, v[44:46], off offset:4
	v_pk_fma_f16 v49, v40, v51, v49
	v_pk_fma_f16 v47, v41, v51, v47
	v_lshl_add_u64 v[40:41], s[4:5], 0, v[8:9]
	v_lshl_add_u64 v[40:41], v[40:41], 0, v[30:31]
	v_cndmask_b32_e32 v41, v38, v41, vcc
	v_cndmask_b32_e32 v40, v39, v40, vcc
	v_pk_fma_f16 v50, v42, v51, v50
	v_pk_fma_f16 v48, v43, v51, v48
	flat_load_dwordx4 v[40:43], v[40:41]
	v_cmp_gt_i32_e32 vcc, s6, v36
	s_waitcnt vmcnt(0) lgkmcnt(0)
	ds_write_b128 v20, v[40:43]
	v_lshl_add_u64 v[40:41], s[4:5], 0, v[2:3]
	v_lshl_add_u64 v[40:41], v[40:41], 0, v[30:31]
	scratch_store_dword off, v31, off
	scratch_store_dwordx3 off, v[44:46], off offset:4
	v_cndmask_b32_e32 v41, v38, v41, vcc
	v_cndmask_b32_e32 v40, v39, v40, vcc
	flat_load_dwordx4 v[40:43], v[40:41]
	v_cmp_gt_i32_e32 vcc, s6, v34
	s_waitcnt vmcnt(0) lgkmcnt(0)
	ds_write_b128 v26, v[40:43]
	v_lshl_add_u64 v[40:41], s[4:5], 0, v[4:5]
	v_lshl_add_u64 v[40:41], v[40:41], 0, v[30:31]
	scratch_store_dword off, v31, off
	scratch_store_dwordx3 off, v[44:46], off offset:4
	v_cndmask_b32_e32 v41, v38, v41, vcc
	v_cndmask_b32_e32 v40, v39, v40, vcc
	;; [unrolled: 10-line block ×3, first 2 shown]
	flat_load_dwordx4 v[40:43], v[40:41]
	s_or_b32 s4, s29, 64
	s_mul_hi_i32 s5, s4, s2
	s_mul_i32 s4, s4, s2
	s_lshl_b64 s[4:5], s[4:5], 2
	s_add_u32 s4, s14, s4
	s_addc_u32 s5, s28, s5
	s_sub_i32 s6, s10, 64
	v_cmp_gt_i32_e32 vcc, s6, v60
	s_waitcnt vmcnt(0) lgkmcnt(0)
	ds_write_b128 v19, v[40:43]
	s_waitcnt lgkmcnt(0)
	s_barrier
	ds_read2_b64 v[40:43], v21 offset1:32
	ds_read_u16 v51, v18 offset:64
	ds_read_u16 v52, v18 offset:72
	;; [unrolled: 1-line block ×8, first 2 shown]
	s_waitcnt lgkmcnt(7)
	v_mul_u32_u24_e32 v51, 0x10001, v51
	v_pk_fma_f16 v49, v40, v51, v49
	v_pk_fma_f16 v47, v41, v51, v47
	;; [unrolled: 1-line block ×4, first 2 shown]
	ds_read2_b64 v[40:43], v0 offset1:32
	s_waitcnt lgkmcnt(7)
	v_mul_u32_u24_e32 v51, 0x10001, v52
	s_waitcnt lgkmcnt(0)
	v_pk_fma_f16 v49, v40, v51, v49
	v_pk_fma_f16 v47, v41, v51, v47
	v_pk_fma_f16 v50, v42, v51, v50
	v_pk_fma_f16 v48, v43, v51, v48
	ds_read2_b64 v[40:43], v1 offset1:32
	v_mul_u32_u24_e32 v51, 0x10001, v53
	s_waitcnt lgkmcnt(0)
	v_pk_fma_f16 v49, v40, v51, v49
	v_pk_fma_f16 v47, v41, v51, v47
	v_pk_fma_f16 v50, v42, v51, v50
	v_pk_fma_f16 v48, v43, v51, v48
	ds_read2_b64 v[40:43], v24 offset1:32
	v_mul_u32_u24_e32 v51, 0x10001, v54
	s_waitcnt lgkmcnt(0)
	v_pk_fma_f16 v49, v40, v51, v49
	v_pk_fma_f16 v47, v41, v51, v47
	v_pk_fma_f16 v50, v42, v51, v50
	v_pk_fma_f16 v48, v43, v51, v48
	ds_read2_b64 v[40:43], v25 offset1:32
	v_mul_u32_u24_e32 v51, 0x10001, v55
	s_waitcnt lgkmcnt(0)
	v_pk_fma_f16 v49, v40, v51, v49
	v_pk_fma_f16 v47, v41, v51, v47
	v_pk_fma_f16 v50, v42, v51, v50
	v_pk_fma_f16 v48, v43, v51, v48
	ds_read2_b64 v[40:43], v27 offset1:32
	v_mul_u32_u24_e32 v51, 0x10001, v56
	s_waitcnt lgkmcnt(0)
	v_pk_fma_f16 v49, v40, v51, v49
	v_pk_fma_f16 v47, v41, v51, v47
	v_pk_fma_f16 v50, v42, v51, v50
	v_pk_fma_f16 v48, v43, v51, v48
	ds_read2_b64 v[40:43], v32 offset1:32
	v_mul_u32_u24_e32 v51, 0x10001, v57
	s_waitcnt lgkmcnt(0)
	v_pk_fma_f16 v49, v40, v51, v49
	v_pk_fma_f16 v47, v41, v51, v47
	v_pk_fma_f16 v50, v42, v51, v50
	v_pk_fma_f16 v48, v43, v51, v48
	ds_read2_b64 v[40:43], v33 offset1:32
	v_mul_u32_u24_e32 v51, 0x10001, v58
	s_waitcnt lgkmcnt(0)
	s_barrier
	v_pk_fma_f16 v49, v40, v51, v49
	v_pk_fma_f16 v47, v41, v51, v47
	v_lshl_add_u64 v[40:41], s[4:5], 0, v[8:9]
	v_lshl_add_u64 v[40:41], v[40:41], 0, v[30:31]
	scratch_store_dword off, v31, off
	scratch_store_dwordx3 off, v[44:46], off offset:4
	v_cndmask_b32_e32 v41, v38, v41, vcc
	v_cndmask_b32_e32 v40, v39, v40, vcc
	v_pk_fma_f16 v50, v42, v51, v50
	v_pk_fma_f16 v48, v43, v51, v48
	flat_load_dwordx4 v[40:43], v[40:41]
	v_cmp_gt_i32_e32 vcc, s6, v36
	s_waitcnt vmcnt(0) lgkmcnt(0)
	ds_write_b128 v20, v[40:43]
	v_lshl_add_u64 v[40:41], s[4:5], 0, v[2:3]
	v_lshl_add_u64 v[40:41], v[40:41], 0, v[30:31]
	scratch_store_dword off, v31, off
	scratch_store_dwordx3 off, v[44:46], off offset:4
	v_cndmask_b32_e32 v41, v38, v41, vcc
	v_cndmask_b32_e32 v40, v39, v40, vcc
	flat_load_dwordx4 v[40:43], v[40:41]
	v_cmp_gt_i32_e32 vcc, s6, v34
	s_waitcnt vmcnt(0) lgkmcnt(0)
	ds_write_b128 v26, v[40:43]
	v_lshl_add_u64 v[40:41], s[4:5], 0, v[4:5]
	v_lshl_add_u64 v[40:41], v[40:41], 0, v[30:31]
	scratch_store_dword off, v31, off
	scratch_store_dwordx3 off, v[44:46], off offset:4
	v_cndmask_b32_e32 v41, v38, v41, vcc
	v_cndmask_b32_e32 v40, v39, v40, vcc
	;; [unrolled: 10-line block ×3, first 2 shown]
	flat_load_dwordx4 v[40:43], v[40:41]
	s_or_b32 s4, s29, 0x60
	s_mul_hi_i32 s5, s4, s2
	s_mul_i32 s4, s4, s2
	s_lshl_b64 s[4:5], s[4:5], 2
	s_add_u32 s4, s14, s4
	s_addc_u32 s5, s28, s5
	s_addk_i32 s10, 0xffa0
	v_lshl_add_u64 v[8:9], s[4:5], 0, v[8:9]
	v_cmp_gt_i32_e32 vcc, s10, v60
	v_lshl_add_u64 v[8:9], v[8:9], 0, v[30:31]
	v_lshl_add_u64 v[2:3], s[4:5], 0, v[2:3]
	v_cndmask_b32_e32 v9, v38, v9, vcc
	v_cndmask_b32_e32 v8, v39, v8, vcc
	v_cmp_gt_i32_e32 vcc, s10, v36
	v_lshl_add_u64 v[2:3], v[2:3], 0, v[30:31]
	s_waitcnt vmcnt(0) lgkmcnt(0)
	ds_write_b128 v19, v[40:43]
	s_waitcnt lgkmcnt(0)
	s_barrier
	ds_read2_b64 v[40:43], v21 offset1:32
	ds_read_u16 v51, v18 offset:128
	ds_read_u16 v52, v18 offset:136
	;; [unrolled: 1-line block ×8, first 2 shown]
	s_waitcnt lgkmcnt(7)
	v_mul_u32_u24_e32 v51, 0x10001, v51
	v_pk_fma_f16 v49, v40, v51, v49
	v_pk_fma_f16 v47, v41, v51, v47
	;; [unrolled: 1-line block ×4, first 2 shown]
	ds_read2_b64 v[40:43], v0 offset1:32
	s_waitcnt lgkmcnt(7)
	v_mul_u32_u24_e32 v51, 0x10001, v52
	v_cndmask_b32_e32 v3, v38, v3, vcc
	v_cndmask_b32_e32 v2, v39, v2, vcc
	v_cmp_gt_i32_e32 vcc, s10, v34
	s_waitcnt lgkmcnt(0)
	v_pk_fma_f16 v49, v40, v51, v49
	v_pk_fma_f16 v47, v41, v51, v47
	v_pk_fma_f16 v50, v42, v51, v50
	v_pk_fma_f16 v48, v43, v51, v48
	ds_read2_b64 v[40:43], v1 offset1:32
	v_mul_u32_u24_e32 v51, 0x10001, v53
	v_mov_b32_e32 v34, v17
	s_waitcnt lgkmcnt(0)
	v_pk_fma_f16 v49, v40, v51, v49
	v_pk_fma_f16 v47, v41, v51, v47
	v_pk_fma_f16 v50, v42, v51, v50
	v_pk_fma_f16 v48, v43, v51, v48
	ds_read2_b64 v[40:43], v24 offset1:32
	v_mul_u32_u24_e32 v51, 0x10001, v54
	s_waitcnt lgkmcnt(0)
	v_pk_fma_f16 v49, v40, v51, v49
	v_pk_fma_f16 v47, v41, v51, v47
	v_pk_fma_f16 v50, v42, v51, v50
	v_pk_fma_f16 v48, v43, v51, v48
	ds_read2_b64 v[40:43], v25 offset1:32
	v_mul_u32_u24_e32 v51, 0x10001, v55
	;; [unrolled: 7-line block ×5, first 2 shown]
	s_waitcnt lgkmcnt(0)
	s_barrier
	scratch_store_dword off, v31, off
	scratch_store_dwordx3 off, v[44:46], off offset:4
	v_pk_fma_f16 v40, v40, v51, v49
	v_pk_fma_f16 v41, v41, v51, v47
	v_pk_fma_f16 v42, v42, v51, v50
	v_pk_fma_f16 v43, v43, v51, v48
	flat_load_dwordx4 v[48:51], v[8:9]
	s_waitcnt vmcnt(0) lgkmcnt(0)
	ds_write_b128 v20, v[48:51]
	scratch_store_dword off, v31, off
	scratch_store_dwordx3 off, v[44:46], off offset:4
	flat_load_dwordx4 v[48:51], v[2:3]
	v_lshl_add_u64 v[2:3], s[4:5], 0, v[4:5]
	v_lshl_add_u64 v[2:3], v[2:3], 0, v[30:31]
	v_cndmask_b32_e32 v3, v38, v3, vcc
	v_cndmask_b32_e32 v2, v39, v2, vcc
	v_cmp_gt_i32_e32 vcc, s10, v23
	s_waitcnt vmcnt(0) lgkmcnt(0)
	ds_write_b128 v26, v[48:51]
	scratch_store_dword off, v31, off
	scratch_store_dwordx3 off, v[44:46], off offset:4
	flat_load_dwordx4 v[2:5], v[2:3]
	s_waitcnt vmcnt(0) lgkmcnt(0)
	ds_write_b128 v22, v[2:5]
	v_lshl_add_u64 v[2:3], s[4:5], 0, v[6:7]
	v_lshl_add_u64 v[2:3], v[2:3], 0, v[30:31]
	scratch_store_dword off, v31, off
	scratch_store_dwordx3 off, v[44:46], off offset:4
	v_cndmask_b32_e32 v3, v38, v3, vcc
	v_cndmask_b32_e32 v2, v39, v2, vcc
	flat_load_dwordx4 v[2:5], v[2:3]
	s_waitcnt vmcnt(0) lgkmcnt(0)
	ds_write_b128 v19, v[2:5]
	s_waitcnt lgkmcnt(0)
	s_barrier
	ds_read2_b64 v[2:5], v21 offset1:32
	ds_read_u16 v6, v18 offset:192
	ds_read_u16 v7, v18 offset:200
	;; [unrolled: 1-line block ×8, first 2 shown]
	s_waitcnt lgkmcnt(7)
	v_mul_u32_u24_e32 v6, 0x10001, v6
	v_pk_fma_f16 v22, v2, v6, v40
	v_pk_fma_f16 v23, v3, v6, v41
	;; [unrolled: 1-line block ×4, first 2 shown]
	ds_read2_b64 v[2:5], v0 offset1:32
	s_waitcnt lgkmcnt(7)
	v_mul_u32_u24_e32 v0, 0x10001, v7
	s_waitcnt lgkmcnt(0)
	v_pk_fma_f16 v7, v2, v0, v22
	v_pk_fma_f16 v22, v3, v0, v23
	v_pk_fma_f16 v4, v4, v0, v26
	v_pk_fma_f16 v5, v5, v0, v6
	ds_read2_b64 v[0:3], v1 offset1:32
	v_mul_u32_u24_e32 v6, 0x10001, v8
	s_waitcnt lgkmcnt(0)
	v_pk_fma_f16 v7, v0, v6, v7
	v_pk_fma_f16 v8, v1, v6, v22
	v_pk_fma_f16 v4, v2, v6, v4
	v_pk_fma_f16 v5, v3, v6, v5
	ds_read2_b64 v[0:3], v24 offset1:32
	;; [unrolled: 7-line block ×6, first 2 shown]
	v_mul_u32_u24_e32 v6, 0x10001, v18
	s_waitcnt lgkmcnt(0)
	s_barrier
	v_pk_fma_f16 v0, v0, v6, v7
	v_pk_fma_f16 v1, v1, v6, v8
	;; [unrolled: 1-line block ×4, first 2 shown]
.LBB74_38:
	v_cmp_lt_i32_e32 vcc, v12, v11
	v_cmp_ne_u32_e64 s[4:5], 0, v62
	s_nop 0
	v_cndmask_b32_e32 v4, v10, v12, vcc
	v_lshlrev_b32_e32 v4, 2, v4
	ds_bpermute_b32 v4, v4, v35
	v_cmp_lt_i32_e32 vcc, v13, v11
	s_waitcnt lgkmcnt(0)
	v_add_f32_e32 v4, v35, v4
	v_cndmask_b32_e32 v5, v10, v13, vcc
	v_lshlrev_b32_e32 v5, 2, v5
	ds_bpermute_b32 v5, v5, v4
	v_cmp_lt_i32_e32 vcc, v14, v11
	s_waitcnt lgkmcnt(0)
	v_add_f32_e32 v4, v4, v5
	;; [unrolled: 6-line block ×4, first 2 shown]
	v_cndmask_b32_e32 v6, v10, v16, vcc
	v_lshlrev_b32_e32 v6, 2, v6
	ds_bpermute_b32 v5, v6, v4
	v_cmp_eq_u32_e32 vcc, 0, v62
	s_waitcnt lgkmcnt(0)
	v_add_f32_e32 v35, v4, v5
	s_and_saveexec_b64 s[6:7], s[4:5]
	s_xor_b64 s[6:7], exec, s[6:7]
	s_cbranch_execnz .LBB74_42
; %bb.39:
	s_andn2_saveexec_b64 s[4:5], s[6:7]
	s_cbranch_execnz .LBB74_45
.LBB74_40:
	s_or_b64 exec, exec, s[4:5]
	s_and_saveexec_b64 s[4:5], vcc
	s_cbranch_execnz .LBB74_46
.LBB74_41:
	s_endpgm
.LBB74_42:
	v_lshlrev_b32_e32 v4, 4, v29
	v_lshl_add_u32 v4, v60, 9, v4
	v_cmp_eq_u32_e64 s[4:5], 0, v29
	ds_write_b128 v4, v[0:3]
	s_and_saveexec_b64 s[8:9], s[4:5]
; %bb.43:
	ds_write_b32 v61, v35 offset:18432
; %bb.44:
	s_or_b64 exec, exec, s[8:9]
                                        ; implicit-def: $vgpr60
                                        ; implicit-def: $vgpr61
	s_andn2_saveexec_b64 s[4:5], s[6:7]
	s_cbranch_execz .LBB74_40
.LBB74_45:
	v_lshlrev_b32_e32 v4, 9, v60
	v_lshl_add_u32 v14, v29, 4, v4
	s_waitcnt lgkmcnt(0)
	s_barrier
	ds_read_b128 v[4:7], v14 offset:512
	ds_read_b128 v[8:11], v14 offset:1024
	s_waitcnt lgkmcnt(1)
	v_pk_add_f16 v4, v4, v0
	v_add_u32_e32 v0, 0x4804, v61
	ds_read2_b32 v[12:13], v0 offset1:1
	v_pk_add_f16 v5, v5, v1
	v_pk_add_f16 v6, v6, v2
	;; [unrolled: 1-line block ×3, first 2 shown]
	s_waitcnt lgkmcnt(1)
	v_pk_add_f16 v5, v9, v5
	ds_read_b32 v9, v61 offset:18444
	ds_read_b128 v[0:3], v14 offset:1536
	s_waitcnt lgkmcnt(2)
	v_add_f32_e32 v12, v35, v12
	v_pk_add_f16 v4, v8, v4
	v_pk_add_f16 v6, v10, v6
	;; [unrolled: 1-line block ×3, first 2 shown]
	v_add_f32_e32 v8, v12, v13
	s_waitcnt lgkmcnt(0)
	v_pk_add_f16 v0, v0, v4
	v_pk_add_f16 v1, v1, v5
	;; [unrolled: 1-line block ×4, first 2 shown]
	v_add_f32_e32 v35, v8, v9
	s_or_b64 exec, exec, s[4:5]
	s_and_saveexec_b64 s[4:5], vcc
	s_cbranch_execz .LBB74_41
.LBB74_46:
	s_cmp_eq_u64 s[16:17], 0
	s_cselect_b64 s[4:5], -1, 0
	s_cmp_lg_u32 s3, 0
	s_cselect_b64 s[6:7], -1, 0
	s_or_b64 s[4:5], s[6:7], s[4:5]
	s_and_b64 vcc, exec, s[4:5]
	s_cbranch_vccnz .LBB74_48
; %bb.47:
	s_lshl_b64 s[4:5], s[34:35], 2
	s_add_u32 s4, s16, s4
	s_addc_u32 s5, s17, s5
	v_mov_b32_e32 v4, 0
	global_load_dword v5, v4, s[4:5]
	v_max_f32_e32 v4, v34, v34
	s_mov_b32 s2, 0x3fb8aa3b
	s_mov_b32 s4, 0xc2ce8ed0
	s_waitcnt vmcnt(0)
	v_max_f32_e32 v6, v5, v5
	v_max_f32_e32 v4, v4, v6
	v_sub_f32_e32 v6, v34, v4
	v_sub_f32_e32 v5, v5, v4
	v_mul_f32_e32 v7, 0x3fb8aa3b, v6
	v_mul_f32_e32 v8, 0x3fb8aa3b, v5
	v_fma_f32 v9, v6, s2, -v7
	v_rndne_f32_e32 v10, v7
	v_fma_f32 v11, v5, s2, -v8
	v_rndne_f32_e32 v12, v8
	v_fmac_f32_e32 v9, 0x32a5705f, v6
	v_sub_f32_e32 v7, v7, v10
	v_fmac_f32_e32 v11, 0x32a5705f, v5
	v_sub_f32_e32 v8, v8, v12
	v_add_f32_e32 v7, v7, v9
	v_cvt_i32_f32_e32 v10, v10
	v_add_f32_e32 v8, v8, v11
	v_exp_f32_e32 v7, v7
	v_cvt_i32_f32_e32 v12, v12
	v_exp_f32_e32 v8, v8
	v_cmp_ngt_f32_e32 vcc, s4, v6
	v_ldexp_f32 v7, v7, v10
	s_mov_b32 s2, 0x42b17218
	v_ldexp_f32 v8, v8, v12
	v_cndmask_b32_e32 v7, 0, v7, vcc
	v_cmp_ngt_f32_e32 vcc, s4, v5
	v_mov_b32_e32 v9, 0x7f800000
	s_nop 0
	v_cndmask_b32_e32 v8, 0, v8, vcc
	v_cmp_nlt_f32_e32 vcc, s2, v6
	s_nop 1
	v_cndmask_b32_e32 v6, v9, v7, vcc
	v_cvt_f16_f32_e32 v7, v6
	v_cmp_nlt_f32_e32 vcc, s2, v5
	s_nop 1
	v_cndmask_b32_e32 v5, v9, v8, vcc
	v_fmac_f32_e32 v5, v35, v6
	v_mul_u32_u24_e32 v6, 0x10001, v7
	v_pk_mul_f16 v0, v0, v6
	v_pk_mul_f16 v1, v1, v6
	;; [unrolled: 1-line block ×4, first 2 shown]
	v_mov_b64_e32 v[34:35], v[4:5]
	v_cmp_gt_i32_e32 vcc, s26, v37
	s_and_b64 exec, exec, vcc
	s_cbranch_execz .LBB74_41
	s_branch .LBB74_49
.LBB74_48:
	v_mov_b32_e32 v5, v35
	v_cmp_gt_i32_e32 vcc, s26, v37
	s_and_b64 exec, exec, vcc
	s_cbranch_execz .LBB74_41
.LBB74_49:
	s_load_dword s2, s[0:1], 0xd4
	v_div_scale_f32 v4, s[0:1], v5, v5, 1.0
	v_rcp_f32_e32 v6, v4
	s_mul_i32 s33, s33, s26
	s_waitcnt lgkmcnt(0)
	s_cmp_lg_u32 s2, 1
	s_cselect_b64 s[0:1], -1, 0
	v_fma_f32 v7, -v4, v6, 1.0
	v_fmac_f32_e32 v6, v7, v6
	v_div_scale_f32 v7, vcc, 1.0, v5, 1.0
	v_mul_f32_e32 v8, v7, v6
	v_fma_f32 v9, -v4, v8, v7
	v_fmac_f32_e32 v8, v9, v6
	v_fma_f32 v4, -v4, v8, v7
	v_div_fmas_f32 v4, v4, v6, v8
	v_div_fixup_f32 v4, v4, v5, 1.0
	v_cndmask_b32_e64 v10, v4, 1.0, s[0:1]
	v_add_u32_e32 v4, s33, v37
	v_mul_lo_u32 v4, v4, s27
	v_add_u32_e32 v4, s34, v4
	v_cvt_f32_f16_sdwa v7, v0 dst_sel:DWORD dst_unused:UNUSED_PAD src0_sel:WORD_1
	v_cvt_f32_f16_e32 v6, v0
	v_cvt_f32_f16_sdwa v9, v1 dst_sel:DWORD dst_unused:UNUSED_PAD src0_sel:WORD_1
	v_cvt_f32_f16_e32 v8, v1
	v_mul_lo_u32 v4, s2, v4
	v_add_u32_e32 v4, s3, v4
	v_lshl_add_u32 v12, v4, 8, v28
	v_mov_b32_e32 v13, 0
	v_lshl_add_u64 v[0:1], v[12:13], 2, s[20:21]
	v_pk_mul_f32 v[6:7], v[10:11], v[6:7] op_sel_hi:[0,1]
	v_pk_mul_f32 v[8:9], v[10:11], v[8:9] op_sel_hi:[0,1]
	global_store_dwordx4 v[0:1], v[6:9], off
	v_cvt_f32_f16_sdwa v1, v2 dst_sel:DWORD dst_unused:UNUSED_PAD src0_sel:WORD_1
	v_cvt_f32_f16_e32 v0, v2
	v_cvt_f32_f16_sdwa v7, v3 dst_sel:DWORD dst_unused:UNUSED_PAD src0_sel:WORD_1
	v_cvt_f32_f16_e32 v6, v3
	v_cmp_eq_u32_e32 vcc, 0, v29
	v_add_u32_e32 v12, 0x80, v12
	s_and_b64 s[0:1], vcc, s[0:1]
	v_lshl_add_u64 v[8:9], v[12:13], 2, s[20:21]
	v_pk_mul_f32 v[0:1], v[10:11], v[0:1] op_sel_hi:[0,1]
	v_pk_mul_f32 v[2:3], v[10:11], v[6:7] op_sel_hi:[0,1]
	global_store_dwordx4 v[8:9], v[0:3], off
	s_and_b64 exec, exec, s[0:1]
	s_cbranch_execz .LBB74_41
; %bb.50:
	v_mov_b32_e32 v0, s22
	v_mov_b32_e32 v1, s23
	v_ashrrev_i32_e32 v5, 31, v4
	v_lshl_add_u64 v[0:1], v[4:5], 3, v[0:1]
	global_store_dwordx2 v[0:1], v[34:35], off
	s_endpgm
	.section	.rodata,"a",@progbits
	.p2align	6, 0x0
	.amdhsa_kernel _ZL15flash_attn_tileILi256ELi256ELi2ELi1ELb1EEvPKcS1_S1_S1_S1_PKiPfP15HIP_vector_typeIfLj2EEffffjfiS5_IjLj3EEiiiiiiiiiiiliiliiiiil
		.amdhsa_group_segment_fixed_size 20032
		.amdhsa_private_segment_fixed_size 32
		.amdhsa_kernarg_size 464
		.amdhsa_user_sgpr_count 2
		.amdhsa_user_sgpr_dispatch_ptr 0
		.amdhsa_user_sgpr_queue_ptr 0
		.amdhsa_user_sgpr_kernarg_segment_ptr 1
		.amdhsa_user_sgpr_dispatch_id 0
		.amdhsa_user_sgpr_kernarg_preload_length 0
		.amdhsa_user_sgpr_kernarg_preload_offset 0
		.amdhsa_user_sgpr_private_segment_size 0
		.amdhsa_uses_dynamic_stack 0
		.amdhsa_enable_private_segment 1
		.amdhsa_system_sgpr_workgroup_id_x 1
		.amdhsa_system_sgpr_workgroup_id_y 1
		.amdhsa_system_sgpr_workgroup_id_z 1
		.amdhsa_system_sgpr_workgroup_info 0
		.amdhsa_system_vgpr_workitem_id 1
		.amdhsa_next_free_vgpr 121
		.amdhsa_next_free_sgpr 48
		.amdhsa_accum_offset 124
		.amdhsa_reserve_vcc 1
		.amdhsa_float_round_mode_32 0
		.amdhsa_float_round_mode_16_64 0
		.amdhsa_float_denorm_mode_32 3
		.amdhsa_float_denorm_mode_16_64 3
		.amdhsa_dx10_clamp 1
		.amdhsa_ieee_mode 1
		.amdhsa_fp16_overflow 0
		.amdhsa_tg_split 0
		.amdhsa_exception_fp_ieee_invalid_op 0
		.amdhsa_exception_fp_denorm_src 0
		.amdhsa_exception_fp_ieee_div_zero 0
		.amdhsa_exception_fp_ieee_overflow 0
		.amdhsa_exception_fp_ieee_underflow 0
		.amdhsa_exception_fp_ieee_inexact 0
		.amdhsa_exception_int_div_zero 0
	.end_amdhsa_kernel
	.section	.text._ZL15flash_attn_tileILi256ELi256ELi2ELi1ELb1EEvPKcS1_S1_S1_S1_PKiPfP15HIP_vector_typeIfLj2EEffffjfiS5_IjLj3EEiiiiiiiiiiiliiliiiiil,"axG",@progbits,_ZL15flash_attn_tileILi256ELi256ELi2ELi1ELb1EEvPKcS1_S1_S1_S1_PKiPfP15HIP_vector_typeIfLj2EEffffjfiS5_IjLj3EEiiiiiiiiiiiliiliiiiil,comdat
.Lfunc_end74:
	.size	_ZL15flash_attn_tileILi256ELi256ELi2ELi1ELb1EEvPKcS1_S1_S1_S1_PKiPfP15HIP_vector_typeIfLj2EEffffjfiS5_IjLj3EEiiiiiiiiiiiliiliiiiil, .Lfunc_end74-_ZL15flash_attn_tileILi256ELi256ELi2ELi1ELb1EEvPKcS1_S1_S1_S1_PKiPfP15HIP_vector_typeIfLj2EEffffjfiS5_IjLj3EEiiiiiiiiiiiliiliiiiil
                                        ; -- End function
	.set _ZL15flash_attn_tileILi256ELi256ELi2ELi1ELb1EEvPKcS1_S1_S1_S1_PKiPfP15HIP_vector_typeIfLj2EEffffjfiS5_IjLj3EEiiiiiiiiiiiliiliiiiil.num_vgpr, 121
	.set _ZL15flash_attn_tileILi256ELi256ELi2ELi1ELb1EEvPKcS1_S1_S1_S1_PKiPfP15HIP_vector_typeIfLj2EEffffjfiS5_IjLj3EEiiiiiiiiiiiliiliiiiil.num_agpr, 0
	.set _ZL15flash_attn_tileILi256ELi256ELi2ELi1ELb1EEvPKcS1_S1_S1_S1_PKiPfP15HIP_vector_typeIfLj2EEffffjfiS5_IjLj3EEiiiiiiiiiiiliiliiiiil.numbered_sgpr, 48
	.set _ZL15flash_attn_tileILi256ELi256ELi2ELi1ELb1EEvPKcS1_S1_S1_S1_PKiPfP15HIP_vector_typeIfLj2EEffffjfiS5_IjLj3EEiiiiiiiiiiiliiliiiiil.num_named_barrier, 0
	.set _ZL15flash_attn_tileILi256ELi256ELi2ELi1ELb1EEvPKcS1_S1_S1_S1_PKiPfP15HIP_vector_typeIfLj2EEffffjfiS5_IjLj3EEiiiiiiiiiiiliiliiiiil.private_seg_size, 32
	.set _ZL15flash_attn_tileILi256ELi256ELi2ELi1ELb1EEvPKcS1_S1_S1_S1_PKiPfP15HIP_vector_typeIfLj2EEffffjfiS5_IjLj3EEiiiiiiiiiiiliiliiiiil.uses_vcc, 1
	.set _ZL15flash_attn_tileILi256ELi256ELi2ELi1ELb1EEvPKcS1_S1_S1_S1_PKiPfP15HIP_vector_typeIfLj2EEffffjfiS5_IjLj3EEiiiiiiiiiiiliiliiiiil.uses_flat_scratch, 0
	.set _ZL15flash_attn_tileILi256ELi256ELi2ELi1ELb1EEvPKcS1_S1_S1_S1_PKiPfP15HIP_vector_typeIfLj2EEffffjfiS5_IjLj3EEiiiiiiiiiiiliiliiiiil.has_dyn_sized_stack, 0
	.set _ZL15flash_attn_tileILi256ELi256ELi2ELi1ELb1EEvPKcS1_S1_S1_S1_PKiPfP15HIP_vector_typeIfLj2EEffffjfiS5_IjLj3EEiiiiiiiiiiiliiliiiiil.has_recursion, 0
	.set _ZL15flash_attn_tileILi256ELi256ELi2ELi1ELb1EEvPKcS1_S1_S1_S1_PKiPfP15HIP_vector_typeIfLj2EEffffjfiS5_IjLj3EEiiiiiiiiiiiliiliiiiil.has_indirect_call, 0
	.section	.AMDGPU.csdata,"",@progbits
; Kernel info:
; codeLenInByte = 19616
; TotalNumSgprs: 54
; NumVgprs: 121
; NumAgprs: 0
; TotalNumVgprs: 121
; ScratchSize: 32
; MemoryBound: 0
; FloatMode: 240
; IeeeMode: 1
; LDSByteSize: 20032 bytes/workgroup (compile time only)
; SGPRBlocks: 6
; VGPRBlocks: 15
; NumSGPRsForWavesPerEU: 54
; NumVGPRsForWavesPerEU: 121
; AccumOffset: 124
; Occupancy: 4
; WaveLimiterHint : 1
; COMPUTE_PGM_RSRC2:SCRATCH_EN: 1
; COMPUTE_PGM_RSRC2:USER_SGPR: 2
; COMPUTE_PGM_RSRC2:TRAP_HANDLER: 0
; COMPUTE_PGM_RSRC2:TGID_X_EN: 1
; COMPUTE_PGM_RSRC2:TGID_Y_EN: 1
; COMPUTE_PGM_RSRC2:TGID_Z_EN: 1
; COMPUTE_PGM_RSRC2:TIDIG_COMP_CNT: 1
; COMPUTE_PGM_RSRC3_GFX90A:ACCUM_OFFSET: 30
; COMPUTE_PGM_RSRC3_GFX90A:TG_SPLIT: 0
	.section	.AMDGPU.gpr_maximums,"",@progbits
	.set amdgpu.max_num_vgpr, 0
	.set amdgpu.max_num_agpr, 0
	.set amdgpu.max_num_sgpr, 0
	.section	.AMDGPU.csdata,"",@progbits
	.type	__hip_cuid_9f995d271edd2db1,@object ; @__hip_cuid_9f995d271edd2db1
	.section	.bss,"aw",@nobits
	.globl	__hip_cuid_9f995d271edd2db1
__hip_cuid_9f995d271edd2db1:
	.byte	0                               ; 0x0
	.size	__hip_cuid_9f995d271edd2db1, 1

	.ident	"AMD clang version 22.0.0git (https://github.com/RadeonOpenCompute/llvm-project roc-7.2.4 26084 f58b06dce1f9c15707c5f808fd002e18c2accf7e)"
	.section	".note.GNU-stack","",@progbits
	.addrsig
	.addrsig_sym __hip_cuid_9f995d271edd2db1
	.amdgpu_metadata
---
amdhsa.kernels:
  - .agpr_count:     0
    .args:
      - .address_space:  global
        .offset:         0
        .size:           8
        .value_kind:     global_buffer
      - .address_space:  global
        .offset:         8
        .size:           8
        .value_kind:     global_buffer
      - .address_space:  global
        .offset:         16
        .size:           8
        .value_kind:     global_buffer
      - .address_space:  global
        .offset:         24
        .size:           8
        .value_kind:     global_buffer
      - .address_space:  global
        .offset:         32
        .size:           8
        .value_kind:     global_buffer
      - .address_space:  global
        .offset:         40
        .size:           8
        .value_kind:     global_buffer
      - .address_space:  global
        .offset:         48
        .size:           8
        .value_kind:     global_buffer
      - .address_space:  global
        .offset:         56
        .size:           8
        .value_kind:     global_buffer
      - .offset:         64
        .size:           4
        .value_kind:     by_value
      - .offset:         68
        .size:           4
        .value_kind:     by_value
      - .offset:         72
        .size:           4
        .value_kind:     by_value
      - .offset:         76
        .size:           4
        .value_kind:     by_value
      - .offset:         80
        .size:           4
        .value_kind:     by_value
      - .offset:         84
        .size:           4
        .value_kind:     by_value
      - .offset:         88
        .size:           4
        .value_kind:     by_value
      - .offset:         92
        .size:           12
        .value_kind:     by_value
      - .offset:         104
        .size:           4
        .value_kind:     by_value
      - .offset:         108
        .size:           4
        .value_kind:     by_value
      - .offset:         112
        .size:           4
        .value_kind:     by_value
      - .offset:         116
        .size:           4
        .value_kind:     by_value
      - .offset:         120
        .size:           4
        .value_kind:     by_value
      - .offset:         124
        .size:           4
        .value_kind:     by_value
      - .offset:         128
        .size:           4
        .value_kind:     by_value
      - .offset:         132
        .size:           4
        .value_kind:     by_value
      - .offset:         136
        .size:           4
        .value_kind:     by_value
      - .offset:         140
        .size:           4
        .value_kind:     by_value
      - .offset:         144
        .size:           4
        .value_kind:     by_value
      - .offset:         152
        .size:           8
        .value_kind:     by_value
      - .offset:         160
        .size:           4
        .value_kind:     by_value
      - .offset:         164
        .size:           4
        .value_kind:     by_value
      - .offset:         168
        .size:           8
        .value_kind:     by_value
      - .offset:         176
        .size:           4
        .value_kind:     by_value
      - .offset:         180
        .size:           4
        .value_kind:     by_value
      - .offset:         184
        .size:           4
        .value_kind:     by_value
      - .offset:         188
        .size:           4
        .value_kind:     by_value
      - .offset:         192
        .size:           4
        .value_kind:     by_value
      - .offset:         200
        .size:           8
        .value_kind:     by_value
      - .offset:         208
        .size:           4
        .value_kind:     hidden_block_count_x
      - .offset:         212
        .size:           4
        .value_kind:     hidden_block_count_y
      - .offset:         216
        .size:           4
        .value_kind:     hidden_block_count_z
      - .offset:         220
        .size:           2
        .value_kind:     hidden_group_size_x
      - .offset:         222
        .size:           2
        .value_kind:     hidden_group_size_y
      - .offset:         224
        .size:           2
        .value_kind:     hidden_group_size_z
      - .offset:         226
        .size:           2
        .value_kind:     hidden_remainder_x
      - .offset:         228
        .size:           2
        .value_kind:     hidden_remainder_y
      - .offset:         230
        .size:           2
        .value_kind:     hidden_remainder_z
      - .offset:         248
        .size:           8
        .value_kind:     hidden_global_offset_x
      - .offset:         256
        .size:           8
        .value_kind:     hidden_global_offset_y
      - .offset:         264
        .size:           8
        .value_kind:     hidden_global_offset_z
      - .offset:         272
        .size:           2
        .value_kind:     hidden_grid_dims
    .group_segment_fixed_size: 27136
    .kernarg_segment_align: 8
    .kernarg_segment_size: 464
    .language:       OpenCL C
    .language_version:
      - 2
      - 0
    .max_flat_workgroup_size: 256
    .name:           _ZL15flash_attn_tileILi256ELi256ELi4ELi8ELb0EEvPKcS1_S1_S1_S1_PKiPfP15HIP_vector_typeIfLj2EEffffjfiS5_IjLj3EEiiiiiiiiiiiliiliiiiil
    .private_segment_fixed_size: 0
    .sgpr_count:     52
    .sgpr_spill_count: 0
    .symbol:         _ZL15flash_attn_tileILi256ELi256ELi4ELi8ELb0EEvPKcS1_S1_S1_S1_PKiPfP15HIP_vector_typeIfLj2EEffffjfiS5_IjLj3EEiiiiiiiiiiiliiliiiiil.kd
    .uniform_work_group_size: 1
    .uses_dynamic_stack: false
    .vgpr_count:     105
    .vgpr_spill_count: 0
    .wavefront_size: 64
  - .agpr_count:     0
    .args:
      - .actual_access:  read_only
        .address_space:  global
        .offset:         0
        .size:           8
        .value_kind:     global_buffer
      - .actual_access:  write_only
        .address_space:  global
        .offset:         8
        .size:           8
        .value_kind:     global_buffer
      - .offset:         16
        .size:           4
        .value_kind:     by_value
      - .offset:         20
        .size:           4
        .value_kind:     by_value
      - .offset:         24
        .size:           4
        .value_kind:     by_value
      - .offset:         32
        .size:           4
        .value_kind:     hidden_block_count_x
      - .offset:         36
        .size:           4
        .value_kind:     hidden_block_count_y
      - .offset:         40
        .size:           4
        .value_kind:     hidden_block_count_z
      - .offset:         44
        .size:           2
        .value_kind:     hidden_group_size_x
      - .offset:         46
        .size:           2
        .value_kind:     hidden_group_size_y
      - .offset:         48
        .size:           2
        .value_kind:     hidden_group_size_z
      - .offset:         50
        .size:           2
        .value_kind:     hidden_remainder_x
      - .offset:         52
        .size:           2
        .value_kind:     hidden_remainder_y
      - .offset:         54
        .size:           2
        .value_kind:     hidden_remainder_z
      - .offset:         72
        .size:           8
        .value_kind:     hidden_global_offset_x
      - .offset:         80
        .size:           8
        .value_kind:     hidden_global_offset_y
      - .offset:         88
        .size:           8
        .value_kind:     hidden_global_offset_z
      - .offset:         96
        .size:           2
        .value_kind:     hidden_grid_dims
    .group_segment_fixed_size: 128
    .kernarg_segment_align: 8
    .kernarg_segment_size: 288
    .language:       OpenCL C
    .language_version:
      - 2
      - 0
    .max_flat_workgroup_size: 128
    .name:           _ZL25flash_attn_mask_to_KV_maxILi4EEvPK7__half2Piiii
    .private_segment_fixed_size: 0
    .sgpr_count:     36
    .sgpr_spill_count: 0
    .symbol:         _ZL25flash_attn_mask_to_KV_maxILi4EEvPK7__half2Piiii.kd
    .uniform_work_group_size: 1
    .uses_dynamic_stack: false
    .vgpr_count:     17
    .vgpr_spill_count: 0
    .wavefront_size: 64
  - .agpr_count:     0
    .args:
      - .address_space:  global
        .offset:         0
        .size:           8
        .value_kind:     global_buffer
      - .address_space:  global
        .offset:         8
        .size:           8
        .value_kind:     global_buffer
      - .offset:         16
        .size:           4
        .value_kind:     by_value
      - .offset:         20
        .size:           4
        .value_kind:     by_value
      - .offset:         24
        .size:           4
        .value_kind:     by_value
      - .offset:         28
        .size:           4
        .value_kind:     by_value
      - .offset:         32
        .size:           4
        .value_kind:     by_value
      - .offset:         36
        .size:           4
        .value_kind:     by_value
      - .offset:         40
        .size:           12
        .value_kind:     by_value
      - .offset:         52
        .size:           12
        .value_kind:     by_value
      - .offset:         64
        .size:           12
        .value_kind:     by_value
    .group_segment_fixed_size: 0
    .kernarg_segment_align: 8
    .kernarg_segment_size: 76
    .language:       OpenCL C
    .language_version:
      - 2
      - 0
    .max_flat_workgroup_size: 256
    .name:           _ZL33flash_attn_stream_k_fixup_uniformILi256ELi4ELi8EEvPfPK15HIP_vector_typeIfLj2EEiiiiiiS1_IjLj3EES5_S5_
    .private_segment_fixed_size: 0
    .sgpr_count:     30
    .sgpr_spill_count: 0
    .symbol:         _ZL33flash_attn_stream_k_fixup_uniformILi256ELi4ELi8EEvPfPK15HIP_vector_typeIfLj2EEiiiiiiS1_IjLj3EES5_S5_.kd
    .uniform_work_group_size: 1
    .uses_dynamic_stack: false
    .vgpr_count:     17
    .vgpr_spill_count: 0
    .wavefront_size: 64
  - .agpr_count:     0
    .args:
      - .address_space:  global
        .offset:         0
        .size:           8
        .value_kind:     global_buffer
      - .address_space:  global
        .offset:         8
        .size:           8
        .value_kind:     global_buffer
      - .offset:         16
        .size:           4
        .value_kind:     by_value
      - .offset:         20
        .size:           4
        .value_kind:     by_value
      - .offset:         24
        .size:           4
        .value_kind:     by_value
      - .offset:         28
        .size:           4
        .value_kind:     by_value
      - .offset:         32
        .size:           12
        .value_kind:     by_value
      - .offset:         44
        .size:           12
        .value_kind:     by_value
      - .offset:         56
        .size:           12
        .value_kind:     by_value
      - .offset:         68
        .size:           12
        .value_kind:     by_value
      - .offset:         80
        .size:           4
        .value_kind:     hidden_block_count_x
      - .offset:         84
        .size:           4
        .value_kind:     hidden_block_count_y
      - .offset:         88
        .size:           4
        .value_kind:     hidden_block_count_z
      - .offset:         92
        .size:           2
        .value_kind:     hidden_group_size_x
      - .offset:         94
        .size:           2
        .value_kind:     hidden_group_size_y
      - .offset:         96
        .size:           2
        .value_kind:     hidden_group_size_z
      - .offset:         98
        .size:           2
        .value_kind:     hidden_remainder_x
      - .offset:         100
        .size:           2
        .value_kind:     hidden_remainder_y
      - .offset:         102
        .size:           2
        .value_kind:     hidden_remainder_z
      - .offset:         120
        .size:           8
        .value_kind:     hidden_global_offset_x
      - .offset:         128
        .size:           8
        .value_kind:     hidden_global_offset_y
      - .offset:         136
        .size:           8
        .value_kind:     hidden_global_offset_z
      - .offset:         144
        .size:           2
        .value_kind:     hidden_grid_dims
    .group_segment_fixed_size: 0
    .kernarg_segment_align: 8
    .kernarg_segment_size: 336
    .language:       OpenCL C
    .language_version:
      - 2
      - 0
    .max_flat_workgroup_size: 256
    .name:           _ZL33flash_attn_stream_k_fixup_generalILi256ELi4ELi8EEvPfPK15HIP_vector_typeIfLj2EEiiiiS1_IjLj3EES5_S5_S5_
    .private_segment_fixed_size: 0
    .sgpr_count:     42
    .sgpr_spill_count: 0
    .symbol:         _ZL33flash_attn_stream_k_fixup_generalILi256ELi4ELi8EEvPfPK15HIP_vector_typeIfLj2EEiiiiS1_IjLj3EES5_S5_S5_.kd
    .uniform_work_group_size: 1
    .uses_dynamic_stack: false
    .vgpr_count:     18
    .vgpr_spill_count: 0
    .wavefront_size: 64
  - .agpr_count:     0
    .args:
      - .address_space:  global
        .offset:         0
        .size:           8
        .value_kind:     global_buffer
      - .address_space:  global
        .offset:         8
        .size:           8
        .value_kind:     global_buffer
      - .address_space:  global
        .offset:         16
        .size:           8
        .value_kind:     global_buffer
      - .offset:         24
        .size:           4
        .value_kind:     by_value
      - .offset:         32
        .size:           4
        .value_kind:     hidden_block_count_x
      - .offset:         36
        .size:           4
        .value_kind:     hidden_block_count_y
      - .offset:         40
        .size:           4
        .value_kind:     hidden_block_count_z
      - .offset:         44
        .size:           2
        .value_kind:     hidden_group_size_x
      - .offset:         46
        .size:           2
        .value_kind:     hidden_group_size_y
      - .offset:         48
        .size:           2
        .value_kind:     hidden_group_size_z
      - .offset:         50
        .size:           2
        .value_kind:     hidden_remainder_x
      - .offset:         52
        .size:           2
        .value_kind:     hidden_remainder_y
      - .offset:         54
        .size:           2
        .value_kind:     hidden_remainder_z
      - .offset:         72
        .size:           8
        .value_kind:     hidden_global_offset_x
      - .offset:         80
        .size:           8
        .value_kind:     hidden_global_offset_y
      - .offset:         88
        .size:           8
        .value_kind:     hidden_global_offset_z
      - .offset:         96
        .size:           2
        .value_kind:     hidden_grid_dims
      - .offset:         152
        .size:           4
        .value_kind:     hidden_dynamic_lds_size
    .group_segment_fixed_size: 0
    .kernarg_segment_align: 8
    .kernarg_segment_size: 288
    .language:       OpenCL C
    .language_version:
      - 2
      - 0
    .max_flat_workgroup_size: 256
    .name:           _ZL26flash_attn_combine_resultsILi256EEvPKfPK15HIP_vector_typeIfLj2EEPfi
    .private_segment_fixed_size: 0
    .sgpr_count:     32
    .sgpr_spill_count: 0
    .symbol:         _ZL26flash_attn_combine_resultsILi256EEvPKfPK15HIP_vector_typeIfLj2EEPfi.kd
    .uniform_work_group_size: 1
    .uses_dynamic_stack: false
    .vgpr_count:     59
    .vgpr_spill_count: 0
    .wavefront_size: 64
  - .agpr_count:     0
    .args:
      - .address_space:  global
        .offset:         0
        .size:           8
        .value_kind:     global_buffer
      - .address_space:  global
        .offset:         8
        .size:           8
        .value_kind:     global_buffer
      - .address_space:  global
        .offset:         16
        .size:           8
        .value_kind:     global_buffer
      - .address_space:  global
        .offset:         24
        .size:           8
        .value_kind:     global_buffer
      - .address_space:  global
        .offset:         32
        .size:           8
        .value_kind:     global_buffer
      - .address_space:  global
        .offset:         40
        .size:           8
        .value_kind:     global_buffer
      - .address_space:  global
        .offset:         48
        .size:           8
        .value_kind:     global_buffer
      - .address_space:  global
        .offset:         56
        .size:           8
        .value_kind:     global_buffer
      - .offset:         64
        .size:           4
        .value_kind:     by_value
      - .offset:         68
        .size:           4
        .value_kind:     by_value
      - .offset:         72
        .size:           4
        .value_kind:     by_value
      - .offset:         76
        .size:           4
        .value_kind:     by_value
      - .offset:         80
        .size:           4
        .value_kind:     by_value
      - .offset:         84
        .size:           4
        .value_kind:     by_value
      - .offset:         88
        .size:           4
        .value_kind:     by_value
      - .offset:         92
        .size:           12
        .value_kind:     by_value
      - .offset:         104
        .size:           4
        .value_kind:     by_value
      - .offset:         108
        .size:           4
        .value_kind:     by_value
      - .offset:         112
        .size:           4
        .value_kind:     by_value
      - .offset:         116
        .size:           4
        .value_kind:     by_value
      - .offset:         120
        .size:           4
        .value_kind:     by_value
      - .offset:         124
        .size:           4
        .value_kind:     by_value
      - .offset:         128
        .size:           4
        .value_kind:     by_value
      - .offset:         132
        .size:           4
        .value_kind:     by_value
      - .offset:         136
        .size:           4
        .value_kind:     by_value
      - .offset:         140
        .size:           4
        .value_kind:     by_value
      - .offset:         144
        .size:           4
        .value_kind:     by_value
      - .offset:         152
        .size:           8
        .value_kind:     by_value
      - .offset:         160
        .size:           4
        .value_kind:     by_value
      - .offset:         164
        .size:           4
        .value_kind:     by_value
      - .offset:         168
        .size:           8
        .value_kind:     by_value
      - .offset:         176
        .size:           4
        .value_kind:     by_value
      - .offset:         180
        .size:           4
        .value_kind:     by_value
      - .offset:         184
        .size:           4
        .value_kind:     by_value
      - .offset:         188
        .size:           4
        .value_kind:     by_value
      - .offset:         192
        .size:           4
        .value_kind:     by_value
      - .offset:         200
        .size:           8
        .value_kind:     by_value
      - .offset:         208
        .size:           4
        .value_kind:     hidden_block_count_x
      - .offset:         212
        .size:           4
        .value_kind:     hidden_block_count_y
      - .offset:         216
        .size:           4
        .value_kind:     hidden_block_count_z
      - .offset:         220
        .size:           2
        .value_kind:     hidden_group_size_x
      - .offset:         222
        .size:           2
        .value_kind:     hidden_group_size_y
      - .offset:         224
        .size:           2
        .value_kind:     hidden_group_size_z
      - .offset:         226
        .size:           2
        .value_kind:     hidden_remainder_x
      - .offset:         228
        .size:           2
        .value_kind:     hidden_remainder_y
      - .offset:         230
        .size:           2
        .value_kind:     hidden_remainder_z
      - .offset:         248
        .size:           8
        .value_kind:     hidden_global_offset_x
      - .offset:         256
        .size:           8
        .value_kind:     hidden_global_offset_y
      - .offset:         264
        .size:           8
        .value_kind:     hidden_global_offset_z
      - .offset:         272
        .size:           2
        .value_kind:     hidden_grid_dims
    .group_segment_fixed_size: 17920
    .kernarg_segment_align: 8
    .kernarg_segment_size: 464
    .language:       OpenCL C
    .language_version:
      - 2
      - 0
    .max_flat_workgroup_size: 256
    .name:           _ZL15flash_attn_tileILi256ELi256ELi2ELi8ELb0EEvPKcS1_S1_S1_S1_PKiPfP15HIP_vector_typeIfLj2EEffffjfiS5_IjLj3EEiiiiiiiiiiiliiliiiiil
    .private_segment_fixed_size: 0
    .sgpr_count:     46
    .sgpr_spill_count: 0
    .symbol:         _ZL15flash_attn_tileILi256ELi256ELi2ELi8ELb0EEvPKcS1_S1_S1_S1_PKiPfP15HIP_vector_typeIfLj2EEffffjfiS5_IjLj3EEiiiiiiiiiiiliiliiiiil.kd
    .uniform_work_group_size: 1
    .uses_dynamic_stack: false
    .vgpr_count:     72
    .vgpr_spill_count: 0
    .wavefront_size: 64
  - .agpr_count:     0
    .args:
      - .actual_access:  read_only
        .address_space:  global
        .offset:         0
        .size:           8
        .value_kind:     global_buffer
      - .actual_access:  write_only
        .address_space:  global
        .offset:         8
        .size:           8
        .value_kind:     global_buffer
      - .offset:         16
        .size:           4
        .value_kind:     by_value
      - .offset:         20
        .size:           4
        .value_kind:     by_value
      - .offset:         24
        .size:           4
        .value_kind:     by_value
      - .offset:         32
        .size:           4
        .value_kind:     hidden_block_count_x
      - .offset:         36
        .size:           4
        .value_kind:     hidden_block_count_y
      - .offset:         40
        .size:           4
        .value_kind:     hidden_block_count_z
      - .offset:         44
        .size:           2
        .value_kind:     hidden_group_size_x
      - .offset:         46
        .size:           2
        .value_kind:     hidden_group_size_y
      - .offset:         48
        .size:           2
        .value_kind:     hidden_group_size_z
      - .offset:         50
        .size:           2
        .value_kind:     hidden_remainder_x
      - .offset:         52
        .size:           2
        .value_kind:     hidden_remainder_y
      - .offset:         54
        .size:           2
        .value_kind:     hidden_remainder_z
      - .offset:         72
        .size:           8
        .value_kind:     hidden_global_offset_x
      - .offset:         80
        .size:           8
        .value_kind:     hidden_global_offset_y
      - .offset:         88
        .size:           8
        .value_kind:     hidden_global_offset_z
      - .offset:         96
        .size:           2
        .value_kind:     hidden_grid_dims
    .group_segment_fixed_size: 128
    .kernarg_segment_align: 8
    .kernarg_segment_size: 288
    .language:       OpenCL C
    .language_version:
      - 2
      - 0
    .max_flat_workgroup_size: 128
    .name:           _ZL25flash_attn_mask_to_KV_maxILi2EEvPK7__half2Piiii
    .private_segment_fixed_size: 0
    .sgpr_count:     28
    .sgpr_spill_count: 0
    .symbol:         _ZL25flash_attn_mask_to_KV_maxILi2EEvPK7__half2Piiii.kd
    .uniform_work_group_size: 1
    .uses_dynamic_stack: false
    .vgpr_count:     17
    .vgpr_spill_count: 0
    .wavefront_size: 64
  - .agpr_count:     0
    .args:
      - .address_space:  global
        .offset:         0
        .size:           8
        .value_kind:     global_buffer
      - .address_space:  global
        .offset:         8
        .size:           8
        .value_kind:     global_buffer
      - .offset:         16
        .size:           4
        .value_kind:     by_value
      - .offset:         20
        .size:           4
        .value_kind:     by_value
      - .offset:         24
        .size:           4
        .value_kind:     by_value
      - .offset:         28
        .size:           4
        .value_kind:     by_value
      - .offset:         32
        .size:           4
        .value_kind:     by_value
      - .offset:         36
        .size:           4
        .value_kind:     by_value
      - .offset:         40
        .size:           12
        .value_kind:     by_value
      - .offset:         52
        .size:           12
        .value_kind:     by_value
      - .offset:         64
        .size:           12
        .value_kind:     by_value
    .group_segment_fixed_size: 0
    .kernarg_segment_align: 8
    .kernarg_segment_size: 76
    .language:       OpenCL C
    .language_version:
      - 2
      - 0
    .max_flat_workgroup_size: 256
    .name:           _ZL33flash_attn_stream_k_fixup_uniformILi256ELi2ELi8EEvPfPK15HIP_vector_typeIfLj2EEiiiiiiS1_IjLj3EES5_S5_
    .private_segment_fixed_size: 0
    .sgpr_count:     30
    .sgpr_spill_count: 0
    .symbol:         _ZL33flash_attn_stream_k_fixup_uniformILi256ELi2ELi8EEvPfPK15HIP_vector_typeIfLj2EEiiiiiiS1_IjLj3EES5_S5_.kd
    .uniform_work_group_size: 1
    .uses_dynamic_stack: false
    .vgpr_count:     17
    .vgpr_spill_count: 0
    .wavefront_size: 64
  - .agpr_count:     0
    .args:
      - .address_space:  global
        .offset:         0
        .size:           8
        .value_kind:     global_buffer
      - .address_space:  global
        .offset:         8
        .size:           8
        .value_kind:     global_buffer
      - .offset:         16
        .size:           4
        .value_kind:     by_value
      - .offset:         20
        .size:           4
        .value_kind:     by_value
      - .offset:         24
        .size:           4
        .value_kind:     by_value
      - .offset:         28
        .size:           4
        .value_kind:     by_value
      - .offset:         32
        .size:           12
        .value_kind:     by_value
      - .offset:         44
        .size:           12
        .value_kind:     by_value
      - .offset:         56
        .size:           12
        .value_kind:     by_value
      - .offset:         68
        .size:           12
        .value_kind:     by_value
      - .offset:         80
        .size:           4
        .value_kind:     hidden_block_count_x
      - .offset:         84
        .size:           4
        .value_kind:     hidden_block_count_y
      - .offset:         88
        .size:           4
        .value_kind:     hidden_block_count_z
      - .offset:         92
        .size:           2
        .value_kind:     hidden_group_size_x
      - .offset:         94
        .size:           2
        .value_kind:     hidden_group_size_y
      - .offset:         96
        .size:           2
        .value_kind:     hidden_group_size_z
      - .offset:         98
        .size:           2
        .value_kind:     hidden_remainder_x
      - .offset:         100
        .size:           2
        .value_kind:     hidden_remainder_y
      - .offset:         102
        .size:           2
        .value_kind:     hidden_remainder_z
      - .offset:         120
        .size:           8
        .value_kind:     hidden_global_offset_x
      - .offset:         128
        .size:           8
        .value_kind:     hidden_global_offset_y
      - .offset:         136
        .size:           8
        .value_kind:     hidden_global_offset_z
      - .offset:         144
        .size:           2
        .value_kind:     hidden_grid_dims
    .group_segment_fixed_size: 0
    .kernarg_segment_align: 8
    .kernarg_segment_size: 336
    .language:       OpenCL C
    .language_version:
      - 2
      - 0
    .max_flat_workgroup_size: 256
    .name:           _ZL33flash_attn_stream_k_fixup_generalILi256ELi2ELi8EEvPfPK15HIP_vector_typeIfLj2EEiiiiS1_IjLj3EES5_S5_S5_
    .private_segment_fixed_size: 0
    .sgpr_count:     42
    .sgpr_spill_count: 0
    .symbol:         _ZL33flash_attn_stream_k_fixup_generalILi256ELi2ELi8EEvPfPK15HIP_vector_typeIfLj2EEiiiiS1_IjLj3EES5_S5_S5_.kd
    .uniform_work_group_size: 1
    .uses_dynamic_stack: false
    .vgpr_count:     18
    .vgpr_spill_count: 0
    .wavefront_size: 64
  - .agpr_count:     0
    .args:
      - .address_space:  global
        .offset:         0
        .size:           8
        .value_kind:     global_buffer
      - .address_space:  global
        .offset:         8
        .size:           8
        .value_kind:     global_buffer
      - .address_space:  global
        .offset:         16
        .size:           8
        .value_kind:     global_buffer
      - .address_space:  global
        .offset:         24
        .size:           8
        .value_kind:     global_buffer
      - .address_space:  global
        .offset:         32
        .size:           8
        .value_kind:     global_buffer
      - .address_space:  global
        .offset:         40
        .size:           8
        .value_kind:     global_buffer
      - .address_space:  global
        .offset:         48
        .size:           8
        .value_kind:     global_buffer
      - .address_space:  global
        .offset:         56
        .size:           8
        .value_kind:     global_buffer
      - .offset:         64
        .size:           4
        .value_kind:     by_value
      - .offset:         68
        .size:           4
        .value_kind:     by_value
      - .offset:         72
        .size:           4
        .value_kind:     by_value
      - .offset:         76
        .size:           4
        .value_kind:     by_value
      - .offset:         80
        .size:           4
        .value_kind:     by_value
      - .offset:         84
        .size:           4
        .value_kind:     by_value
      - .offset:         88
        .size:           4
        .value_kind:     by_value
      - .offset:         92
        .size:           12
        .value_kind:     by_value
      - .offset:         104
        .size:           4
        .value_kind:     by_value
      - .offset:         108
        .size:           4
        .value_kind:     by_value
      - .offset:         112
        .size:           4
        .value_kind:     by_value
      - .offset:         116
        .size:           4
        .value_kind:     by_value
      - .offset:         120
        .size:           4
        .value_kind:     by_value
      - .offset:         124
        .size:           4
        .value_kind:     by_value
      - .offset:         128
        .size:           4
        .value_kind:     by_value
      - .offset:         132
        .size:           4
        .value_kind:     by_value
      - .offset:         136
        .size:           4
        .value_kind:     by_value
      - .offset:         140
        .size:           4
        .value_kind:     by_value
      - .offset:         144
        .size:           4
        .value_kind:     by_value
      - .offset:         152
        .size:           8
        .value_kind:     by_value
      - .offset:         160
        .size:           4
        .value_kind:     by_value
      - .offset:         164
        .size:           4
        .value_kind:     by_value
      - .offset:         168
        .size:           8
        .value_kind:     by_value
      - .offset:         176
        .size:           4
        .value_kind:     by_value
      - .offset:         180
        .size:           4
        .value_kind:     by_value
      - .offset:         184
        .size:           4
        .value_kind:     by_value
      - .offset:         188
        .size:           4
        .value_kind:     by_value
      - .offset:         192
        .size:           4
        .value_kind:     by_value
      - .offset:         200
        .size:           8
        .value_kind:     by_value
      - .offset:         208
        .size:           4
        .value_kind:     hidden_block_count_x
      - .offset:         212
        .size:           4
        .value_kind:     hidden_block_count_y
      - .offset:         216
        .size:           4
        .value_kind:     hidden_block_count_z
      - .offset:         220
        .size:           2
        .value_kind:     hidden_group_size_x
      - .offset:         222
        .size:           2
        .value_kind:     hidden_group_size_y
      - .offset:         224
        .size:           2
        .value_kind:     hidden_group_size_z
      - .offset:         226
        .size:           2
        .value_kind:     hidden_remainder_x
      - .offset:         228
        .size:           2
        .value_kind:     hidden_remainder_y
      - .offset:         230
        .size:           2
        .value_kind:     hidden_remainder_z
      - .offset:         248
        .size:           8
        .value_kind:     hidden_global_offset_x
      - .offset:         256
        .size:           8
        .value_kind:     hidden_global_offset_y
      - .offset:         264
        .size:           8
        .value_kind:     hidden_global_offset_z
      - .offset:         272
        .size:           2
        .value_kind:     hidden_grid_dims
    .group_segment_fixed_size: 22528
    .kernarg_segment_align: 8
    .kernarg_segment_size: 464
    .language:       OpenCL C
    .language_version:
      - 2
      - 0
    .max_flat_workgroup_size: 256
    .name:           _ZL15flash_attn_tileILi256ELi256ELi1ELi8ELb0EEvPKcS1_S1_S1_S1_PKiPfP15HIP_vector_typeIfLj2EEffffjfiS5_IjLj3EEiiiiiiiiiiiliiliiiiil
    .private_segment_fixed_size: 0
    .sgpr_count:     45
    .sgpr_spill_count: 0
    .symbol:         _ZL15flash_attn_tileILi256ELi256ELi1ELi8ELb0EEvPKcS1_S1_S1_S1_PKiPfP15HIP_vector_typeIfLj2EEffffjfiS5_IjLj3EEiiiiiiiiiiiliiliiiiil.kd
    .uniform_work_group_size: 1
    .uses_dynamic_stack: false
    .vgpr_count:     102
    .vgpr_spill_count: 0
    .wavefront_size: 64
  - .agpr_count:     0
    .args:
      - .actual_access:  read_only
        .address_space:  global
        .offset:         0
        .size:           8
        .value_kind:     global_buffer
      - .actual_access:  write_only
        .address_space:  global
        .offset:         8
        .size:           8
        .value_kind:     global_buffer
      - .offset:         16
        .size:           4
        .value_kind:     by_value
      - .offset:         20
        .size:           4
        .value_kind:     by_value
      - .offset:         24
        .size:           4
        .value_kind:     by_value
      - .offset:         32
        .size:           4
        .value_kind:     hidden_block_count_x
      - .offset:         36
        .size:           4
        .value_kind:     hidden_block_count_y
      - .offset:         40
        .size:           4
        .value_kind:     hidden_block_count_z
      - .offset:         44
        .size:           2
        .value_kind:     hidden_group_size_x
      - .offset:         46
        .size:           2
        .value_kind:     hidden_group_size_y
      - .offset:         48
        .size:           2
        .value_kind:     hidden_group_size_z
      - .offset:         50
        .size:           2
        .value_kind:     hidden_remainder_x
      - .offset:         52
        .size:           2
        .value_kind:     hidden_remainder_y
      - .offset:         54
        .size:           2
        .value_kind:     hidden_remainder_z
      - .offset:         72
        .size:           8
        .value_kind:     hidden_global_offset_x
      - .offset:         80
        .size:           8
        .value_kind:     hidden_global_offset_y
      - .offset:         88
        .size:           8
        .value_kind:     hidden_global_offset_z
      - .offset:         96
        .size:           2
        .value_kind:     hidden_grid_dims
    .group_segment_fixed_size: 128
    .kernarg_segment_align: 8
    .kernarg_segment_size: 288
    .language:       OpenCL C
    .language_version:
      - 2
      - 0
    .max_flat_workgroup_size: 128
    .name:           _ZL25flash_attn_mask_to_KV_maxILi1EEvPK7__half2Piiii
    .private_segment_fixed_size: 0
    .sgpr_count:     26
    .sgpr_spill_count: 0
    .symbol:         _ZL25flash_attn_mask_to_KV_maxILi1EEvPK7__half2Piiii.kd
    .uniform_work_group_size: 1
    .uses_dynamic_stack: false
    .vgpr_count:     17
    .vgpr_spill_count: 0
    .wavefront_size: 64
  - .agpr_count:     0
    .args:
      - .address_space:  global
        .offset:         0
        .size:           8
        .value_kind:     global_buffer
      - .address_space:  global
        .offset:         8
        .size:           8
        .value_kind:     global_buffer
      - .offset:         16
        .size:           4
        .value_kind:     by_value
      - .offset:         20
        .size:           4
        .value_kind:     by_value
      - .offset:         24
        .size:           4
        .value_kind:     by_value
      - .offset:         28
        .size:           4
        .value_kind:     by_value
      - .offset:         32
        .size:           4
        .value_kind:     by_value
      - .offset:         36
        .size:           4
        .value_kind:     by_value
      - .offset:         40
        .size:           12
        .value_kind:     by_value
      - .offset:         52
        .size:           12
        .value_kind:     by_value
      - .offset:         64
        .size:           12
        .value_kind:     by_value
    .group_segment_fixed_size: 0
    .kernarg_segment_align: 8
    .kernarg_segment_size: 76
    .language:       OpenCL C
    .language_version:
      - 2
      - 0
    .max_flat_workgroup_size: 256
    .name:           _ZL33flash_attn_stream_k_fixup_uniformILi256ELi1ELi8EEvPfPK15HIP_vector_typeIfLj2EEiiiiiiS1_IjLj3EES5_S5_
    .private_segment_fixed_size: 0
    .sgpr_count:     26
    .sgpr_spill_count: 0
    .symbol:         _ZL33flash_attn_stream_k_fixup_uniformILi256ELi1ELi8EEvPfPK15HIP_vector_typeIfLj2EEiiiiiiS1_IjLj3EES5_S5_.kd
    .uniform_work_group_size: 1
    .uses_dynamic_stack: false
    .vgpr_count:     17
    .vgpr_spill_count: 0
    .wavefront_size: 64
  - .agpr_count:     0
    .args:
      - .address_space:  global
        .offset:         0
        .size:           8
        .value_kind:     global_buffer
      - .address_space:  global
        .offset:         8
        .size:           8
        .value_kind:     global_buffer
      - .offset:         16
        .size:           4
        .value_kind:     by_value
      - .offset:         20
        .size:           4
        .value_kind:     by_value
      - .offset:         24
        .size:           4
        .value_kind:     by_value
      - .offset:         28
        .size:           4
        .value_kind:     by_value
      - .offset:         32
        .size:           12
        .value_kind:     by_value
      - .offset:         44
        .size:           12
        .value_kind:     by_value
      - .offset:         56
        .size:           12
        .value_kind:     by_value
      - .offset:         68
        .size:           12
        .value_kind:     by_value
      - .offset:         80
        .size:           4
        .value_kind:     hidden_block_count_x
      - .offset:         84
        .size:           4
        .value_kind:     hidden_block_count_y
      - .offset:         88
        .size:           4
        .value_kind:     hidden_block_count_z
      - .offset:         92
        .size:           2
        .value_kind:     hidden_group_size_x
      - .offset:         94
        .size:           2
        .value_kind:     hidden_group_size_y
      - .offset:         96
        .size:           2
        .value_kind:     hidden_group_size_z
      - .offset:         98
        .size:           2
        .value_kind:     hidden_remainder_x
      - .offset:         100
        .size:           2
        .value_kind:     hidden_remainder_y
      - .offset:         102
        .size:           2
        .value_kind:     hidden_remainder_z
      - .offset:         120
        .size:           8
        .value_kind:     hidden_global_offset_x
      - .offset:         128
        .size:           8
        .value_kind:     hidden_global_offset_y
      - .offset:         136
        .size:           8
        .value_kind:     hidden_global_offset_z
      - .offset:         144
        .size:           2
        .value_kind:     hidden_grid_dims
    .group_segment_fixed_size: 0
    .kernarg_segment_align: 8
    .kernarg_segment_size: 336
    .language:       OpenCL C
    .language_version:
      - 2
      - 0
    .max_flat_workgroup_size: 256
    .name:           _ZL33flash_attn_stream_k_fixup_generalILi256ELi1ELi8EEvPfPK15HIP_vector_typeIfLj2EEiiiiS1_IjLj3EES5_S5_S5_
    .private_segment_fixed_size: 0
    .sgpr_count:     43
    .sgpr_spill_count: 0
    .symbol:         _ZL33flash_attn_stream_k_fixup_generalILi256ELi1ELi8EEvPfPK15HIP_vector_typeIfLj2EEiiiiS1_IjLj3EES5_S5_S5_.kd
    .uniform_work_group_size: 1
    .uses_dynamic_stack: false
    .vgpr_count:     18
    .vgpr_spill_count: 0
    .wavefront_size: 64
  - .agpr_count:     0
    .args:
      - .address_space:  global
        .offset:         0
        .size:           8
        .value_kind:     global_buffer
      - .address_space:  global
        .offset:         8
        .size:           8
        .value_kind:     global_buffer
      - .address_space:  global
        .offset:         16
        .size:           8
        .value_kind:     global_buffer
      - .address_space:  global
        .offset:         24
        .size:           8
        .value_kind:     global_buffer
      - .address_space:  global
        .offset:         32
        .size:           8
        .value_kind:     global_buffer
      - .address_space:  global
        .offset:         40
        .size:           8
        .value_kind:     global_buffer
      - .address_space:  global
        .offset:         48
        .size:           8
        .value_kind:     global_buffer
      - .address_space:  global
        .offset:         56
        .size:           8
        .value_kind:     global_buffer
      - .offset:         64
        .size:           4
        .value_kind:     by_value
      - .offset:         68
        .size:           4
        .value_kind:     by_value
      - .offset:         72
        .size:           4
        .value_kind:     by_value
      - .offset:         76
        .size:           4
        .value_kind:     by_value
      - .offset:         80
        .size:           4
        .value_kind:     by_value
      - .offset:         84
        .size:           4
        .value_kind:     by_value
      - .offset:         88
        .size:           4
        .value_kind:     by_value
      - .offset:         92
        .size:           12
        .value_kind:     by_value
      - .offset:         104
        .size:           4
        .value_kind:     by_value
      - .offset:         108
        .size:           4
        .value_kind:     by_value
      - .offset:         112
        .size:           4
        .value_kind:     by_value
      - .offset:         116
        .size:           4
        .value_kind:     by_value
      - .offset:         120
        .size:           4
        .value_kind:     by_value
      - .offset:         124
        .size:           4
        .value_kind:     by_value
      - .offset:         128
        .size:           4
        .value_kind:     by_value
      - .offset:         132
        .size:           4
        .value_kind:     by_value
      - .offset:         136
        .size:           4
        .value_kind:     by_value
      - .offset:         140
        .size:           4
        .value_kind:     by_value
      - .offset:         144
        .size:           4
        .value_kind:     by_value
      - .offset:         152
        .size:           8
        .value_kind:     by_value
      - .offset:         160
        .size:           4
        .value_kind:     by_value
      - .offset:         164
        .size:           4
        .value_kind:     by_value
      - .offset:         168
        .size:           8
        .value_kind:     by_value
      - .offset:         176
        .size:           4
        .value_kind:     by_value
      - .offset:         180
        .size:           4
        .value_kind:     by_value
      - .offset:         184
        .size:           4
        .value_kind:     by_value
      - .offset:         188
        .size:           4
        .value_kind:     by_value
      - .offset:         192
        .size:           4
        .value_kind:     by_value
      - .offset:         200
        .size:           8
        .value_kind:     by_value
      - .offset:         208
        .size:           4
        .value_kind:     hidden_block_count_x
      - .offset:         212
        .size:           4
        .value_kind:     hidden_block_count_y
      - .offset:         216
        .size:           4
        .value_kind:     hidden_block_count_z
      - .offset:         220
        .size:           2
        .value_kind:     hidden_group_size_x
      - .offset:         222
        .size:           2
        .value_kind:     hidden_group_size_y
      - .offset:         224
        .size:           2
        .value_kind:     hidden_group_size_z
      - .offset:         226
        .size:           2
        .value_kind:     hidden_remainder_x
      - .offset:         228
        .size:           2
        .value_kind:     hidden_remainder_y
      - .offset:         230
        .size:           2
        .value_kind:     hidden_remainder_z
      - .offset:         248
        .size:           8
        .value_kind:     hidden_global_offset_x
      - .offset:         256
        .size:           8
        .value_kind:     hidden_global_offset_y
      - .offset:         264
        .size:           8
        .value_kind:     hidden_global_offset_z
      - .offset:         272
        .size:           2
        .value_kind:     hidden_grid_dims
    .group_segment_fixed_size: 27136
    .kernarg_segment_align: 8
    .kernarg_segment_size: 464
    .language:       OpenCL C
    .language_version:
      - 2
      - 0
    .max_flat_workgroup_size: 256
    .name:           _ZL15flash_attn_tileILi256ELi256ELi8ELi4ELb0EEvPKcS1_S1_S1_S1_PKiPfP15HIP_vector_typeIfLj2EEffffjfiS5_IjLj3EEiiiiiiiiiiiliiliiiiil
    .private_segment_fixed_size: 0
    .sgpr_count:     52
    .sgpr_spill_count: 0
    .symbol:         _ZL15flash_attn_tileILi256ELi256ELi8ELi4ELb0EEvPKcS1_S1_S1_S1_PKiPfP15HIP_vector_typeIfLj2EEffffjfiS5_IjLj3EEiiiiiiiiiiiliiliiiiil.kd
    .uniform_work_group_size: 1
    .uses_dynamic_stack: false
    .vgpr_count:     104
    .vgpr_spill_count: 0
    .wavefront_size: 64
  - .agpr_count:     0
    .args:
      - .actual_access:  read_only
        .address_space:  global
        .offset:         0
        .size:           8
        .value_kind:     global_buffer
      - .actual_access:  write_only
        .address_space:  global
        .offset:         8
        .size:           8
        .value_kind:     global_buffer
      - .offset:         16
        .size:           4
        .value_kind:     by_value
      - .offset:         20
        .size:           4
        .value_kind:     by_value
      - .offset:         24
        .size:           4
        .value_kind:     by_value
      - .offset:         32
        .size:           4
        .value_kind:     hidden_block_count_x
      - .offset:         36
        .size:           4
        .value_kind:     hidden_block_count_y
      - .offset:         40
        .size:           4
        .value_kind:     hidden_block_count_z
      - .offset:         44
        .size:           2
        .value_kind:     hidden_group_size_x
      - .offset:         46
        .size:           2
        .value_kind:     hidden_group_size_y
      - .offset:         48
        .size:           2
        .value_kind:     hidden_group_size_z
      - .offset:         50
        .size:           2
        .value_kind:     hidden_remainder_x
      - .offset:         52
        .size:           2
        .value_kind:     hidden_remainder_y
      - .offset:         54
        .size:           2
        .value_kind:     hidden_remainder_z
      - .offset:         72
        .size:           8
        .value_kind:     hidden_global_offset_x
      - .offset:         80
        .size:           8
        .value_kind:     hidden_global_offset_y
      - .offset:         88
        .size:           8
        .value_kind:     hidden_global_offset_z
      - .offset:         96
        .size:           2
        .value_kind:     hidden_grid_dims
    .group_segment_fixed_size: 128
    .kernarg_segment_align: 8
    .kernarg_segment_size: 288
    .language:       OpenCL C
    .language_version:
      - 2
      - 0
    .max_flat_workgroup_size: 128
    .name:           _ZL25flash_attn_mask_to_KV_maxILi8EEvPK7__half2Piiii
    .private_segment_fixed_size: 0
    .sgpr_count:     52
    .sgpr_spill_count: 0
    .symbol:         _ZL25flash_attn_mask_to_KV_maxILi8EEvPK7__half2Piiii.kd
    .uniform_work_group_size: 1
    .uses_dynamic_stack: false
    .vgpr_count:     12
    .vgpr_spill_count: 0
    .wavefront_size: 64
  - .agpr_count:     0
    .args:
      - .address_space:  global
        .offset:         0
        .size:           8
        .value_kind:     global_buffer
      - .address_space:  global
        .offset:         8
        .size:           8
        .value_kind:     global_buffer
      - .offset:         16
        .size:           4
        .value_kind:     by_value
      - .offset:         20
        .size:           4
        .value_kind:     by_value
      - .offset:         24
        .size:           4
        .value_kind:     by_value
      - .offset:         28
        .size:           4
        .value_kind:     by_value
      - .offset:         32
        .size:           4
        .value_kind:     by_value
      - .offset:         36
        .size:           4
        .value_kind:     by_value
      - .offset:         40
        .size:           12
        .value_kind:     by_value
      - .offset:         52
        .size:           12
        .value_kind:     by_value
      - .offset:         64
        .size:           12
        .value_kind:     by_value
    .group_segment_fixed_size: 0
    .kernarg_segment_align: 8
    .kernarg_segment_size: 76
    .language:       OpenCL C
    .language_version:
      - 2
      - 0
    .max_flat_workgroup_size: 256
    .name:           _ZL33flash_attn_stream_k_fixup_uniformILi256ELi8ELi4EEvPfPK15HIP_vector_typeIfLj2EEiiiiiiS1_IjLj3EES5_S5_
    .private_segment_fixed_size: 0
    .sgpr_count:     30
    .sgpr_spill_count: 0
    .symbol:         _ZL33flash_attn_stream_k_fixup_uniformILi256ELi8ELi4EEvPfPK15HIP_vector_typeIfLj2EEiiiiiiS1_IjLj3EES5_S5_.kd
    .uniform_work_group_size: 1
    .uses_dynamic_stack: false
    .vgpr_count:     17
    .vgpr_spill_count: 0
    .wavefront_size: 64
  - .agpr_count:     0
    .args:
      - .address_space:  global
        .offset:         0
        .size:           8
        .value_kind:     global_buffer
      - .address_space:  global
        .offset:         8
        .size:           8
        .value_kind:     global_buffer
      - .offset:         16
        .size:           4
        .value_kind:     by_value
      - .offset:         20
        .size:           4
        .value_kind:     by_value
      - .offset:         24
        .size:           4
        .value_kind:     by_value
      - .offset:         28
        .size:           4
        .value_kind:     by_value
      - .offset:         32
        .size:           12
        .value_kind:     by_value
      - .offset:         44
        .size:           12
        .value_kind:     by_value
      - .offset:         56
        .size:           12
        .value_kind:     by_value
      - .offset:         68
        .size:           12
        .value_kind:     by_value
      - .offset:         80
        .size:           4
        .value_kind:     hidden_block_count_x
      - .offset:         84
        .size:           4
        .value_kind:     hidden_block_count_y
      - .offset:         88
        .size:           4
        .value_kind:     hidden_block_count_z
      - .offset:         92
        .size:           2
        .value_kind:     hidden_group_size_x
      - .offset:         94
        .size:           2
        .value_kind:     hidden_group_size_y
      - .offset:         96
        .size:           2
        .value_kind:     hidden_group_size_z
      - .offset:         98
        .size:           2
        .value_kind:     hidden_remainder_x
      - .offset:         100
        .size:           2
        .value_kind:     hidden_remainder_y
      - .offset:         102
        .size:           2
        .value_kind:     hidden_remainder_z
      - .offset:         120
        .size:           8
        .value_kind:     hidden_global_offset_x
      - .offset:         128
        .size:           8
        .value_kind:     hidden_global_offset_y
      - .offset:         136
        .size:           8
        .value_kind:     hidden_global_offset_z
      - .offset:         144
        .size:           2
        .value_kind:     hidden_grid_dims
    .group_segment_fixed_size: 0
    .kernarg_segment_align: 8
    .kernarg_segment_size: 336
    .language:       OpenCL C
    .language_version:
      - 2
      - 0
    .max_flat_workgroup_size: 256
    .name:           _ZL33flash_attn_stream_k_fixup_generalILi256ELi8ELi4EEvPfPK15HIP_vector_typeIfLj2EEiiiiS1_IjLj3EES5_S5_S5_
    .private_segment_fixed_size: 0
    .sgpr_count:     42
    .sgpr_spill_count: 0
    .symbol:         _ZL33flash_attn_stream_k_fixup_generalILi256ELi8ELi4EEvPfPK15HIP_vector_typeIfLj2EEiiiiS1_IjLj3EES5_S5_S5_.kd
    .uniform_work_group_size: 1
    .uses_dynamic_stack: false
    .vgpr_count:     18
    .vgpr_spill_count: 0
    .wavefront_size: 64
  - .agpr_count:     0
    .args:
      - .address_space:  global
        .offset:         0
        .size:           8
        .value_kind:     global_buffer
      - .address_space:  global
        .offset:         8
        .size:           8
        .value_kind:     global_buffer
      - .address_space:  global
        .offset:         16
        .size:           8
        .value_kind:     global_buffer
      - .address_space:  global
        .offset:         24
        .size:           8
        .value_kind:     global_buffer
      - .address_space:  global
        .offset:         32
        .size:           8
        .value_kind:     global_buffer
      - .address_space:  global
        .offset:         40
        .size:           8
        .value_kind:     global_buffer
      - .address_space:  global
        .offset:         48
        .size:           8
        .value_kind:     global_buffer
      - .address_space:  global
        .offset:         56
        .size:           8
        .value_kind:     global_buffer
      - .offset:         64
        .size:           4
        .value_kind:     by_value
      - .offset:         68
        .size:           4
        .value_kind:     by_value
      - .offset:         72
        .size:           4
        .value_kind:     by_value
      - .offset:         76
        .size:           4
        .value_kind:     by_value
      - .offset:         80
        .size:           4
        .value_kind:     by_value
      - .offset:         84
        .size:           4
        .value_kind:     by_value
      - .offset:         88
        .size:           4
        .value_kind:     by_value
      - .offset:         92
        .size:           12
        .value_kind:     by_value
      - .offset:         104
        .size:           4
        .value_kind:     by_value
      - .offset:         108
        .size:           4
        .value_kind:     by_value
      - .offset:         112
        .size:           4
        .value_kind:     by_value
      - .offset:         116
        .size:           4
        .value_kind:     by_value
      - .offset:         120
        .size:           4
        .value_kind:     by_value
      - .offset:         124
        .size:           4
        .value_kind:     by_value
      - .offset:         128
        .size:           4
        .value_kind:     by_value
      - .offset:         132
        .size:           4
        .value_kind:     by_value
      - .offset:         136
        .size:           4
        .value_kind:     by_value
      - .offset:         140
        .size:           4
        .value_kind:     by_value
      - .offset:         144
        .size:           4
        .value_kind:     by_value
      - .offset:         152
        .size:           8
        .value_kind:     by_value
      - .offset:         160
        .size:           4
        .value_kind:     by_value
      - .offset:         164
        .size:           4
        .value_kind:     by_value
      - .offset:         168
        .size:           8
        .value_kind:     by_value
      - .offset:         176
        .size:           4
        .value_kind:     by_value
      - .offset:         180
        .size:           4
        .value_kind:     by_value
      - .offset:         184
        .size:           4
        .value_kind:     by_value
      - .offset:         188
        .size:           4
        .value_kind:     by_value
      - .offset:         192
        .size:           4
        .value_kind:     by_value
      - .offset:         200
        .size:           8
        .value_kind:     by_value
      - .offset:         208
        .size:           4
        .value_kind:     hidden_block_count_x
      - .offset:         212
        .size:           4
        .value_kind:     hidden_block_count_y
      - .offset:         216
        .size:           4
        .value_kind:     hidden_block_count_z
      - .offset:         220
        .size:           2
        .value_kind:     hidden_group_size_x
      - .offset:         222
        .size:           2
        .value_kind:     hidden_group_size_y
      - .offset:         224
        .size:           2
        .value_kind:     hidden_group_size_z
      - .offset:         226
        .size:           2
        .value_kind:     hidden_remainder_x
      - .offset:         228
        .size:           2
        .value_kind:     hidden_remainder_y
      - .offset:         230
        .size:           2
        .value_kind:     hidden_remainder_z
      - .offset:         248
        .size:           8
        .value_kind:     hidden_global_offset_x
      - .offset:         256
        .size:           8
        .value_kind:     hidden_global_offset_y
      - .offset:         264
        .size:           8
        .value_kind:     hidden_global_offset_z
      - .offset:         272
        .size:           2
        .value_kind:     hidden_grid_dims
    .group_segment_fixed_size: 17920
    .kernarg_segment_align: 8
    .kernarg_segment_size: 464
    .language:       OpenCL C
    .language_version:
      - 2
      - 0
    .max_flat_workgroup_size: 256
    .name:           _ZL15flash_attn_tileILi256ELi256ELi4ELi4ELb0EEvPKcS1_S1_S1_S1_PKiPfP15HIP_vector_typeIfLj2EEffffjfiS5_IjLj3EEiiiiiiiiiiiliiliiiiil
    .private_segment_fixed_size: 0
    .sgpr_count:     46
    .sgpr_spill_count: 0
    .symbol:         _ZL15flash_attn_tileILi256ELi256ELi4ELi4ELb0EEvPKcS1_S1_S1_S1_PKiPfP15HIP_vector_typeIfLj2EEffffjfiS5_IjLj3EEiiiiiiiiiiiliiliiiiil.kd
    .uniform_work_group_size: 1
    .uses_dynamic_stack: false
    .vgpr_count:     72
    .vgpr_spill_count: 0
    .wavefront_size: 64
  - .agpr_count:     0
    .args:
      - .address_space:  global
        .offset:         0
        .size:           8
        .value_kind:     global_buffer
      - .address_space:  global
        .offset:         8
        .size:           8
        .value_kind:     global_buffer
      - .offset:         16
        .size:           4
        .value_kind:     by_value
      - .offset:         20
        .size:           4
        .value_kind:     by_value
      - .offset:         24
        .size:           4
        .value_kind:     by_value
      - .offset:         28
        .size:           4
        .value_kind:     by_value
      - .offset:         32
        .size:           4
        .value_kind:     by_value
      - .offset:         36
        .size:           4
        .value_kind:     by_value
      - .offset:         40
        .size:           12
        .value_kind:     by_value
      - .offset:         52
        .size:           12
        .value_kind:     by_value
      - .offset:         64
        .size:           12
        .value_kind:     by_value
    .group_segment_fixed_size: 0
    .kernarg_segment_align: 8
    .kernarg_segment_size: 76
    .language:       OpenCL C
    .language_version:
      - 2
      - 0
    .max_flat_workgroup_size: 256
    .name:           _ZL33flash_attn_stream_k_fixup_uniformILi256ELi4ELi4EEvPfPK15HIP_vector_typeIfLj2EEiiiiiiS1_IjLj3EES5_S5_
    .private_segment_fixed_size: 0
    .sgpr_count:     30
    .sgpr_spill_count: 0
    .symbol:         _ZL33flash_attn_stream_k_fixup_uniformILi256ELi4ELi4EEvPfPK15HIP_vector_typeIfLj2EEiiiiiiS1_IjLj3EES5_S5_.kd
    .uniform_work_group_size: 1
    .uses_dynamic_stack: false
    .vgpr_count:     17
    .vgpr_spill_count: 0
    .wavefront_size: 64
  - .agpr_count:     0
    .args:
      - .address_space:  global
        .offset:         0
        .size:           8
        .value_kind:     global_buffer
      - .address_space:  global
        .offset:         8
        .size:           8
        .value_kind:     global_buffer
      - .offset:         16
        .size:           4
        .value_kind:     by_value
      - .offset:         20
        .size:           4
        .value_kind:     by_value
      - .offset:         24
        .size:           4
        .value_kind:     by_value
      - .offset:         28
        .size:           4
        .value_kind:     by_value
      - .offset:         32
        .size:           12
        .value_kind:     by_value
      - .offset:         44
        .size:           12
        .value_kind:     by_value
      - .offset:         56
        .size:           12
        .value_kind:     by_value
      - .offset:         68
        .size:           12
        .value_kind:     by_value
      - .offset:         80
        .size:           4
        .value_kind:     hidden_block_count_x
      - .offset:         84
        .size:           4
        .value_kind:     hidden_block_count_y
      - .offset:         88
        .size:           4
        .value_kind:     hidden_block_count_z
      - .offset:         92
        .size:           2
        .value_kind:     hidden_group_size_x
      - .offset:         94
        .size:           2
        .value_kind:     hidden_group_size_y
      - .offset:         96
        .size:           2
        .value_kind:     hidden_group_size_z
      - .offset:         98
        .size:           2
        .value_kind:     hidden_remainder_x
      - .offset:         100
        .size:           2
        .value_kind:     hidden_remainder_y
      - .offset:         102
        .size:           2
        .value_kind:     hidden_remainder_z
      - .offset:         120
        .size:           8
        .value_kind:     hidden_global_offset_x
      - .offset:         128
        .size:           8
        .value_kind:     hidden_global_offset_y
      - .offset:         136
        .size:           8
        .value_kind:     hidden_global_offset_z
      - .offset:         144
        .size:           2
        .value_kind:     hidden_grid_dims
    .group_segment_fixed_size: 0
    .kernarg_segment_align: 8
    .kernarg_segment_size: 336
    .language:       OpenCL C
    .language_version:
      - 2
      - 0
    .max_flat_workgroup_size: 256
    .name:           _ZL33flash_attn_stream_k_fixup_generalILi256ELi4ELi4EEvPfPK15HIP_vector_typeIfLj2EEiiiiS1_IjLj3EES5_S5_S5_
    .private_segment_fixed_size: 0
    .sgpr_count:     42
    .sgpr_spill_count: 0
    .symbol:         _ZL33flash_attn_stream_k_fixup_generalILi256ELi4ELi4EEvPfPK15HIP_vector_typeIfLj2EEiiiiS1_IjLj3EES5_S5_S5_.kd
    .uniform_work_group_size: 1
    .uses_dynamic_stack: false
    .vgpr_count:     18
    .vgpr_spill_count: 0
    .wavefront_size: 64
  - .agpr_count:     0
    .args:
      - .address_space:  global
        .offset:         0
        .size:           8
        .value_kind:     global_buffer
      - .address_space:  global
        .offset:         8
        .size:           8
        .value_kind:     global_buffer
      - .address_space:  global
        .offset:         16
        .size:           8
        .value_kind:     global_buffer
      - .address_space:  global
        .offset:         24
        .size:           8
        .value_kind:     global_buffer
      - .address_space:  global
        .offset:         32
        .size:           8
        .value_kind:     global_buffer
      - .address_space:  global
        .offset:         40
        .size:           8
        .value_kind:     global_buffer
      - .address_space:  global
        .offset:         48
        .size:           8
        .value_kind:     global_buffer
      - .address_space:  global
        .offset:         56
        .size:           8
        .value_kind:     global_buffer
      - .offset:         64
        .size:           4
        .value_kind:     by_value
      - .offset:         68
        .size:           4
        .value_kind:     by_value
      - .offset:         72
        .size:           4
        .value_kind:     by_value
      - .offset:         76
        .size:           4
        .value_kind:     by_value
      - .offset:         80
        .size:           4
        .value_kind:     by_value
      - .offset:         84
        .size:           4
        .value_kind:     by_value
      - .offset:         88
        .size:           4
        .value_kind:     by_value
      - .offset:         92
        .size:           12
        .value_kind:     by_value
      - .offset:         104
        .size:           4
        .value_kind:     by_value
      - .offset:         108
        .size:           4
        .value_kind:     by_value
      - .offset:         112
        .size:           4
        .value_kind:     by_value
      - .offset:         116
        .size:           4
        .value_kind:     by_value
      - .offset:         120
        .size:           4
        .value_kind:     by_value
      - .offset:         124
        .size:           4
        .value_kind:     by_value
      - .offset:         128
        .size:           4
        .value_kind:     by_value
      - .offset:         132
        .size:           4
        .value_kind:     by_value
      - .offset:         136
        .size:           4
        .value_kind:     by_value
      - .offset:         140
        .size:           4
        .value_kind:     by_value
      - .offset:         144
        .size:           4
        .value_kind:     by_value
      - .offset:         152
        .size:           8
        .value_kind:     by_value
      - .offset:         160
        .size:           4
        .value_kind:     by_value
      - .offset:         164
        .size:           4
        .value_kind:     by_value
      - .offset:         168
        .size:           8
        .value_kind:     by_value
      - .offset:         176
        .size:           4
        .value_kind:     by_value
      - .offset:         180
        .size:           4
        .value_kind:     by_value
      - .offset:         184
        .size:           4
        .value_kind:     by_value
      - .offset:         188
        .size:           4
        .value_kind:     by_value
      - .offset:         192
        .size:           4
        .value_kind:     by_value
      - .offset:         200
        .size:           8
        .value_kind:     by_value
      - .offset:         208
        .size:           4
        .value_kind:     hidden_block_count_x
      - .offset:         212
        .size:           4
        .value_kind:     hidden_block_count_y
      - .offset:         216
        .size:           4
        .value_kind:     hidden_block_count_z
      - .offset:         220
        .size:           2
        .value_kind:     hidden_group_size_x
      - .offset:         222
        .size:           2
        .value_kind:     hidden_group_size_y
      - .offset:         224
        .size:           2
        .value_kind:     hidden_group_size_z
      - .offset:         226
        .size:           2
        .value_kind:     hidden_remainder_x
      - .offset:         228
        .size:           2
        .value_kind:     hidden_remainder_y
      - .offset:         230
        .size:           2
        .value_kind:     hidden_remainder_z
      - .offset:         248
        .size:           8
        .value_kind:     hidden_global_offset_x
      - .offset:         256
        .size:           8
        .value_kind:     hidden_global_offset_y
      - .offset:         264
        .size:           8
        .value_kind:     hidden_global_offset_z
      - .offset:         272
        .size:           2
        .value_kind:     hidden_grid_dims
    .group_segment_fixed_size: 22528
    .kernarg_segment_align: 8
    .kernarg_segment_size: 464
    .language:       OpenCL C
    .language_version:
      - 2
      - 0
    .max_flat_workgroup_size: 256
    .name:           _ZL15flash_attn_tileILi256ELi256ELi2ELi4ELb0EEvPKcS1_S1_S1_S1_PKiPfP15HIP_vector_typeIfLj2EEffffjfiS5_IjLj3EEiiiiiiiiiiiliiliiiiil
    .private_segment_fixed_size: 0
    .sgpr_count:     45
    .sgpr_spill_count: 0
    .symbol:         _ZL15flash_attn_tileILi256ELi256ELi2ELi4ELb0EEvPKcS1_S1_S1_S1_PKiPfP15HIP_vector_typeIfLj2EEffffjfiS5_IjLj3EEiiiiiiiiiiiliiliiiiil.kd
    .uniform_work_group_size: 1
    .uses_dynamic_stack: false
    .vgpr_count:     102
    .vgpr_spill_count: 0
    .wavefront_size: 64
  - .agpr_count:     0
    .args:
      - .address_space:  global
        .offset:         0
        .size:           8
        .value_kind:     global_buffer
      - .address_space:  global
        .offset:         8
        .size:           8
        .value_kind:     global_buffer
      - .offset:         16
        .size:           4
        .value_kind:     by_value
      - .offset:         20
        .size:           4
        .value_kind:     by_value
      - .offset:         24
        .size:           4
        .value_kind:     by_value
      - .offset:         28
        .size:           4
        .value_kind:     by_value
      - .offset:         32
        .size:           4
        .value_kind:     by_value
      - .offset:         36
        .size:           4
        .value_kind:     by_value
      - .offset:         40
        .size:           12
        .value_kind:     by_value
      - .offset:         52
        .size:           12
        .value_kind:     by_value
      - .offset:         64
        .size:           12
        .value_kind:     by_value
    .group_segment_fixed_size: 0
    .kernarg_segment_align: 8
    .kernarg_segment_size: 76
    .language:       OpenCL C
    .language_version:
      - 2
      - 0
    .max_flat_workgroup_size: 256
    .name:           _ZL33flash_attn_stream_k_fixup_uniformILi256ELi2ELi4EEvPfPK15HIP_vector_typeIfLj2EEiiiiiiS1_IjLj3EES5_S5_
    .private_segment_fixed_size: 0
    .sgpr_count:     30
    .sgpr_spill_count: 0
    .symbol:         _ZL33flash_attn_stream_k_fixup_uniformILi256ELi2ELi4EEvPfPK15HIP_vector_typeIfLj2EEiiiiiiS1_IjLj3EES5_S5_.kd
    .uniform_work_group_size: 1
    .uses_dynamic_stack: false
    .vgpr_count:     17
    .vgpr_spill_count: 0
    .wavefront_size: 64
  - .agpr_count:     0
    .args:
      - .address_space:  global
        .offset:         0
        .size:           8
        .value_kind:     global_buffer
      - .address_space:  global
        .offset:         8
        .size:           8
        .value_kind:     global_buffer
      - .offset:         16
        .size:           4
        .value_kind:     by_value
      - .offset:         20
        .size:           4
        .value_kind:     by_value
      - .offset:         24
        .size:           4
        .value_kind:     by_value
      - .offset:         28
        .size:           4
        .value_kind:     by_value
      - .offset:         32
        .size:           12
        .value_kind:     by_value
      - .offset:         44
        .size:           12
        .value_kind:     by_value
      - .offset:         56
        .size:           12
        .value_kind:     by_value
      - .offset:         68
        .size:           12
        .value_kind:     by_value
      - .offset:         80
        .size:           4
        .value_kind:     hidden_block_count_x
      - .offset:         84
        .size:           4
        .value_kind:     hidden_block_count_y
      - .offset:         88
        .size:           4
        .value_kind:     hidden_block_count_z
      - .offset:         92
        .size:           2
        .value_kind:     hidden_group_size_x
      - .offset:         94
        .size:           2
        .value_kind:     hidden_group_size_y
      - .offset:         96
        .size:           2
        .value_kind:     hidden_group_size_z
      - .offset:         98
        .size:           2
        .value_kind:     hidden_remainder_x
      - .offset:         100
        .size:           2
        .value_kind:     hidden_remainder_y
      - .offset:         102
        .size:           2
        .value_kind:     hidden_remainder_z
      - .offset:         120
        .size:           8
        .value_kind:     hidden_global_offset_x
      - .offset:         128
        .size:           8
        .value_kind:     hidden_global_offset_y
      - .offset:         136
        .size:           8
        .value_kind:     hidden_global_offset_z
      - .offset:         144
        .size:           2
        .value_kind:     hidden_grid_dims
    .group_segment_fixed_size: 0
    .kernarg_segment_align: 8
    .kernarg_segment_size: 336
    .language:       OpenCL C
    .language_version:
      - 2
      - 0
    .max_flat_workgroup_size: 256
    .name:           _ZL33flash_attn_stream_k_fixup_generalILi256ELi2ELi4EEvPfPK15HIP_vector_typeIfLj2EEiiiiS1_IjLj3EES5_S5_S5_
    .private_segment_fixed_size: 0
    .sgpr_count:     42
    .sgpr_spill_count: 0
    .symbol:         _ZL33flash_attn_stream_k_fixup_generalILi256ELi2ELi4EEvPfPK15HIP_vector_typeIfLj2EEiiiiS1_IjLj3EES5_S5_S5_.kd
    .uniform_work_group_size: 1
    .uses_dynamic_stack: false
    .vgpr_count:     18
    .vgpr_spill_count: 0
    .wavefront_size: 64
  - .agpr_count:     0
    .args:
      - .address_space:  global
        .offset:         0
        .size:           8
        .value_kind:     global_buffer
      - .address_space:  global
        .offset:         8
        .size:           8
        .value_kind:     global_buffer
      - .address_space:  global
        .offset:         16
        .size:           8
        .value_kind:     global_buffer
      - .address_space:  global
        .offset:         24
        .size:           8
        .value_kind:     global_buffer
      - .address_space:  global
        .offset:         32
        .size:           8
        .value_kind:     global_buffer
      - .address_space:  global
        .offset:         40
        .size:           8
        .value_kind:     global_buffer
      - .address_space:  global
        .offset:         48
        .size:           8
        .value_kind:     global_buffer
      - .address_space:  global
        .offset:         56
        .size:           8
        .value_kind:     global_buffer
      - .offset:         64
        .size:           4
        .value_kind:     by_value
      - .offset:         68
        .size:           4
        .value_kind:     by_value
      - .offset:         72
        .size:           4
        .value_kind:     by_value
      - .offset:         76
        .size:           4
        .value_kind:     by_value
      - .offset:         80
        .size:           4
        .value_kind:     by_value
      - .offset:         84
        .size:           4
        .value_kind:     by_value
      - .offset:         88
        .size:           4
        .value_kind:     by_value
      - .offset:         92
        .size:           12
        .value_kind:     by_value
      - .offset:         104
        .size:           4
        .value_kind:     by_value
      - .offset:         108
        .size:           4
        .value_kind:     by_value
      - .offset:         112
        .size:           4
        .value_kind:     by_value
      - .offset:         116
        .size:           4
        .value_kind:     by_value
      - .offset:         120
        .size:           4
        .value_kind:     by_value
      - .offset:         124
        .size:           4
        .value_kind:     by_value
      - .offset:         128
        .size:           4
        .value_kind:     by_value
      - .offset:         132
        .size:           4
        .value_kind:     by_value
      - .offset:         136
        .size:           4
        .value_kind:     by_value
      - .offset:         140
        .size:           4
        .value_kind:     by_value
      - .offset:         144
        .size:           4
        .value_kind:     by_value
      - .offset:         152
        .size:           8
        .value_kind:     by_value
      - .offset:         160
        .size:           4
        .value_kind:     by_value
      - .offset:         164
        .size:           4
        .value_kind:     by_value
      - .offset:         168
        .size:           8
        .value_kind:     by_value
      - .offset:         176
        .size:           4
        .value_kind:     by_value
      - .offset:         180
        .size:           4
        .value_kind:     by_value
      - .offset:         184
        .size:           4
        .value_kind:     by_value
      - .offset:         188
        .size:           4
        .value_kind:     by_value
      - .offset:         192
        .size:           4
        .value_kind:     by_value
      - .offset:         200
        .size:           8
        .value_kind:     by_value
      - .offset:         208
        .size:           4
        .value_kind:     hidden_block_count_x
      - .offset:         212
        .size:           4
        .value_kind:     hidden_block_count_y
      - .offset:         216
        .size:           4
        .value_kind:     hidden_block_count_z
      - .offset:         220
        .size:           2
        .value_kind:     hidden_group_size_x
      - .offset:         222
        .size:           2
        .value_kind:     hidden_group_size_y
      - .offset:         224
        .size:           2
        .value_kind:     hidden_group_size_z
      - .offset:         226
        .size:           2
        .value_kind:     hidden_remainder_x
      - .offset:         228
        .size:           2
        .value_kind:     hidden_remainder_y
      - .offset:         230
        .size:           2
        .value_kind:     hidden_remainder_z
      - .offset:         248
        .size:           8
        .value_kind:     hidden_global_offset_x
      - .offset:         256
        .size:           8
        .value_kind:     hidden_global_offset_y
      - .offset:         264
        .size:           8
        .value_kind:     hidden_global_offset_z
      - .offset:         272
        .size:           2
        .value_kind:     hidden_grid_dims
    .group_segment_fixed_size: 20000
    .kernarg_segment_align: 8
    .kernarg_segment_size: 464
    .language:       OpenCL C
    .language_version:
      - 2
      - 0
    .max_flat_workgroup_size: 256
    .name:           _ZL15flash_attn_tileILi256ELi256ELi1ELi4ELb0EEvPKcS1_S1_S1_S1_PKiPfP15HIP_vector_typeIfLj2EEffffjfiS5_IjLj3EEiiiiiiiiiiiliiliiiiil
    .private_segment_fixed_size: 0
    .sgpr_count:     47
    .sgpr_spill_count: 0
    .symbol:         _ZL15flash_attn_tileILi256ELi256ELi1ELi4ELb0EEvPKcS1_S1_S1_S1_PKiPfP15HIP_vector_typeIfLj2EEffffjfiS5_IjLj3EEiiiiiiiiiiiliiliiiiil.kd
    .uniform_work_group_size: 1
    .uses_dynamic_stack: false
    .vgpr_count:     118
    .vgpr_spill_count: 0
    .wavefront_size: 64
  - .agpr_count:     0
    .args:
      - .address_space:  global
        .offset:         0
        .size:           8
        .value_kind:     global_buffer
      - .address_space:  global
        .offset:         8
        .size:           8
        .value_kind:     global_buffer
      - .offset:         16
        .size:           4
        .value_kind:     by_value
      - .offset:         20
        .size:           4
        .value_kind:     by_value
      - .offset:         24
        .size:           4
        .value_kind:     by_value
      - .offset:         28
        .size:           4
        .value_kind:     by_value
      - .offset:         32
        .size:           4
        .value_kind:     by_value
      - .offset:         36
        .size:           4
        .value_kind:     by_value
      - .offset:         40
        .size:           12
        .value_kind:     by_value
      - .offset:         52
        .size:           12
        .value_kind:     by_value
      - .offset:         64
        .size:           12
        .value_kind:     by_value
    .group_segment_fixed_size: 0
    .kernarg_segment_align: 8
    .kernarg_segment_size: 76
    .language:       OpenCL C
    .language_version:
      - 2
      - 0
    .max_flat_workgroup_size: 256
    .name:           _ZL33flash_attn_stream_k_fixup_uniformILi256ELi1ELi4EEvPfPK15HIP_vector_typeIfLj2EEiiiiiiS1_IjLj3EES5_S5_
    .private_segment_fixed_size: 0
    .sgpr_count:     26
    .sgpr_spill_count: 0
    .symbol:         _ZL33flash_attn_stream_k_fixup_uniformILi256ELi1ELi4EEvPfPK15HIP_vector_typeIfLj2EEiiiiiiS1_IjLj3EES5_S5_.kd
    .uniform_work_group_size: 1
    .uses_dynamic_stack: false
    .vgpr_count:     17
    .vgpr_spill_count: 0
    .wavefront_size: 64
  - .agpr_count:     0
    .args:
      - .address_space:  global
        .offset:         0
        .size:           8
        .value_kind:     global_buffer
      - .address_space:  global
        .offset:         8
        .size:           8
        .value_kind:     global_buffer
      - .offset:         16
        .size:           4
        .value_kind:     by_value
      - .offset:         20
        .size:           4
        .value_kind:     by_value
      - .offset:         24
        .size:           4
        .value_kind:     by_value
      - .offset:         28
        .size:           4
        .value_kind:     by_value
      - .offset:         32
        .size:           12
        .value_kind:     by_value
      - .offset:         44
        .size:           12
        .value_kind:     by_value
      - .offset:         56
        .size:           12
        .value_kind:     by_value
      - .offset:         68
        .size:           12
        .value_kind:     by_value
      - .offset:         80
        .size:           4
        .value_kind:     hidden_block_count_x
      - .offset:         84
        .size:           4
        .value_kind:     hidden_block_count_y
      - .offset:         88
        .size:           4
        .value_kind:     hidden_block_count_z
      - .offset:         92
        .size:           2
        .value_kind:     hidden_group_size_x
      - .offset:         94
        .size:           2
        .value_kind:     hidden_group_size_y
      - .offset:         96
        .size:           2
        .value_kind:     hidden_group_size_z
      - .offset:         98
        .size:           2
        .value_kind:     hidden_remainder_x
      - .offset:         100
        .size:           2
        .value_kind:     hidden_remainder_y
      - .offset:         102
        .size:           2
        .value_kind:     hidden_remainder_z
      - .offset:         120
        .size:           8
        .value_kind:     hidden_global_offset_x
      - .offset:         128
        .size:           8
        .value_kind:     hidden_global_offset_y
      - .offset:         136
        .size:           8
        .value_kind:     hidden_global_offset_z
      - .offset:         144
        .size:           2
        .value_kind:     hidden_grid_dims
    .group_segment_fixed_size: 0
    .kernarg_segment_align: 8
    .kernarg_segment_size: 336
    .language:       OpenCL C
    .language_version:
      - 2
      - 0
    .max_flat_workgroup_size: 256
    .name:           _ZL33flash_attn_stream_k_fixup_generalILi256ELi1ELi4EEvPfPK15HIP_vector_typeIfLj2EEiiiiS1_IjLj3EES5_S5_S5_
    .private_segment_fixed_size: 0
    .sgpr_count:     43
    .sgpr_spill_count: 0
    .symbol:         _ZL33flash_attn_stream_k_fixup_generalILi256ELi1ELi4EEvPfPK15HIP_vector_typeIfLj2EEiiiiS1_IjLj3EES5_S5_S5_.kd
    .uniform_work_group_size: 1
    .uses_dynamic_stack: false
    .vgpr_count:     18
    .vgpr_spill_count: 0
    .wavefront_size: 64
  - .agpr_count:     0
    .args:
      - .address_space:  global
        .offset:         0
        .size:           8
        .value_kind:     global_buffer
      - .address_space:  global
        .offset:         8
        .size:           8
        .value_kind:     global_buffer
      - .address_space:  global
        .offset:         16
        .size:           8
        .value_kind:     global_buffer
      - .address_space:  global
        .offset:         24
        .size:           8
        .value_kind:     global_buffer
      - .address_space:  global
        .offset:         32
        .size:           8
        .value_kind:     global_buffer
      - .address_space:  global
        .offset:         40
        .size:           8
        .value_kind:     global_buffer
      - .address_space:  global
        .offset:         48
        .size:           8
        .value_kind:     global_buffer
      - .address_space:  global
        .offset:         56
        .size:           8
        .value_kind:     global_buffer
      - .offset:         64
        .size:           4
        .value_kind:     by_value
      - .offset:         68
        .size:           4
        .value_kind:     by_value
      - .offset:         72
        .size:           4
        .value_kind:     by_value
      - .offset:         76
        .size:           4
        .value_kind:     by_value
      - .offset:         80
        .size:           4
        .value_kind:     by_value
      - .offset:         84
        .size:           4
        .value_kind:     by_value
      - .offset:         88
        .size:           4
        .value_kind:     by_value
      - .offset:         92
        .size:           12
        .value_kind:     by_value
      - .offset:         104
        .size:           4
        .value_kind:     by_value
      - .offset:         108
        .size:           4
        .value_kind:     by_value
      - .offset:         112
        .size:           4
        .value_kind:     by_value
      - .offset:         116
        .size:           4
        .value_kind:     by_value
      - .offset:         120
        .size:           4
        .value_kind:     by_value
      - .offset:         124
        .size:           4
        .value_kind:     by_value
      - .offset:         128
        .size:           4
        .value_kind:     by_value
      - .offset:         132
        .size:           4
        .value_kind:     by_value
      - .offset:         136
        .size:           4
        .value_kind:     by_value
      - .offset:         140
        .size:           4
        .value_kind:     by_value
      - .offset:         144
        .size:           4
        .value_kind:     by_value
      - .offset:         152
        .size:           8
        .value_kind:     by_value
      - .offset:         160
        .size:           4
        .value_kind:     by_value
      - .offset:         164
        .size:           4
        .value_kind:     by_value
      - .offset:         168
        .size:           8
        .value_kind:     by_value
      - .offset:         176
        .size:           4
        .value_kind:     by_value
      - .offset:         180
        .size:           4
        .value_kind:     by_value
      - .offset:         184
        .size:           4
        .value_kind:     by_value
      - .offset:         188
        .size:           4
        .value_kind:     by_value
      - .offset:         192
        .size:           4
        .value_kind:     by_value
      - .offset:         200
        .size:           8
        .value_kind:     by_value
      - .offset:         208
        .size:           4
        .value_kind:     hidden_block_count_x
      - .offset:         212
        .size:           4
        .value_kind:     hidden_block_count_y
      - .offset:         216
        .size:           4
        .value_kind:     hidden_block_count_z
      - .offset:         220
        .size:           2
        .value_kind:     hidden_group_size_x
      - .offset:         222
        .size:           2
        .value_kind:     hidden_group_size_y
      - .offset:         224
        .size:           2
        .value_kind:     hidden_group_size_z
      - .offset:         226
        .size:           2
        .value_kind:     hidden_remainder_x
      - .offset:         228
        .size:           2
        .value_kind:     hidden_remainder_y
      - .offset:         230
        .size:           2
        .value_kind:     hidden_remainder_z
      - .offset:         248
        .size:           8
        .value_kind:     hidden_global_offset_x
      - .offset:         256
        .size:           8
        .value_kind:     hidden_global_offset_y
      - .offset:         264
        .size:           8
        .value_kind:     hidden_global_offset_z
      - .offset:         272
        .size:           2
        .value_kind:     hidden_grid_dims
    .group_segment_fixed_size: 27136
    .kernarg_segment_align: 8
    .kernarg_segment_size: 464
    .language:       OpenCL C
    .language_version:
      - 2
      - 0
    .max_flat_workgroup_size: 256
    .name:           _ZL15flash_attn_tileILi256ELi256ELi16ELi2ELb0EEvPKcS1_S1_S1_S1_PKiPfP15HIP_vector_typeIfLj2EEffffjfiS5_IjLj3EEiiiiiiiiiiiliiliiiiil
    .private_segment_fixed_size: 0
    .sgpr_count:     51
    .sgpr_spill_count: 0
    .symbol:         _ZL15flash_attn_tileILi256ELi256ELi16ELi2ELb0EEvPKcS1_S1_S1_S1_PKiPfP15HIP_vector_typeIfLj2EEffffjfiS5_IjLj3EEiiiiiiiiiiiliiliiiiil.kd
    .uniform_work_group_size: 1
    .uses_dynamic_stack: false
    .vgpr_count:     110
    .vgpr_spill_count: 0
    .wavefront_size: 64
  - .agpr_count:     0
    .args:
      - .actual_access:  read_only
        .address_space:  global
        .offset:         0
        .size:           8
        .value_kind:     global_buffer
      - .actual_access:  write_only
        .address_space:  global
        .offset:         8
        .size:           8
        .value_kind:     global_buffer
      - .offset:         16
        .size:           4
        .value_kind:     by_value
      - .offset:         20
        .size:           4
        .value_kind:     by_value
      - .offset:         24
        .size:           4
        .value_kind:     by_value
      - .offset:         32
        .size:           4
        .value_kind:     hidden_block_count_x
      - .offset:         36
        .size:           4
        .value_kind:     hidden_block_count_y
      - .offset:         40
        .size:           4
        .value_kind:     hidden_block_count_z
      - .offset:         44
        .size:           2
        .value_kind:     hidden_group_size_x
      - .offset:         46
        .size:           2
        .value_kind:     hidden_group_size_y
      - .offset:         48
        .size:           2
        .value_kind:     hidden_group_size_z
      - .offset:         50
        .size:           2
        .value_kind:     hidden_remainder_x
      - .offset:         52
        .size:           2
        .value_kind:     hidden_remainder_y
      - .offset:         54
        .size:           2
        .value_kind:     hidden_remainder_z
      - .offset:         72
        .size:           8
        .value_kind:     hidden_global_offset_x
      - .offset:         80
        .size:           8
        .value_kind:     hidden_global_offset_y
      - .offset:         88
        .size:           8
        .value_kind:     hidden_global_offset_z
      - .offset:         96
        .size:           2
        .value_kind:     hidden_grid_dims
    .group_segment_fixed_size: 128
    .kernarg_segment_align: 8
    .kernarg_segment_size: 288
    .language:       OpenCL C
    .language_version:
      - 2
      - 0
    .max_flat_workgroup_size: 128
    .name:           _ZL25flash_attn_mask_to_KV_maxILi16EEvPK7__half2Piiii
    .private_segment_fixed_size: 0
    .sgpr_count:     84
    .sgpr_spill_count: 0
    .symbol:         _ZL25flash_attn_mask_to_KV_maxILi16EEvPK7__half2Piiii.kd
    .uniform_work_group_size: 1
    .uses_dynamic_stack: false
    .vgpr_count:     12
    .vgpr_spill_count: 0
    .wavefront_size: 64
  - .agpr_count:     0
    .args:
      - .address_space:  global
        .offset:         0
        .size:           8
        .value_kind:     global_buffer
      - .address_space:  global
        .offset:         8
        .size:           8
        .value_kind:     global_buffer
      - .offset:         16
        .size:           4
        .value_kind:     by_value
      - .offset:         20
        .size:           4
        .value_kind:     by_value
      - .offset:         24
        .size:           4
        .value_kind:     by_value
      - .offset:         28
        .size:           4
        .value_kind:     by_value
      - .offset:         32
        .size:           4
        .value_kind:     by_value
      - .offset:         36
        .size:           4
        .value_kind:     by_value
      - .offset:         40
        .size:           12
        .value_kind:     by_value
      - .offset:         52
        .size:           12
        .value_kind:     by_value
      - .offset:         64
        .size:           12
        .value_kind:     by_value
    .group_segment_fixed_size: 0
    .kernarg_segment_align: 8
    .kernarg_segment_size: 76
    .language:       OpenCL C
    .language_version:
      - 2
      - 0
    .max_flat_workgroup_size: 256
    .name:           _ZL33flash_attn_stream_k_fixup_uniformILi256ELi16ELi2EEvPfPK15HIP_vector_typeIfLj2EEiiiiiiS1_IjLj3EES5_S5_
    .private_segment_fixed_size: 0
    .sgpr_count:     30
    .sgpr_spill_count: 0
    .symbol:         _ZL33flash_attn_stream_k_fixup_uniformILi256ELi16ELi2EEvPfPK15HIP_vector_typeIfLj2EEiiiiiiS1_IjLj3EES5_S5_.kd
    .uniform_work_group_size: 1
    .uses_dynamic_stack: false
    .vgpr_count:     17
    .vgpr_spill_count: 0
    .wavefront_size: 64
  - .agpr_count:     0
    .args:
      - .address_space:  global
        .offset:         0
        .size:           8
        .value_kind:     global_buffer
      - .address_space:  global
        .offset:         8
        .size:           8
        .value_kind:     global_buffer
      - .offset:         16
        .size:           4
        .value_kind:     by_value
      - .offset:         20
        .size:           4
        .value_kind:     by_value
      - .offset:         24
        .size:           4
        .value_kind:     by_value
      - .offset:         28
        .size:           4
        .value_kind:     by_value
      - .offset:         32
        .size:           12
        .value_kind:     by_value
      - .offset:         44
        .size:           12
        .value_kind:     by_value
      - .offset:         56
        .size:           12
        .value_kind:     by_value
      - .offset:         68
        .size:           12
        .value_kind:     by_value
      - .offset:         80
        .size:           4
        .value_kind:     hidden_block_count_x
      - .offset:         84
        .size:           4
        .value_kind:     hidden_block_count_y
      - .offset:         88
        .size:           4
        .value_kind:     hidden_block_count_z
      - .offset:         92
        .size:           2
        .value_kind:     hidden_group_size_x
      - .offset:         94
        .size:           2
        .value_kind:     hidden_group_size_y
      - .offset:         96
        .size:           2
        .value_kind:     hidden_group_size_z
      - .offset:         98
        .size:           2
        .value_kind:     hidden_remainder_x
      - .offset:         100
        .size:           2
        .value_kind:     hidden_remainder_y
      - .offset:         102
        .size:           2
        .value_kind:     hidden_remainder_z
      - .offset:         120
        .size:           8
        .value_kind:     hidden_global_offset_x
      - .offset:         128
        .size:           8
        .value_kind:     hidden_global_offset_y
      - .offset:         136
        .size:           8
        .value_kind:     hidden_global_offset_z
      - .offset:         144
        .size:           2
        .value_kind:     hidden_grid_dims
    .group_segment_fixed_size: 0
    .kernarg_segment_align: 8
    .kernarg_segment_size: 336
    .language:       OpenCL C
    .language_version:
      - 2
      - 0
    .max_flat_workgroup_size: 256
    .name:           _ZL33flash_attn_stream_k_fixup_generalILi256ELi16ELi2EEvPfPK15HIP_vector_typeIfLj2EEiiiiS1_IjLj3EES5_S5_S5_
    .private_segment_fixed_size: 0
    .sgpr_count:     42
    .sgpr_spill_count: 0
    .symbol:         _ZL33flash_attn_stream_k_fixup_generalILi256ELi16ELi2EEvPfPK15HIP_vector_typeIfLj2EEiiiiS1_IjLj3EES5_S5_S5_.kd
    .uniform_work_group_size: 1
    .uses_dynamic_stack: false
    .vgpr_count:     18
    .vgpr_spill_count: 0
    .wavefront_size: 64
  - .agpr_count:     0
    .args:
      - .address_space:  global
        .offset:         0
        .size:           8
        .value_kind:     global_buffer
      - .address_space:  global
        .offset:         8
        .size:           8
        .value_kind:     global_buffer
      - .address_space:  global
        .offset:         16
        .size:           8
        .value_kind:     global_buffer
      - .address_space:  global
        .offset:         24
        .size:           8
        .value_kind:     global_buffer
      - .address_space:  global
        .offset:         32
        .size:           8
        .value_kind:     global_buffer
      - .address_space:  global
        .offset:         40
        .size:           8
        .value_kind:     global_buffer
      - .address_space:  global
        .offset:         48
        .size:           8
        .value_kind:     global_buffer
      - .address_space:  global
        .offset:         56
        .size:           8
        .value_kind:     global_buffer
      - .offset:         64
        .size:           4
        .value_kind:     by_value
      - .offset:         68
        .size:           4
        .value_kind:     by_value
      - .offset:         72
        .size:           4
        .value_kind:     by_value
      - .offset:         76
        .size:           4
        .value_kind:     by_value
      - .offset:         80
        .size:           4
        .value_kind:     by_value
      - .offset:         84
        .size:           4
        .value_kind:     by_value
      - .offset:         88
        .size:           4
        .value_kind:     by_value
      - .offset:         92
        .size:           12
        .value_kind:     by_value
      - .offset:         104
        .size:           4
        .value_kind:     by_value
      - .offset:         108
        .size:           4
        .value_kind:     by_value
      - .offset:         112
        .size:           4
        .value_kind:     by_value
      - .offset:         116
        .size:           4
        .value_kind:     by_value
      - .offset:         120
        .size:           4
        .value_kind:     by_value
      - .offset:         124
        .size:           4
        .value_kind:     by_value
      - .offset:         128
        .size:           4
        .value_kind:     by_value
      - .offset:         132
        .size:           4
        .value_kind:     by_value
      - .offset:         136
        .size:           4
        .value_kind:     by_value
      - .offset:         140
        .size:           4
        .value_kind:     by_value
      - .offset:         144
        .size:           4
        .value_kind:     by_value
      - .offset:         152
        .size:           8
        .value_kind:     by_value
      - .offset:         160
        .size:           4
        .value_kind:     by_value
      - .offset:         164
        .size:           4
        .value_kind:     by_value
      - .offset:         168
        .size:           8
        .value_kind:     by_value
      - .offset:         176
        .size:           4
        .value_kind:     by_value
      - .offset:         180
        .size:           4
        .value_kind:     by_value
      - .offset:         184
        .size:           4
        .value_kind:     by_value
      - .offset:         188
        .size:           4
        .value_kind:     by_value
      - .offset:         192
        .size:           4
        .value_kind:     by_value
      - .offset:         200
        .size:           8
        .value_kind:     by_value
      - .offset:         208
        .size:           4
        .value_kind:     hidden_block_count_x
      - .offset:         212
        .size:           4
        .value_kind:     hidden_block_count_y
      - .offset:         216
        .size:           4
        .value_kind:     hidden_block_count_z
      - .offset:         220
        .size:           2
        .value_kind:     hidden_group_size_x
      - .offset:         222
        .size:           2
        .value_kind:     hidden_group_size_y
      - .offset:         224
        .size:           2
        .value_kind:     hidden_group_size_z
      - .offset:         226
        .size:           2
        .value_kind:     hidden_remainder_x
      - .offset:         228
        .size:           2
        .value_kind:     hidden_remainder_y
      - .offset:         230
        .size:           2
        .value_kind:     hidden_remainder_z
      - .offset:         248
        .size:           8
        .value_kind:     hidden_global_offset_x
      - .offset:         256
        .size:           8
        .value_kind:     hidden_global_offset_y
      - .offset:         264
        .size:           8
        .value_kind:     hidden_global_offset_z
      - .offset:         272
        .size:           2
        .value_kind:     hidden_grid_dims
    .group_segment_fixed_size: 17920
    .kernarg_segment_align: 8
    .kernarg_segment_size: 464
    .language:       OpenCL C
    .language_version:
      - 2
      - 0
    .max_flat_workgroup_size: 256
    .name:           _ZL15flash_attn_tileILi256ELi256ELi8ELi2ELb0EEvPKcS1_S1_S1_S1_PKiPfP15HIP_vector_typeIfLj2EEffffjfiS5_IjLj3EEiiiiiiiiiiiliiliiiiil
    .private_segment_fixed_size: 0
    .sgpr_count:     45
    .sgpr_spill_count: 0
    .symbol:         _ZL15flash_attn_tileILi256ELi256ELi8ELi2ELb0EEvPKcS1_S1_S1_S1_PKiPfP15HIP_vector_typeIfLj2EEffffjfiS5_IjLj3EEiiiiiiiiiiiliiliiiiil.kd
    .uniform_work_group_size: 1
    .uses_dynamic_stack: false
    .vgpr_count:     72
    .vgpr_spill_count: 0
    .wavefront_size: 64
  - .agpr_count:     0
    .args:
      - .address_space:  global
        .offset:         0
        .size:           8
        .value_kind:     global_buffer
      - .address_space:  global
        .offset:         8
        .size:           8
        .value_kind:     global_buffer
      - .offset:         16
        .size:           4
        .value_kind:     by_value
      - .offset:         20
        .size:           4
        .value_kind:     by_value
      - .offset:         24
        .size:           4
        .value_kind:     by_value
      - .offset:         28
        .size:           4
        .value_kind:     by_value
      - .offset:         32
        .size:           4
        .value_kind:     by_value
      - .offset:         36
        .size:           4
        .value_kind:     by_value
      - .offset:         40
        .size:           12
        .value_kind:     by_value
      - .offset:         52
        .size:           12
        .value_kind:     by_value
      - .offset:         64
        .size:           12
        .value_kind:     by_value
    .group_segment_fixed_size: 0
    .kernarg_segment_align: 8
    .kernarg_segment_size: 76
    .language:       OpenCL C
    .language_version:
      - 2
      - 0
    .max_flat_workgroup_size: 256
    .name:           _ZL33flash_attn_stream_k_fixup_uniformILi256ELi8ELi2EEvPfPK15HIP_vector_typeIfLj2EEiiiiiiS1_IjLj3EES5_S5_
    .private_segment_fixed_size: 0
    .sgpr_count:     30
    .sgpr_spill_count: 0
    .symbol:         _ZL33flash_attn_stream_k_fixup_uniformILi256ELi8ELi2EEvPfPK15HIP_vector_typeIfLj2EEiiiiiiS1_IjLj3EES5_S5_.kd
    .uniform_work_group_size: 1
    .uses_dynamic_stack: false
    .vgpr_count:     17
    .vgpr_spill_count: 0
    .wavefront_size: 64
  - .agpr_count:     0
    .args:
      - .address_space:  global
        .offset:         0
        .size:           8
        .value_kind:     global_buffer
      - .address_space:  global
        .offset:         8
        .size:           8
        .value_kind:     global_buffer
      - .offset:         16
        .size:           4
        .value_kind:     by_value
      - .offset:         20
        .size:           4
        .value_kind:     by_value
      - .offset:         24
        .size:           4
        .value_kind:     by_value
      - .offset:         28
        .size:           4
        .value_kind:     by_value
      - .offset:         32
        .size:           12
        .value_kind:     by_value
      - .offset:         44
        .size:           12
        .value_kind:     by_value
      - .offset:         56
        .size:           12
        .value_kind:     by_value
      - .offset:         68
        .size:           12
        .value_kind:     by_value
      - .offset:         80
        .size:           4
        .value_kind:     hidden_block_count_x
      - .offset:         84
        .size:           4
        .value_kind:     hidden_block_count_y
      - .offset:         88
        .size:           4
        .value_kind:     hidden_block_count_z
      - .offset:         92
        .size:           2
        .value_kind:     hidden_group_size_x
      - .offset:         94
        .size:           2
        .value_kind:     hidden_group_size_y
      - .offset:         96
        .size:           2
        .value_kind:     hidden_group_size_z
      - .offset:         98
        .size:           2
        .value_kind:     hidden_remainder_x
      - .offset:         100
        .size:           2
        .value_kind:     hidden_remainder_y
      - .offset:         102
        .size:           2
        .value_kind:     hidden_remainder_z
      - .offset:         120
        .size:           8
        .value_kind:     hidden_global_offset_x
      - .offset:         128
        .size:           8
        .value_kind:     hidden_global_offset_y
      - .offset:         136
        .size:           8
        .value_kind:     hidden_global_offset_z
      - .offset:         144
        .size:           2
        .value_kind:     hidden_grid_dims
    .group_segment_fixed_size: 0
    .kernarg_segment_align: 8
    .kernarg_segment_size: 336
    .language:       OpenCL C
    .language_version:
      - 2
      - 0
    .max_flat_workgroup_size: 256
    .name:           _ZL33flash_attn_stream_k_fixup_generalILi256ELi8ELi2EEvPfPK15HIP_vector_typeIfLj2EEiiiiS1_IjLj3EES5_S5_S5_
    .private_segment_fixed_size: 0
    .sgpr_count:     42
    .sgpr_spill_count: 0
    .symbol:         _ZL33flash_attn_stream_k_fixup_generalILi256ELi8ELi2EEvPfPK15HIP_vector_typeIfLj2EEiiiiS1_IjLj3EES5_S5_S5_.kd
    .uniform_work_group_size: 1
    .uses_dynamic_stack: false
    .vgpr_count:     18
    .vgpr_spill_count: 0
    .wavefront_size: 64
  - .agpr_count:     0
    .args:
      - .address_space:  global
        .offset:         0
        .size:           8
        .value_kind:     global_buffer
      - .address_space:  global
        .offset:         8
        .size:           8
        .value_kind:     global_buffer
      - .address_space:  global
        .offset:         16
        .size:           8
        .value_kind:     global_buffer
      - .address_space:  global
        .offset:         24
        .size:           8
        .value_kind:     global_buffer
      - .address_space:  global
        .offset:         32
        .size:           8
        .value_kind:     global_buffer
      - .address_space:  global
        .offset:         40
        .size:           8
        .value_kind:     global_buffer
      - .address_space:  global
        .offset:         48
        .size:           8
        .value_kind:     global_buffer
      - .address_space:  global
        .offset:         56
        .size:           8
        .value_kind:     global_buffer
      - .offset:         64
        .size:           4
        .value_kind:     by_value
      - .offset:         68
        .size:           4
        .value_kind:     by_value
      - .offset:         72
        .size:           4
        .value_kind:     by_value
      - .offset:         76
        .size:           4
        .value_kind:     by_value
      - .offset:         80
        .size:           4
        .value_kind:     by_value
      - .offset:         84
        .size:           4
        .value_kind:     by_value
      - .offset:         88
        .size:           4
        .value_kind:     by_value
      - .offset:         92
        .size:           12
        .value_kind:     by_value
      - .offset:         104
        .size:           4
        .value_kind:     by_value
      - .offset:         108
        .size:           4
        .value_kind:     by_value
      - .offset:         112
        .size:           4
        .value_kind:     by_value
      - .offset:         116
        .size:           4
        .value_kind:     by_value
      - .offset:         120
        .size:           4
        .value_kind:     by_value
      - .offset:         124
        .size:           4
        .value_kind:     by_value
      - .offset:         128
        .size:           4
        .value_kind:     by_value
      - .offset:         132
        .size:           4
        .value_kind:     by_value
      - .offset:         136
        .size:           4
        .value_kind:     by_value
      - .offset:         140
        .size:           4
        .value_kind:     by_value
      - .offset:         144
        .size:           4
        .value_kind:     by_value
      - .offset:         152
        .size:           8
        .value_kind:     by_value
      - .offset:         160
        .size:           4
        .value_kind:     by_value
      - .offset:         164
        .size:           4
        .value_kind:     by_value
      - .offset:         168
        .size:           8
        .value_kind:     by_value
      - .offset:         176
        .size:           4
        .value_kind:     by_value
      - .offset:         180
        .size:           4
        .value_kind:     by_value
      - .offset:         184
        .size:           4
        .value_kind:     by_value
      - .offset:         188
        .size:           4
        .value_kind:     by_value
      - .offset:         192
        .size:           4
        .value_kind:     by_value
      - .offset:         200
        .size:           8
        .value_kind:     by_value
      - .offset:         208
        .size:           4
        .value_kind:     hidden_block_count_x
      - .offset:         212
        .size:           4
        .value_kind:     hidden_block_count_y
      - .offset:         216
        .size:           4
        .value_kind:     hidden_block_count_z
      - .offset:         220
        .size:           2
        .value_kind:     hidden_group_size_x
      - .offset:         222
        .size:           2
        .value_kind:     hidden_group_size_y
      - .offset:         224
        .size:           2
        .value_kind:     hidden_group_size_z
      - .offset:         226
        .size:           2
        .value_kind:     hidden_remainder_x
      - .offset:         228
        .size:           2
        .value_kind:     hidden_remainder_y
      - .offset:         230
        .size:           2
        .value_kind:     hidden_remainder_z
      - .offset:         248
        .size:           8
        .value_kind:     hidden_global_offset_x
      - .offset:         256
        .size:           8
        .value_kind:     hidden_global_offset_y
      - .offset:         264
        .size:           8
        .value_kind:     hidden_global_offset_z
      - .offset:         272
        .size:           2
        .value_kind:     hidden_grid_dims
    .group_segment_fixed_size: 22528
    .kernarg_segment_align: 8
    .kernarg_segment_size: 464
    .language:       OpenCL C
    .language_version:
      - 2
      - 0
    .max_flat_workgroup_size: 256
    .name:           _ZL15flash_attn_tileILi256ELi256ELi4ELi2ELb0EEvPKcS1_S1_S1_S1_PKiPfP15HIP_vector_typeIfLj2EEffffjfiS5_IjLj3EEiiiiiiiiiiiliiliiiiil
    .private_segment_fixed_size: 0
    .sgpr_count:     46
    .sgpr_spill_count: 0
    .symbol:         _ZL15flash_attn_tileILi256ELi256ELi4ELi2ELb0EEvPKcS1_S1_S1_S1_PKiPfP15HIP_vector_typeIfLj2EEffffjfiS5_IjLj3EEiiiiiiiiiiiliiliiiiil.kd
    .uniform_work_group_size: 1
    .uses_dynamic_stack: false
    .vgpr_count:     102
    .vgpr_spill_count: 0
    .wavefront_size: 64
  - .agpr_count:     0
    .args:
      - .address_space:  global
        .offset:         0
        .size:           8
        .value_kind:     global_buffer
      - .address_space:  global
        .offset:         8
        .size:           8
        .value_kind:     global_buffer
      - .offset:         16
        .size:           4
        .value_kind:     by_value
      - .offset:         20
        .size:           4
        .value_kind:     by_value
      - .offset:         24
        .size:           4
        .value_kind:     by_value
      - .offset:         28
        .size:           4
        .value_kind:     by_value
      - .offset:         32
        .size:           4
        .value_kind:     by_value
      - .offset:         36
        .size:           4
        .value_kind:     by_value
      - .offset:         40
        .size:           12
        .value_kind:     by_value
      - .offset:         52
        .size:           12
        .value_kind:     by_value
      - .offset:         64
        .size:           12
        .value_kind:     by_value
    .group_segment_fixed_size: 0
    .kernarg_segment_align: 8
    .kernarg_segment_size: 76
    .language:       OpenCL C
    .language_version:
      - 2
      - 0
    .max_flat_workgroup_size: 256
    .name:           _ZL33flash_attn_stream_k_fixup_uniformILi256ELi4ELi2EEvPfPK15HIP_vector_typeIfLj2EEiiiiiiS1_IjLj3EES5_S5_
    .private_segment_fixed_size: 0
    .sgpr_count:     30
    .sgpr_spill_count: 0
    .symbol:         _ZL33flash_attn_stream_k_fixup_uniformILi256ELi4ELi2EEvPfPK15HIP_vector_typeIfLj2EEiiiiiiS1_IjLj3EES5_S5_.kd
    .uniform_work_group_size: 1
    .uses_dynamic_stack: false
    .vgpr_count:     17
    .vgpr_spill_count: 0
    .wavefront_size: 64
  - .agpr_count:     0
    .args:
      - .address_space:  global
        .offset:         0
        .size:           8
        .value_kind:     global_buffer
      - .address_space:  global
        .offset:         8
        .size:           8
        .value_kind:     global_buffer
      - .offset:         16
        .size:           4
        .value_kind:     by_value
      - .offset:         20
        .size:           4
        .value_kind:     by_value
      - .offset:         24
        .size:           4
        .value_kind:     by_value
      - .offset:         28
        .size:           4
        .value_kind:     by_value
      - .offset:         32
        .size:           12
        .value_kind:     by_value
      - .offset:         44
        .size:           12
        .value_kind:     by_value
      - .offset:         56
        .size:           12
        .value_kind:     by_value
      - .offset:         68
        .size:           12
        .value_kind:     by_value
      - .offset:         80
        .size:           4
        .value_kind:     hidden_block_count_x
      - .offset:         84
        .size:           4
        .value_kind:     hidden_block_count_y
      - .offset:         88
        .size:           4
        .value_kind:     hidden_block_count_z
      - .offset:         92
        .size:           2
        .value_kind:     hidden_group_size_x
      - .offset:         94
        .size:           2
        .value_kind:     hidden_group_size_y
      - .offset:         96
        .size:           2
        .value_kind:     hidden_group_size_z
      - .offset:         98
        .size:           2
        .value_kind:     hidden_remainder_x
      - .offset:         100
        .size:           2
        .value_kind:     hidden_remainder_y
      - .offset:         102
        .size:           2
        .value_kind:     hidden_remainder_z
      - .offset:         120
        .size:           8
        .value_kind:     hidden_global_offset_x
      - .offset:         128
        .size:           8
        .value_kind:     hidden_global_offset_y
      - .offset:         136
        .size:           8
        .value_kind:     hidden_global_offset_z
      - .offset:         144
        .size:           2
        .value_kind:     hidden_grid_dims
    .group_segment_fixed_size: 0
    .kernarg_segment_align: 8
    .kernarg_segment_size: 336
    .language:       OpenCL C
    .language_version:
      - 2
      - 0
    .max_flat_workgroup_size: 256
    .name:           _ZL33flash_attn_stream_k_fixup_generalILi256ELi4ELi2EEvPfPK15HIP_vector_typeIfLj2EEiiiiS1_IjLj3EES5_S5_S5_
    .private_segment_fixed_size: 0
    .sgpr_count:     42
    .sgpr_spill_count: 0
    .symbol:         _ZL33flash_attn_stream_k_fixup_generalILi256ELi4ELi2EEvPfPK15HIP_vector_typeIfLj2EEiiiiS1_IjLj3EES5_S5_S5_.kd
    .uniform_work_group_size: 1
    .uses_dynamic_stack: false
    .vgpr_count:     18
    .vgpr_spill_count: 0
    .wavefront_size: 64
  - .agpr_count:     0
    .args:
      - .address_space:  global
        .offset:         0
        .size:           8
        .value_kind:     global_buffer
      - .address_space:  global
        .offset:         8
        .size:           8
        .value_kind:     global_buffer
      - .address_space:  global
        .offset:         16
        .size:           8
        .value_kind:     global_buffer
      - .address_space:  global
        .offset:         24
        .size:           8
        .value_kind:     global_buffer
      - .address_space:  global
        .offset:         32
        .size:           8
        .value_kind:     global_buffer
      - .address_space:  global
        .offset:         40
        .size:           8
        .value_kind:     global_buffer
      - .address_space:  global
        .offset:         48
        .size:           8
        .value_kind:     global_buffer
      - .address_space:  global
        .offset:         56
        .size:           8
        .value_kind:     global_buffer
      - .offset:         64
        .size:           4
        .value_kind:     by_value
      - .offset:         68
        .size:           4
        .value_kind:     by_value
      - .offset:         72
        .size:           4
        .value_kind:     by_value
      - .offset:         76
        .size:           4
        .value_kind:     by_value
      - .offset:         80
        .size:           4
        .value_kind:     by_value
      - .offset:         84
        .size:           4
        .value_kind:     by_value
      - .offset:         88
        .size:           4
        .value_kind:     by_value
      - .offset:         92
        .size:           12
        .value_kind:     by_value
      - .offset:         104
        .size:           4
        .value_kind:     by_value
      - .offset:         108
        .size:           4
        .value_kind:     by_value
      - .offset:         112
        .size:           4
        .value_kind:     by_value
      - .offset:         116
        .size:           4
        .value_kind:     by_value
      - .offset:         120
        .size:           4
        .value_kind:     by_value
      - .offset:         124
        .size:           4
        .value_kind:     by_value
      - .offset:         128
        .size:           4
        .value_kind:     by_value
      - .offset:         132
        .size:           4
        .value_kind:     by_value
      - .offset:         136
        .size:           4
        .value_kind:     by_value
      - .offset:         140
        .size:           4
        .value_kind:     by_value
      - .offset:         144
        .size:           4
        .value_kind:     by_value
      - .offset:         152
        .size:           8
        .value_kind:     by_value
      - .offset:         160
        .size:           4
        .value_kind:     by_value
      - .offset:         164
        .size:           4
        .value_kind:     by_value
      - .offset:         168
        .size:           8
        .value_kind:     by_value
      - .offset:         176
        .size:           4
        .value_kind:     by_value
      - .offset:         180
        .size:           4
        .value_kind:     by_value
      - .offset:         184
        .size:           4
        .value_kind:     by_value
      - .offset:         188
        .size:           4
        .value_kind:     by_value
      - .offset:         192
        .size:           4
        .value_kind:     by_value
      - .offset:         200
        .size:           8
        .value_kind:     by_value
      - .offset:         208
        .size:           4
        .value_kind:     hidden_block_count_x
      - .offset:         212
        .size:           4
        .value_kind:     hidden_block_count_y
      - .offset:         216
        .size:           4
        .value_kind:     hidden_block_count_z
      - .offset:         220
        .size:           2
        .value_kind:     hidden_group_size_x
      - .offset:         222
        .size:           2
        .value_kind:     hidden_group_size_y
      - .offset:         224
        .size:           2
        .value_kind:     hidden_group_size_z
      - .offset:         226
        .size:           2
        .value_kind:     hidden_remainder_x
      - .offset:         228
        .size:           2
        .value_kind:     hidden_remainder_y
      - .offset:         230
        .size:           2
        .value_kind:     hidden_remainder_z
      - .offset:         248
        .size:           8
        .value_kind:     hidden_global_offset_x
      - .offset:         256
        .size:           8
        .value_kind:     hidden_global_offset_y
      - .offset:         264
        .size:           8
        .value_kind:     hidden_global_offset_z
      - .offset:         272
        .size:           2
        .value_kind:     hidden_grid_dims
    .group_segment_fixed_size: 20000
    .kernarg_segment_align: 8
    .kernarg_segment_size: 464
    .language:       OpenCL C
    .language_version:
      - 2
      - 0
    .max_flat_workgroup_size: 256
    .name:           _ZL15flash_attn_tileILi256ELi256ELi2ELi2ELb0EEvPKcS1_S1_S1_S1_PKiPfP15HIP_vector_typeIfLj2EEffffjfiS5_IjLj3EEiiiiiiiiiiiliiliiiiil
    .private_segment_fixed_size: 0
    .sgpr_count:     46
    .sgpr_spill_count: 0
    .symbol:         _ZL15flash_attn_tileILi256ELi256ELi2ELi2ELb0EEvPKcS1_S1_S1_S1_PKiPfP15HIP_vector_typeIfLj2EEffffjfiS5_IjLj3EEiiiiiiiiiiiliiliiiiil.kd
    .uniform_work_group_size: 1
    .uses_dynamic_stack: false
    .vgpr_count:     118
    .vgpr_spill_count: 0
    .wavefront_size: 64
  - .agpr_count:     0
    .args:
      - .address_space:  global
        .offset:         0
        .size:           8
        .value_kind:     global_buffer
      - .address_space:  global
        .offset:         8
        .size:           8
        .value_kind:     global_buffer
      - .offset:         16
        .size:           4
        .value_kind:     by_value
      - .offset:         20
        .size:           4
        .value_kind:     by_value
      - .offset:         24
        .size:           4
        .value_kind:     by_value
      - .offset:         28
        .size:           4
        .value_kind:     by_value
      - .offset:         32
        .size:           4
        .value_kind:     by_value
      - .offset:         36
        .size:           4
        .value_kind:     by_value
      - .offset:         40
        .size:           12
        .value_kind:     by_value
      - .offset:         52
        .size:           12
        .value_kind:     by_value
      - .offset:         64
        .size:           12
        .value_kind:     by_value
    .group_segment_fixed_size: 0
    .kernarg_segment_align: 8
    .kernarg_segment_size: 76
    .language:       OpenCL C
    .language_version:
      - 2
      - 0
    .max_flat_workgroup_size: 256
    .name:           _ZL33flash_attn_stream_k_fixup_uniformILi256ELi2ELi2EEvPfPK15HIP_vector_typeIfLj2EEiiiiiiS1_IjLj3EES5_S5_
    .private_segment_fixed_size: 0
    .sgpr_count:     30
    .sgpr_spill_count: 0
    .symbol:         _ZL33flash_attn_stream_k_fixup_uniformILi256ELi2ELi2EEvPfPK15HIP_vector_typeIfLj2EEiiiiiiS1_IjLj3EES5_S5_.kd
    .uniform_work_group_size: 1
    .uses_dynamic_stack: false
    .vgpr_count:     17
    .vgpr_spill_count: 0
    .wavefront_size: 64
  - .agpr_count:     0
    .args:
      - .address_space:  global
        .offset:         0
        .size:           8
        .value_kind:     global_buffer
      - .address_space:  global
        .offset:         8
        .size:           8
        .value_kind:     global_buffer
      - .offset:         16
        .size:           4
        .value_kind:     by_value
      - .offset:         20
        .size:           4
        .value_kind:     by_value
      - .offset:         24
        .size:           4
        .value_kind:     by_value
      - .offset:         28
        .size:           4
        .value_kind:     by_value
      - .offset:         32
        .size:           12
        .value_kind:     by_value
      - .offset:         44
        .size:           12
        .value_kind:     by_value
      - .offset:         56
        .size:           12
        .value_kind:     by_value
      - .offset:         68
        .size:           12
        .value_kind:     by_value
      - .offset:         80
        .size:           4
        .value_kind:     hidden_block_count_x
      - .offset:         84
        .size:           4
        .value_kind:     hidden_block_count_y
      - .offset:         88
        .size:           4
        .value_kind:     hidden_block_count_z
      - .offset:         92
        .size:           2
        .value_kind:     hidden_group_size_x
      - .offset:         94
        .size:           2
        .value_kind:     hidden_group_size_y
      - .offset:         96
        .size:           2
        .value_kind:     hidden_group_size_z
      - .offset:         98
        .size:           2
        .value_kind:     hidden_remainder_x
      - .offset:         100
        .size:           2
        .value_kind:     hidden_remainder_y
      - .offset:         102
        .size:           2
        .value_kind:     hidden_remainder_z
      - .offset:         120
        .size:           8
        .value_kind:     hidden_global_offset_x
      - .offset:         128
        .size:           8
        .value_kind:     hidden_global_offset_y
      - .offset:         136
        .size:           8
        .value_kind:     hidden_global_offset_z
      - .offset:         144
        .size:           2
        .value_kind:     hidden_grid_dims
    .group_segment_fixed_size: 0
    .kernarg_segment_align: 8
    .kernarg_segment_size: 336
    .language:       OpenCL C
    .language_version:
      - 2
      - 0
    .max_flat_workgroup_size: 256
    .name:           _ZL33flash_attn_stream_k_fixup_generalILi256ELi2ELi2EEvPfPK15HIP_vector_typeIfLj2EEiiiiS1_IjLj3EES5_S5_S5_
    .private_segment_fixed_size: 0
    .sgpr_count:     42
    .sgpr_spill_count: 0
    .symbol:         _ZL33flash_attn_stream_k_fixup_generalILi256ELi2ELi2EEvPfPK15HIP_vector_typeIfLj2EEiiiiS1_IjLj3EES5_S5_S5_.kd
    .uniform_work_group_size: 1
    .uses_dynamic_stack: false
    .vgpr_count:     18
    .vgpr_spill_count: 0
    .wavefront_size: 64
  - .agpr_count:     0
    .args:
      - .address_space:  global
        .offset:         0
        .size:           8
        .value_kind:     global_buffer
      - .address_space:  global
        .offset:         8
        .size:           8
        .value_kind:     global_buffer
      - .address_space:  global
        .offset:         16
        .size:           8
        .value_kind:     global_buffer
      - .address_space:  global
        .offset:         24
        .size:           8
        .value_kind:     global_buffer
      - .address_space:  global
        .offset:         32
        .size:           8
        .value_kind:     global_buffer
      - .address_space:  global
        .offset:         40
        .size:           8
        .value_kind:     global_buffer
      - .address_space:  global
        .offset:         48
        .size:           8
        .value_kind:     global_buffer
      - .address_space:  global
        .offset:         56
        .size:           8
        .value_kind:     global_buffer
      - .offset:         64
        .size:           4
        .value_kind:     by_value
      - .offset:         68
        .size:           4
        .value_kind:     by_value
      - .offset:         72
        .size:           4
        .value_kind:     by_value
      - .offset:         76
        .size:           4
        .value_kind:     by_value
      - .offset:         80
        .size:           4
        .value_kind:     by_value
      - .offset:         84
        .size:           4
        .value_kind:     by_value
      - .offset:         88
        .size:           4
        .value_kind:     by_value
      - .offset:         92
        .size:           12
        .value_kind:     by_value
      - .offset:         104
        .size:           4
        .value_kind:     by_value
      - .offset:         108
        .size:           4
        .value_kind:     by_value
      - .offset:         112
        .size:           4
        .value_kind:     by_value
      - .offset:         116
        .size:           4
        .value_kind:     by_value
      - .offset:         120
        .size:           4
        .value_kind:     by_value
      - .offset:         124
        .size:           4
        .value_kind:     by_value
      - .offset:         128
        .size:           4
        .value_kind:     by_value
      - .offset:         132
        .size:           4
        .value_kind:     by_value
      - .offset:         136
        .size:           4
        .value_kind:     by_value
      - .offset:         140
        .size:           4
        .value_kind:     by_value
      - .offset:         144
        .size:           4
        .value_kind:     by_value
      - .offset:         152
        .size:           8
        .value_kind:     by_value
      - .offset:         160
        .size:           4
        .value_kind:     by_value
      - .offset:         164
        .size:           4
        .value_kind:     by_value
      - .offset:         168
        .size:           8
        .value_kind:     by_value
      - .offset:         176
        .size:           4
        .value_kind:     by_value
      - .offset:         180
        .size:           4
        .value_kind:     by_value
      - .offset:         184
        .size:           4
        .value_kind:     by_value
      - .offset:         188
        .size:           4
        .value_kind:     by_value
      - .offset:         192
        .size:           4
        .value_kind:     by_value
      - .offset:         200
        .size:           8
        .value_kind:     by_value
      - .offset:         208
        .size:           4
        .value_kind:     hidden_block_count_x
      - .offset:         212
        .size:           4
        .value_kind:     hidden_block_count_y
      - .offset:         216
        .size:           4
        .value_kind:     hidden_block_count_z
      - .offset:         220
        .size:           2
        .value_kind:     hidden_group_size_x
      - .offset:         222
        .size:           2
        .value_kind:     hidden_group_size_y
      - .offset:         224
        .size:           2
        .value_kind:     hidden_group_size_z
      - .offset:         226
        .size:           2
        .value_kind:     hidden_remainder_x
      - .offset:         228
        .size:           2
        .value_kind:     hidden_remainder_y
      - .offset:         230
        .size:           2
        .value_kind:     hidden_remainder_z
      - .offset:         248
        .size:           8
        .value_kind:     hidden_global_offset_x
      - .offset:         256
        .size:           8
        .value_kind:     hidden_global_offset_y
      - .offset:         264
        .size:           8
        .value_kind:     hidden_global_offset_z
      - .offset:         272
        .size:           2
        .value_kind:     hidden_grid_dims
    .group_segment_fixed_size: 20000
    .kernarg_segment_align: 8
    .kernarg_segment_size: 464
    .language:       OpenCL C
    .language_version:
      - 2
      - 0
    .max_flat_workgroup_size: 256
    .name:           _ZL15flash_attn_tileILi256ELi256ELi1ELi2ELb0EEvPKcS1_S1_S1_S1_PKiPfP15HIP_vector_typeIfLj2EEffffjfiS5_IjLj3EEiiiiiiiiiiiliiliiiiil
    .private_segment_fixed_size: 0
    .sgpr_count:     50
    .sgpr_spill_count: 0
    .symbol:         _ZL15flash_attn_tileILi256ELi256ELi1ELi2ELb0EEvPKcS1_S1_S1_S1_PKiPfP15HIP_vector_typeIfLj2EEffffjfiS5_IjLj3EEiiiiiiiiiiiliiliiiiil.kd
    .uniform_work_group_size: 1
    .uses_dynamic_stack: false
    .vgpr_count:     116
    .vgpr_spill_count: 0
    .wavefront_size: 64
  - .agpr_count:     0
    .args:
      - .address_space:  global
        .offset:         0
        .size:           8
        .value_kind:     global_buffer
      - .address_space:  global
        .offset:         8
        .size:           8
        .value_kind:     global_buffer
      - .offset:         16
        .size:           4
        .value_kind:     by_value
      - .offset:         20
        .size:           4
        .value_kind:     by_value
      - .offset:         24
        .size:           4
        .value_kind:     by_value
      - .offset:         28
        .size:           4
        .value_kind:     by_value
      - .offset:         32
        .size:           4
        .value_kind:     by_value
      - .offset:         36
        .size:           4
        .value_kind:     by_value
      - .offset:         40
        .size:           12
        .value_kind:     by_value
      - .offset:         52
        .size:           12
        .value_kind:     by_value
      - .offset:         64
        .size:           12
        .value_kind:     by_value
    .group_segment_fixed_size: 0
    .kernarg_segment_align: 8
    .kernarg_segment_size: 76
    .language:       OpenCL C
    .language_version:
      - 2
      - 0
    .max_flat_workgroup_size: 256
    .name:           _ZL33flash_attn_stream_k_fixup_uniformILi256ELi1ELi2EEvPfPK15HIP_vector_typeIfLj2EEiiiiiiS1_IjLj3EES5_S5_
    .private_segment_fixed_size: 0
    .sgpr_count:     26
    .sgpr_spill_count: 0
    .symbol:         _ZL33flash_attn_stream_k_fixup_uniformILi256ELi1ELi2EEvPfPK15HIP_vector_typeIfLj2EEiiiiiiS1_IjLj3EES5_S5_.kd
    .uniform_work_group_size: 1
    .uses_dynamic_stack: false
    .vgpr_count:     17
    .vgpr_spill_count: 0
    .wavefront_size: 64
  - .agpr_count:     0
    .args:
      - .address_space:  global
        .offset:         0
        .size:           8
        .value_kind:     global_buffer
      - .address_space:  global
        .offset:         8
        .size:           8
        .value_kind:     global_buffer
      - .offset:         16
        .size:           4
        .value_kind:     by_value
      - .offset:         20
        .size:           4
        .value_kind:     by_value
      - .offset:         24
        .size:           4
        .value_kind:     by_value
      - .offset:         28
        .size:           4
        .value_kind:     by_value
      - .offset:         32
        .size:           12
        .value_kind:     by_value
      - .offset:         44
        .size:           12
        .value_kind:     by_value
      - .offset:         56
        .size:           12
        .value_kind:     by_value
      - .offset:         68
        .size:           12
        .value_kind:     by_value
      - .offset:         80
        .size:           4
        .value_kind:     hidden_block_count_x
      - .offset:         84
        .size:           4
        .value_kind:     hidden_block_count_y
      - .offset:         88
        .size:           4
        .value_kind:     hidden_block_count_z
      - .offset:         92
        .size:           2
        .value_kind:     hidden_group_size_x
      - .offset:         94
        .size:           2
        .value_kind:     hidden_group_size_y
      - .offset:         96
        .size:           2
        .value_kind:     hidden_group_size_z
      - .offset:         98
        .size:           2
        .value_kind:     hidden_remainder_x
      - .offset:         100
        .size:           2
        .value_kind:     hidden_remainder_y
      - .offset:         102
        .size:           2
        .value_kind:     hidden_remainder_z
      - .offset:         120
        .size:           8
        .value_kind:     hidden_global_offset_x
      - .offset:         128
        .size:           8
        .value_kind:     hidden_global_offset_y
      - .offset:         136
        .size:           8
        .value_kind:     hidden_global_offset_z
      - .offset:         144
        .size:           2
        .value_kind:     hidden_grid_dims
    .group_segment_fixed_size: 0
    .kernarg_segment_align: 8
    .kernarg_segment_size: 336
    .language:       OpenCL C
    .language_version:
      - 2
      - 0
    .max_flat_workgroup_size: 256
    .name:           _ZL33flash_attn_stream_k_fixup_generalILi256ELi1ELi2EEvPfPK15HIP_vector_typeIfLj2EEiiiiS1_IjLj3EES5_S5_S5_
    .private_segment_fixed_size: 0
    .sgpr_count:     43
    .sgpr_spill_count: 0
    .symbol:         _ZL33flash_attn_stream_k_fixup_generalILi256ELi1ELi2EEvPfPK15HIP_vector_typeIfLj2EEiiiiS1_IjLj3EES5_S5_S5_.kd
    .uniform_work_group_size: 1
    .uses_dynamic_stack: false
    .vgpr_count:     18
    .vgpr_spill_count: 0
    .wavefront_size: 64
  - .agpr_count:     0
    .args:
      - .address_space:  global
        .offset:         0
        .size:           8
        .value_kind:     global_buffer
      - .address_space:  global
        .offset:         8
        .size:           8
        .value_kind:     global_buffer
      - .address_space:  global
        .offset:         16
        .size:           8
        .value_kind:     global_buffer
      - .address_space:  global
        .offset:         24
        .size:           8
        .value_kind:     global_buffer
      - .address_space:  global
        .offset:         32
        .size:           8
        .value_kind:     global_buffer
      - .address_space:  global
        .offset:         40
        .size:           8
        .value_kind:     global_buffer
      - .address_space:  global
        .offset:         48
        .size:           8
        .value_kind:     global_buffer
      - .address_space:  global
        .offset:         56
        .size:           8
        .value_kind:     global_buffer
      - .offset:         64
        .size:           4
        .value_kind:     by_value
      - .offset:         68
        .size:           4
        .value_kind:     by_value
      - .offset:         72
        .size:           4
        .value_kind:     by_value
      - .offset:         76
        .size:           4
        .value_kind:     by_value
      - .offset:         80
        .size:           4
        .value_kind:     by_value
      - .offset:         84
        .size:           4
        .value_kind:     by_value
      - .offset:         88
        .size:           4
        .value_kind:     by_value
      - .offset:         92
        .size:           12
        .value_kind:     by_value
      - .offset:         104
        .size:           4
        .value_kind:     by_value
      - .offset:         108
        .size:           4
        .value_kind:     by_value
      - .offset:         112
        .size:           4
        .value_kind:     by_value
      - .offset:         116
        .size:           4
        .value_kind:     by_value
      - .offset:         120
        .size:           4
        .value_kind:     by_value
      - .offset:         124
        .size:           4
        .value_kind:     by_value
      - .offset:         128
        .size:           4
        .value_kind:     by_value
      - .offset:         132
        .size:           4
        .value_kind:     by_value
      - .offset:         136
        .size:           4
        .value_kind:     by_value
      - .offset:         140
        .size:           4
        .value_kind:     by_value
      - .offset:         144
        .size:           4
        .value_kind:     by_value
      - .offset:         152
        .size:           8
        .value_kind:     by_value
      - .offset:         160
        .size:           4
        .value_kind:     by_value
      - .offset:         164
        .size:           4
        .value_kind:     by_value
      - .offset:         168
        .size:           8
        .value_kind:     by_value
      - .offset:         176
        .size:           4
        .value_kind:     by_value
      - .offset:         180
        .size:           4
        .value_kind:     by_value
      - .offset:         184
        .size:           4
        .value_kind:     by_value
      - .offset:         188
        .size:           4
        .value_kind:     by_value
      - .offset:         192
        .size:           4
        .value_kind:     by_value
      - .offset:         200
        .size:           8
        .value_kind:     by_value
      - .offset:         208
        .size:           4
        .value_kind:     hidden_block_count_x
      - .offset:         212
        .size:           4
        .value_kind:     hidden_block_count_y
      - .offset:         216
        .size:           4
        .value_kind:     hidden_block_count_z
      - .offset:         220
        .size:           2
        .value_kind:     hidden_group_size_x
      - .offset:         222
        .size:           2
        .value_kind:     hidden_group_size_y
      - .offset:         224
        .size:           2
        .value_kind:     hidden_group_size_z
      - .offset:         226
        .size:           2
        .value_kind:     hidden_remainder_x
      - .offset:         228
        .size:           2
        .value_kind:     hidden_remainder_y
      - .offset:         230
        .size:           2
        .value_kind:     hidden_remainder_z
      - .offset:         248
        .size:           8
        .value_kind:     hidden_global_offset_x
      - .offset:         256
        .size:           8
        .value_kind:     hidden_global_offset_y
      - .offset:         264
        .size:           8
        .value_kind:     hidden_global_offset_z
      - .offset:         272
        .size:           2
        .value_kind:     hidden_grid_dims
    .group_segment_fixed_size: 27136
    .kernarg_segment_align: 8
    .kernarg_segment_size: 464
    .language:       OpenCL C
    .language_version:
      - 2
      - 0
    .max_flat_workgroup_size: 256
    .name:           _ZL15flash_attn_tileILi256ELi256ELi32ELi1ELb0EEvPKcS1_S1_S1_S1_PKiPfP15HIP_vector_typeIfLj2EEffffjfiS5_IjLj3EEiiiiiiiiiiiliiliiiiil
    .private_segment_fixed_size: 32
    .sgpr_count:     54
    .sgpr_spill_count: 0
    .symbol:         _ZL15flash_attn_tileILi256ELi256ELi32ELi1ELb0EEvPKcS1_S1_S1_S1_PKiPfP15HIP_vector_typeIfLj2EEffffjfiS5_IjLj3EEiiiiiiiiiiiliiliiiiil.kd
    .uniform_work_group_size: 1
    .uses_dynamic_stack: false
    .vgpr_count:     115
    .vgpr_spill_count: 0
    .wavefront_size: 64
  - .agpr_count:     0
    .args:
      - .actual_access:  read_only
        .address_space:  global
        .offset:         0
        .size:           8
        .value_kind:     global_buffer
      - .actual_access:  write_only
        .address_space:  global
        .offset:         8
        .size:           8
        .value_kind:     global_buffer
      - .offset:         16
        .size:           4
        .value_kind:     by_value
      - .offset:         20
        .size:           4
        .value_kind:     by_value
      - .offset:         24
        .size:           4
        .value_kind:     by_value
      - .offset:         32
        .size:           4
        .value_kind:     hidden_block_count_x
      - .offset:         36
        .size:           4
        .value_kind:     hidden_block_count_y
      - .offset:         40
        .size:           4
        .value_kind:     hidden_block_count_z
      - .offset:         44
        .size:           2
        .value_kind:     hidden_group_size_x
      - .offset:         46
        .size:           2
        .value_kind:     hidden_group_size_y
      - .offset:         48
        .size:           2
        .value_kind:     hidden_group_size_z
      - .offset:         50
        .size:           2
        .value_kind:     hidden_remainder_x
      - .offset:         52
        .size:           2
        .value_kind:     hidden_remainder_y
      - .offset:         54
        .size:           2
        .value_kind:     hidden_remainder_z
      - .offset:         72
        .size:           8
        .value_kind:     hidden_global_offset_x
      - .offset:         80
        .size:           8
        .value_kind:     hidden_global_offset_y
      - .offset:         88
        .size:           8
        .value_kind:     hidden_global_offset_z
      - .offset:         96
        .size:           2
        .value_kind:     hidden_grid_dims
    .group_segment_fixed_size: 128
    .kernarg_segment_align: 8
    .kernarg_segment_size: 288
    .language:       OpenCL C
    .language_version:
      - 2
      - 0
    .max_flat_workgroup_size: 128
    .name:           _ZL25flash_attn_mask_to_KV_maxILi32EEvPK7__half2Piiii
    .private_segment_fixed_size: 0
    .sgpr_count:     106
    .sgpr_spill_count: 42
    .symbol:         _ZL25flash_attn_mask_to_KV_maxILi32EEvPK7__half2Piiii.kd
    .uniform_work_group_size: 1
    .uses_dynamic_stack: false
    .vgpr_count:     13
    .vgpr_spill_count: 0
    .wavefront_size: 64
  - .agpr_count:     0
    .args:
      - .address_space:  global
        .offset:         0
        .size:           8
        .value_kind:     global_buffer
      - .address_space:  global
        .offset:         8
        .size:           8
        .value_kind:     global_buffer
      - .offset:         16
        .size:           4
        .value_kind:     by_value
      - .offset:         20
        .size:           4
        .value_kind:     by_value
      - .offset:         24
        .size:           4
        .value_kind:     by_value
      - .offset:         28
        .size:           4
        .value_kind:     by_value
      - .offset:         32
        .size:           4
        .value_kind:     by_value
      - .offset:         36
        .size:           4
        .value_kind:     by_value
      - .offset:         40
        .size:           12
        .value_kind:     by_value
      - .offset:         52
        .size:           12
        .value_kind:     by_value
      - .offset:         64
        .size:           12
        .value_kind:     by_value
    .group_segment_fixed_size: 0
    .kernarg_segment_align: 8
    .kernarg_segment_size: 76
    .language:       OpenCL C
    .language_version:
      - 2
      - 0
    .max_flat_workgroup_size: 256
    .name:           _ZL33flash_attn_stream_k_fixup_uniformILi256ELi32ELi1EEvPfPK15HIP_vector_typeIfLj2EEiiiiiiS1_IjLj3EES5_S5_
    .private_segment_fixed_size: 0
    .sgpr_count:     30
    .sgpr_spill_count: 0
    .symbol:         _ZL33flash_attn_stream_k_fixup_uniformILi256ELi32ELi1EEvPfPK15HIP_vector_typeIfLj2EEiiiiiiS1_IjLj3EES5_S5_.kd
    .uniform_work_group_size: 1
    .uses_dynamic_stack: false
    .vgpr_count:     17
    .vgpr_spill_count: 0
    .wavefront_size: 64
  - .agpr_count:     0
    .args:
      - .address_space:  global
        .offset:         0
        .size:           8
        .value_kind:     global_buffer
      - .address_space:  global
        .offset:         8
        .size:           8
        .value_kind:     global_buffer
      - .offset:         16
        .size:           4
        .value_kind:     by_value
      - .offset:         20
        .size:           4
        .value_kind:     by_value
      - .offset:         24
        .size:           4
        .value_kind:     by_value
      - .offset:         28
        .size:           4
        .value_kind:     by_value
      - .offset:         32
        .size:           12
        .value_kind:     by_value
      - .offset:         44
        .size:           12
        .value_kind:     by_value
      - .offset:         56
        .size:           12
        .value_kind:     by_value
      - .offset:         68
        .size:           12
        .value_kind:     by_value
      - .offset:         80
        .size:           4
        .value_kind:     hidden_block_count_x
      - .offset:         84
        .size:           4
        .value_kind:     hidden_block_count_y
      - .offset:         88
        .size:           4
        .value_kind:     hidden_block_count_z
      - .offset:         92
        .size:           2
        .value_kind:     hidden_group_size_x
      - .offset:         94
        .size:           2
        .value_kind:     hidden_group_size_y
      - .offset:         96
        .size:           2
        .value_kind:     hidden_group_size_z
      - .offset:         98
        .size:           2
        .value_kind:     hidden_remainder_x
      - .offset:         100
        .size:           2
        .value_kind:     hidden_remainder_y
      - .offset:         102
        .size:           2
        .value_kind:     hidden_remainder_z
      - .offset:         120
        .size:           8
        .value_kind:     hidden_global_offset_x
      - .offset:         128
        .size:           8
        .value_kind:     hidden_global_offset_y
      - .offset:         136
        .size:           8
        .value_kind:     hidden_global_offset_z
      - .offset:         144
        .size:           2
        .value_kind:     hidden_grid_dims
    .group_segment_fixed_size: 0
    .kernarg_segment_align: 8
    .kernarg_segment_size: 336
    .language:       OpenCL C
    .language_version:
      - 2
      - 0
    .max_flat_workgroup_size: 256
    .name:           _ZL33flash_attn_stream_k_fixup_generalILi256ELi32ELi1EEvPfPK15HIP_vector_typeIfLj2EEiiiiS1_IjLj3EES5_S5_S5_
    .private_segment_fixed_size: 0
    .sgpr_count:     42
    .sgpr_spill_count: 0
    .symbol:         _ZL33flash_attn_stream_k_fixup_generalILi256ELi32ELi1EEvPfPK15HIP_vector_typeIfLj2EEiiiiS1_IjLj3EES5_S5_S5_.kd
    .uniform_work_group_size: 1
    .uses_dynamic_stack: false
    .vgpr_count:     18
    .vgpr_spill_count: 0
    .wavefront_size: 64
  - .agpr_count:     0
    .args:
      - .address_space:  global
        .offset:         0
        .size:           8
        .value_kind:     global_buffer
      - .address_space:  global
        .offset:         8
        .size:           8
        .value_kind:     global_buffer
      - .address_space:  global
        .offset:         16
        .size:           8
        .value_kind:     global_buffer
      - .address_space:  global
        .offset:         24
        .size:           8
        .value_kind:     global_buffer
      - .address_space:  global
        .offset:         32
        .size:           8
        .value_kind:     global_buffer
      - .address_space:  global
        .offset:         40
        .size:           8
        .value_kind:     global_buffer
      - .address_space:  global
        .offset:         48
        .size:           8
        .value_kind:     global_buffer
      - .address_space:  global
        .offset:         56
        .size:           8
        .value_kind:     global_buffer
      - .offset:         64
        .size:           4
        .value_kind:     by_value
      - .offset:         68
        .size:           4
        .value_kind:     by_value
      - .offset:         72
        .size:           4
        .value_kind:     by_value
      - .offset:         76
        .size:           4
        .value_kind:     by_value
      - .offset:         80
        .size:           4
        .value_kind:     by_value
      - .offset:         84
        .size:           4
        .value_kind:     by_value
      - .offset:         88
        .size:           4
        .value_kind:     by_value
      - .offset:         92
        .size:           12
        .value_kind:     by_value
      - .offset:         104
        .size:           4
        .value_kind:     by_value
      - .offset:         108
        .size:           4
        .value_kind:     by_value
      - .offset:         112
        .size:           4
        .value_kind:     by_value
      - .offset:         116
        .size:           4
        .value_kind:     by_value
      - .offset:         120
        .size:           4
        .value_kind:     by_value
      - .offset:         124
        .size:           4
        .value_kind:     by_value
      - .offset:         128
        .size:           4
        .value_kind:     by_value
      - .offset:         132
        .size:           4
        .value_kind:     by_value
      - .offset:         136
        .size:           4
        .value_kind:     by_value
      - .offset:         140
        .size:           4
        .value_kind:     by_value
      - .offset:         144
        .size:           4
        .value_kind:     by_value
      - .offset:         152
        .size:           8
        .value_kind:     by_value
      - .offset:         160
        .size:           4
        .value_kind:     by_value
      - .offset:         164
        .size:           4
        .value_kind:     by_value
      - .offset:         168
        .size:           8
        .value_kind:     by_value
      - .offset:         176
        .size:           4
        .value_kind:     by_value
      - .offset:         180
        .size:           4
        .value_kind:     by_value
      - .offset:         184
        .size:           4
        .value_kind:     by_value
      - .offset:         188
        .size:           4
        .value_kind:     by_value
      - .offset:         192
        .size:           4
        .value_kind:     by_value
      - .offset:         200
        .size:           8
        .value_kind:     by_value
      - .offset:         208
        .size:           4
        .value_kind:     hidden_block_count_x
      - .offset:         212
        .size:           4
        .value_kind:     hidden_block_count_y
      - .offset:         216
        .size:           4
        .value_kind:     hidden_block_count_z
      - .offset:         220
        .size:           2
        .value_kind:     hidden_group_size_x
      - .offset:         222
        .size:           2
        .value_kind:     hidden_group_size_y
      - .offset:         224
        .size:           2
        .value_kind:     hidden_group_size_z
      - .offset:         226
        .size:           2
        .value_kind:     hidden_remainder_x
      - .offset:         228
        .size:           2
        .value_kind:     hidden_remainder_y
      - .offset:         230
        .size:           2
        .value_kind:     hidden_remainder_z
      - .offset:         248
        .size:           8
        .value_kind:     hidden_global_offset_x
      - .offset:         256
        .size:           8
        .value_kind:     hidden_global_offset_y
      - .offset:         264
        .size:           8
        .value_kind:     hidden_global_offset_z
      - .offset:         272
        .size:           2
        .value_kind:     hidden_grid_dims
    .group_segment_fixed_size: 17920
    .kernarg_segment_align: 8
    .kernarg_segment_size: 464
    .language:       OpenCL C
    .language_version:
      - 2
      - 0
    .max_flat_workgroup_size: 256
    .name:           _ZL15flash_attn_tileILi256ELi256ELi16ELi1ELb0EEvPKcS1_S1_S1_S1_PKiPfP15HIP_vector_typeIfLj2EEffffjfiS5_IjLj3EEiiiiiiiiiiiliiliiiiil
    .private_segment_fixed_size: 32
    .sgpr_count:     54
    .sgpr_spill_count: 0
    .symbol:         _ZL15flash_attn_tileILi256ELi256ELi16ELi1ELb0EEvPKcS1_S1_S1_S1_PKiPfP15HIP_vector_typeIfLj2EEffffjfiS5_IjLj3EEiiiiiiiiiiiliiliiiiil.kd
    .uniform_work_group_size: 1
    .uses_dynamic_stack: false
    .vgpr_count:     107
    .vgpr_spill_count: 0
    .wavefront_size: 64
  - .agpr_count:     0
    .args:
      - .address_space:  global
        .offset:         0
        .size:           8
        .value_kind:     global_buffer
      - .address_space:  global
        .offset:         8
        .size:           8
        .value_kind:     global_buffer
      - .offset:         16
        .size:           4
        .value_kind:     by_value
      - .offset:         20
        .size:           4
        .value_kind:     by_value
      - .offset:         24
        .size:           4
        .value_kind:     by_value
      - .offset:         28
        .size:           4
        .value_kind:     by_value
      - .offset:         32
        .size:           4
        .value_kind:     by_value
      - .offset:         36
        .size:           4
        .value_kind:     by_value
      - .offset:         40
        .size:           12
        .value_kind:     by_value
      - .offset:         52
        .size:           12
        .value_kind:     by_value
      - .offset:         64
        .size:           12
        .value_kind:     by_value
    .group_segment_fixed_size: 0
    .kernarg_segment_align: 8
    .kernarg_segment_size: 76
    .language:       OpenCL C
    .language_version:
      - 2
      - 0
    .max_flat_workgroup_size: 256
    .name:           _ZL33flash_attn_stream_k_fixup_uniformILi256ELi16ELi1EEvPfPK15HIP_vector_typeIfLj2EEiiiiiiS1_IjLj3EES5_S5_
    .private_segment_fixed_size: 0
    .sgpr_count:     30
    .sgpr_spill_count: 0
    .symbol:         _ZL33flash_attn_stream_k_fixup_uniformILi256ELi16ELi1EEvPfPK15HIP_vector_typeIfLj2EEiiiiiiS1_IjLj3EES5_S5_.kd
    .uniform_work_group_size: 1
    .uses_dynamic_stack: false
    .vgpr_count:     17
    .vgpr_spill_count: 0
    .wavefront_size: 64
  - .agpr_count:     0
    .args:
      - .address_space:  global
        .offset:         0
        .size:           8
        .value_kind:     global_buffer
      - .address_space:  global
        .offset:         8
        .size:           8
        .value_kind:     global_buffer
      - .offset:         16
        .size:           4
        .value_kind:     by_value
      - .offset:         20
        .size:           4
        .value_kind:     by_value
      - .offset:         24
        .size:           4
        .value_kind:     by_value
      - .offset:         28
        .size:           4
        .value_kind:     by_value
      - .offset:         32
        .size:           12
        .value_kind:     by_value
      - .offset:         44
        .size:           12
        .value_kind:     by_value
      - .offset:         56
        .size:           12
        .value_kind:     by_value
      - .offset:         68
        .size:           12
        .value_kind:     by_value
      - .offset:         80
        .size:           4
        .value_kind:     hidden_block_count_x
      - .offset:         84
        .size:           4
        .value_kind:     hidden_block_count_y
      - .offset:         88
        .size:           4
        .value_kind:     hidden_block_count_z
      - .offset:         92
        .size:           2
        .value_kind:     hidden_group_size_x
      - .offset:         94
        .size:           2
        .value_kind:     hidden_group_size_y
      - .offset:         96
        .size:           2
        .value_kind:     hidden_group_size_z
      - .offset:         98
        .size:           2
        .value_kind:     hidden_remainder_x
      - .offset:         100
        .size:           2
        .value_kind:     hidden_remainder_y
      - .offset:         102
        .size:           2
        .value_kind:     hidden_remainder_z
      - .offset:         120
        .size:           8
        .value_kind:     hidden_global_offset_x
      - .offset:         128
        .size:           8
        .value_kind:     hidden_global_offset_y
      - .offset:         136
        .size:           8
        .value_kind:     hidden_global_offset_z
      - .offset:         144
        .size:           2
        .value_kind:     hidden_grid_dims
    .group_segment_fixed_size: 0
    .kernarg_segment_align: 8
    .kernarg_segment_size: 336
    .language:       OpenCL C
    .language_version:
      - 2
      - 0
    .max_flat_workgroup_size: 256
    .name:           _ZL33flash_attn_stream_k_fixup_generalILi256ELi16ELi1EEvPfPK15HIP_vector_typeIfLj2EEiiiiS1_IjLj3EES5_S5_S5_
    .private_segment_fixed_size: 0
    .sgpr_count:     42
    .sgpr_spill_count: 0
    .symbol:         _ZL33flash_attn_stream_k_fixup_generalILi256ELi16ELi1EEvPfPK15HIP_vector_typeIfLj2EEiiiiS1_IjLj3EES5_S5_S5_.kd
    .uniform_work_group_size: 1
    .uses_dynamic_stack: false
    .vgpr_count:     18
    .vgpr_spill_count: 0
    .wavefront_size: 64
  - .agpr_count:     0
    .args:
      - .address_space:  global
        .offset:         0
        .size:           8
        .value_kind:     global_buffer
      - .address_space:  global
        .offset:         8
        .size:           8
        .value_kind:     global_buffer
      - .address_space:  global
        .offset:         16
        .size:           8
        .value_kind:     global_buffer
      - .address_space:  global
        .offset:         24
        .size:           8
        .value_kind:     global_buffer
      - .address_space:  global
        .offset:         32
        .size:           8
        .value_kind:     global_buffer
      - .address_space:  global
        .offset:         40
        .size:           8
        .value_kind:     global_buffer
      - .address_space:  global
        .offset:         48
        .size:           8
        .value_kind:     global_buffer
      - .address_space:  global
        .offset:         56
        .size:           8
        .value_kind:     global_buffer
      - .offset:         64
        .size:           4
        .value_kind:     by_value
      - .offset:         68
        .size:           4
        .value_kind:     by_value
      - .offset:         72
        .size:           4
        .value_kind:     by_value
      - .offset:         76
        .size:           4
        .value_kind:     by_value
      - .offset:         80
        .size:           4
        .value_kind:     by_value
      - .offset:         84
        .size:           4
        .value_kind:     by_value
      - .offset:         88
        .size:           4
        .value_kind:     by_value
      - .offset:         92
        .size:           12
        .value_kind:     by_value
      - .offset:         104
        .size:           4
        .value_kind:     by_value
      - .offset:         108
        .size:           4
        .value_kind:     by_value
      - .offset:         112
        .size:           4
        .value_kind:     by_value
      - .offset:         116
        .size:           4
        .value_kind:     by_value
      - .offset:         120
        .size:           4
        .value_kind:     by_value
      - .offset:         124
        .size:           4
        .value_kind:     by_value
      - .offset:         128
        .size:           4
        .value_kind:     by_value
      - .offset:         132
        .size:           4
        .value_kind:     by_value
      - .offset:         136
        .size:           4
        .value_kind:     by_value
      - .offset:         140
        .size:           4
        .value_kind:     by_value
      - .offset:         144
        .size:           4
        .value_kind:     by_value
      - .offset:         152
        .size:           8
        .value_kind:     by_value
      - .offset:         160
        .size:           4
        .value_kind:     by_value
      - .offset:         164
        .size:           4
        .value_kind:     by_value
      - .offset:         168
        .size:           8
        .value_kind:     by_value
      - .offset:         176
        .size:           4
        .value_kind:     by_value
      - .offset:         180
        .size:           4
        .value_kind:     by_value
      - .offset:         184
        .size:           4
        .value_kind:     by_value
      - .offset:         188
        .size:           4
        .value_kind:     by_value
      - .offset:         192
        .size:           4
        .value_kind:     by_value
      - .offset:         200
        .size:           8
        .value_kind:     by_value
      - .offset:         208
        .size:           4
        .value_kind:     hidden_block_count_x
      - .offset:         212
        .size:           4
        .value_kind:     hidden_block_count_y
      - .offset:         216
        .size:           4
        .value_kind:     hidden_block_count_z
      - .offset:         220
        .size:           2
        .value_kind:     hidden_group_size_x
      - .offset:         222
        .size:           2
        .value_kind:     hidden_group_size_y
      - .offset:         224
        .size:           2
        .value_kind:     hidden_group_size_z
      - .offset:         226
        .size:           2
        .value_kind:     hidden_remainder_x
      - .offset:         228
        .size:           2
        .value_kind:     hidden_remainder_y
      - .offset:         230
        .size:           2
        .value_kind:     hidden_remainder_z
      - .offset:         248
        .size:           8
        .value_kind:     hidden_global_offset_x
      - .offset:         256
        .size:           8
        .value_kind:     hidden_global_offset_y
      - .offset:         264
        .size:           8
        .value_kind:     hidden_global_offset_z
      - .offset:         272
        .size:           2
        .value_kind:     hidden_grid_dims
    .group_segment_fixed_size: 22528
    .kernarg_segment_align: 8
    .kernarg_segment_size: 464
    .language:       OpenCL C
    .language_version:
      - 2
      - 0
    .max_flat_workgroup_size: 256
    .name:           _ZL15flash_attn_tileILi256ELi256ELi8ELi1ELb0EEvPKcS1_S1_S1_S1_PKiPfP15HIP_vector_typeIfLj2EEffffjfiS5_IjLj3EEiiiiiiiiiiiliiliiiiil
    .private_segment_fixed_size: 32
    .sgpr_count:     54
    .sgpr_spill_count: 0
    .symbol:         _ZL15flash_attn_tileILi256ELi256ELi8ELi1ELb0EEvPKcS1_S1_S1_S1_PKiPfP15HIP_vector_typeIfLj2EEffffjfiS5_IjLj3EEiiiiiiiiiiiliiliiiiil.kd
    .uniform_work_group_size: 1
    .uses_dynamic_stack: false
    .vgpr_count:     115
    .vgpr_spill_count: 0
    .wavefront_size: 64
  - .agpr_count:     0
    .args:
      - .address_space:  global
        .offset:         0
        .size:           8
        .value_kind:     global_buffer
      - .address_space:  global
        .offset:         8
        .size:           8
        .value_kind:     global_buffer
      - .offset:         16
        .size:           4
        .value_kind:     by_value
      - .offset:         20
        .size:           4
        .value_kind:     by_value
      - .offset:         24
        .size:           4
        .value_kind:     by_value
      - .offset:         28
        .size:           4
        .value_kind:     by_value
      - .offset:         32
        .size:           4
        .value_kind:     by_value
      - .offset:         36
        .size:           4
        .value_kind:     by_value
      - .offset:         40
        .size:           12
        .value_kind:     by_value
      - .offset:         52
        .size:           12
        .value_kind:     by_value
      - .offset:         64
        .size:           12
        .value_kind:     by_value
    .group_segment_fixed_size: 0
    .kernarg_segment_align: 8
    .kernarg_segment_size: 76
    .language:       OpenCL C
    .language_version:
      - 2
      - 0
    .max_flat_workgroup_size: 256
    .name:           _ZL33flash_attn_stream_k_fixup_uniformILi256ELi8ELi1EEvPfPK15HIP_vector_typeIfLj2EEiiiiiiS1_IjLj3EES5_S5_
    .private_segment_fixed_size: 0
    .sgpr_count:     30
    .sgpr_spill_count: 0
    .symbol:         _ZL33flash_attn_stream_k_fixup_uniformILi256ELi8ELi1EEvPfPK15HIP_vector_typeIfLj2EEiiiiiiS1_IjLj3EES5_S5_.kd
    .uniform_work_group_size: 1
    .uses_dynamic_stack: false
    .vgpr_count:     17
    .vgpr_spill_count: 0
    .wavefront_size: 64
  - .agpr_count:     0
    .args:
      - .address_space:  global
        .offset:         0
        .size:           8
        .value_kind:     global_buffer
      - .address_space:  global
        .offset:         8
        .size:           8
        .value_kind:     global_buffer
      - .offset:         16
        .size:           4
        .value_kind:     by_value
      - .offset:         20
        .size:           4
        .value_kind:     by_value
      - .offset:         24
        .size:           4
        .value_kind:     by_value
      - .offset:         28
        .size:           4
        .value_kind:     by_value
      - .offset:         32
        .size:           12
        .value_kind:     by_value
      - .offset:         44
        .size:           12
        .value_kind:     by_value
      - .offset:         56
        .size:           12
        .value_kind:     by_value
      - .offset:         68
        .size:           12
        .value_kind:     by_value
      - .offset:         80
        .size:           4
        .value_kind:     hidden_block_count_x
      - .offset:         84
        .size:           4
        .value_kind:     hidden_block_count_y
      - .offset:         88
        .size:           4
        .value_kind:     hidden_block_count_z
      - .offset:         92
        .size:           2
        .value_kind:     hidden_group_size_x
      - .offset:         94
        .size:           2
        .value_kind:     hidden_group_size_y
      - .offset:         96
        .size:           2
        .value_kind:     hidden_group_size_z
      - .offset:         98
        .size:           2
        .value_kind:     hidden_remainder_x
      - .offset:         100
        .size:           2
        .value_kind:     hidden_remainder_y
      - .offset:         102
        .size:           2
        .value_kind:     hidden_remainder_z
      - .offset:         120
        .size:           8
        .value_kind:     hidden_global_offset_x
      - .offset:         128
        .size:           8
        .value_kind:     hidden_global_offset_y
      - .offset:         136
        .size:           8
        .value_kind:     hidden_global_offset_z
      - .offset:         144
        .size:           2
        .value_kind:     hidden_grid_dims
    .group_segment_fixed_size: 0
    .kernarg_segment_align: 8
    .kernarg_segment_size: 336
    .language:       OpenCL C
    .language_version:
      - 2
      - 0
    .max_flat_workgroup_size: 256
    .name:           _ZL33flash_attn_stream_k_fixup_generalILi256ELi8ELi1EEvPfPK15HIP_vector_typeIfLj2EEiiiiS1_IjLj3EES5_S5_S5_
    .private_segment_fixed_size: 0
    .sgpr_count:     42
    .sgpr_spill_count: 0
    .symbol:         _ZL33flash_attn_stream_k_fixup_generalILi256ELi8ELi1EEvPfPK15HIP_vector_typeIfLj2EEiiiiS1_IjLj3EES5_S5_S5_.kd
    .uniform_work_group_size: 1
    .uses_dynamic_stack: false
    .vgpr_count:     18
    .vgpr_spill_count: 0
    .wavefront_size: 64
  - .agpr_count:     0
    .args:
      - .address_space:  global
        .offset:         0
        .size:           8
        .value_kind:     global_buffer
      - .address_space:  global
        .offset:         8
        .size:           8
        .value_kind:     global_buffer
      - .address_space:  global
        .offset:         16
        .size:           8
        .value_kind:     global_buffer
      - .address_space:  global
        .offset:         24
        .size:           8
        .value_kind:     global_buffer
      - .address_space:  global
        .offset:         32
        .size:           8
        .value_kind:     global_buffer
      - .address_space:  global
        .offset:         40
        .size:           8
        .value_kind:     global_buffer
      - .address_space:  global
        .offset:         48
        .size:           8
        .value_kind:     global_buffer
      - .address_space:  global
        .offset:         56
        .size:           8
        .value_kind:     global_buffer
      - .offset:         64
        .size:           4
        .value_kind:     by_value
      - .offset:         68
        .size:           4
        .value_kind:     by_value
      - .offset:         72
        .size:           4
        .value_kind:     by_value
      - .offset:         76
        .size:           4
        .value_kind:     by_value
      - .offset:         80
        .size:           4
        .value_kind:     by_value
      - .offset:         84
        .size:           4
        .value_kind:     by_value
      - .offset:         88
        .size:           4
        .value_kind:     by_value
      - .offset:         92
        .size:           12
        .value_kind:     by_value
      - .offset:         104
        .size:           4
        .value_kind:     by_value
      - .offset:         108
        .size:           4
        .value_kind:     by_value
      - .offset:         112
        .size:           4
        .value_kind:     by_value
      - .offset:         116
        .size:           4
        .value_kind:     by_value
      - .offset:         120
        .size:           4
        .value_kind:     by_value
      - .offset:         124
        .size:           4
        .value_kind:     by_value
      - .offset:         128
        .size:           4
        .value_kind:     by_value
      - .offset:         132
        .size:           4
        .value_kind:     by_value
      - .offset:         136
        .size:           4
        .value_kind:     by_value
      - .offset:         140
        .size:           4
        .value_kind:     by_value
      - .offset:         144
        .size:           4
        .value_kind:     by_value
      - .offset:         152
        .size:           8
        .value_kind:     by_value
      - .offset:         160
        .size:           4
        .value_kind:     by_value
      - .offset:         164
        .size:           4
        .value_kind:     by_value
      - .offset:         168
        .size:           8
        .value_kind:     by_value
      - .offset:         176
        .size:           4
        .value_kind:     by_value
      - .offset:         180
        .size:           4
        .value_kind:     by_value
      - .offset:         184
        .size:           4
        .value_kind:     by_value
      - .offset:         188
        .size:           4
        .value_kind:     by_value
      - .offset:         192
        .size:           4
        .value_kind:     by_value
      - .offset:         200
        .size:           8
        .value_kind:     by_value
      - .offset:         208
        .size:           4
        .value_kind:     hidden_block_count_x
      - .offset:         212
        .size:           4
        .value_kind:     hidden_block_count_y
      - .offset:         216
        .size:           4
        .value_kind:     hidden_block_count_z
      - .offset:         220
        .size:           2
        .value_kind:     hidden_group_size_x
      - .offset:         222
        .size:           2
        .value_kind:     hidden_group_size_y
      - .offset:         224
        .size:           2
        .value_kind:     hidden_group_size_z
      - .offset:         226
        .size:           2
        .value_kind:     hidden_remainder_x
      - .offset:         228
        .size:           2
        .value_kind:     hidden_remainder_y
      - .offset:         230
        .size:           2
        .value_kind:     hidden_remainder_z
      - .offset:         248
        .size:           8
        .value_kind:     hidden_global_offset_x
      - .offset:         256
        .size:           8
        .value_kind:     hidden_global_offset_y
      - .offset:         264
        .size:           8
        .value_kind:     hidden_global_offset_z
      - .offset:         272
        .size:           2
        .value_kind:     hidden_grid_dims
    .group_segment_fixed_size: 20032
    .kernarg_segment_align: 8
    .kernarg_segment_size: 464
    .language:       OpenCL C
    .language_version:
      - 2
      - 0
    .max_flat_workgroup_size: 256
    .name:           _ZL15flash_attn_tileILi256ELi256ELi4ELi1ELb0EEvPKcS1_S1_S1_S1_PKiPfP15HIP_vector_typeIfLj2EEffffjfiS5_IjLj3EEiiiiiiiiiiiliiliiiiil
    .private_segment_fixed_size: 32
    .sgpr_count:     54
    .sgpr_spill_count: 0
    .symbol:         _ZL15flash_attn_tileILi256ELi256ELi4ELi1ELb0EEvPKcS1_S1_S1_S1_PKiPfP15HIP_vector_typeIfLj2EEffffjfiS5_IjLj3EEiiiiiiiiiiiliiliiiiil.kd
    .uniform_work_group_size: 1
    .uses_dynamic_stack: false
    .vgpr_count:     121
    .vgpr_spill_count: 0
    .wavefront_size: 64
  - .agpr_count:     0
    .args:
      - .address_space:  global
        .offset:         0
        .size:           8
        .value_kind:     global_buffer
      - .address_space:  global
        .offset:         8
        .size:           8
        .value_kind:     global_buffer
      - .offset:         16
        .size:           4
        .value_kind:     by_value
      - .offset:         20
        .size:           4
        .value_kind:     by_value
      - .offset:         24
        .size:           4
        .value_kind:     by_value
      - .offset:         28
        .size:           4
        .value_kind:     by_value
      - .offset:         32
        .size:           4
        .value_kind:     by_value
      - .offset:         36
        .size:           4
        .value_kind:     by_value
      - .offset:         40
        .size:           12
        .value_kind:     by_value
      - .offset:         52
        .size:           12
        .value_kind:     by_value
      - .offset:         64
        .size:           12
        .value_kind:     by_value
    .group_segment_fixed_size: 0
    .kernarg_segment_align: 8
    .kernarg_segment_size: 76
    .language:       OpenCL C
    .language_version:
      - 2
      - 0
    .max_flat_workgroup_size: 256
    .name:           _ZL33flash_attn_stream_k_fixup_uniformILi256ELi4ELi1EEvPfPK15HIP_vector_typeIfLj2EEiiiiiiS1_IjLj3EES5_S5_
    .private_segment_fixed_size: 0
    .sgpr_count:     30
    .sgpr_spill_count: 0
    .symbol:         _ZL33flash_attn_stream_k_fixup_uniformILi256ELi4ELi1EEvPfPK15HIP_vector_typeIfLj2EEiiiiiiS1_IjLj3EES5_S5_.kd
    .uniform_work_group_size: 1
    .uses_dynamic_stack: false
    .vgpr_count:     17
    .vgpr_spill_count: 0
    .wavefront_size: 64
  - .agpr_count:     0
    .args:
      - .address_space:  global
        .offset:         0
        .size:           8
        .value_kind:     global_buffer
      - .address_space:  global
        .offset:         8
        .size:           8
        .value_kind:     global_buffer
      - .offset:         16
        .size:           4
        .value_kind:     by_value
      - .offset:         20
        .size:           4
        .value_kind:     by_value
      - .offset:         24
        .size:           4
        .value_kind:     by_value
      - .offset:         28
        .size:           4
        .value_kind:     by_value
      - .offset:         32
        .size:           12
        .value_kind:     by_value
      - .offset:         44
        .size:           12
        .value_kind:     by_value
      - .offset:         56
        .size:           12
        .value_kind:     by_value
      - .offset:         68
        .size:           12
        .value_kind:     by_value
      - .offset:         80
        .size:           4
        .value_kind:     hidden_block_count_x
      - .offset:         84
        .size:           4
        .value_kind:     hidden_block_count_y
      - .offset:         88
        .size:           4
        .value_kind:     hidden_block_count_z
      - .offset:         92
        .size:           2
        .value_kind:     hidden_group_size_x
      - .offset:         94
        .size:           2
        .value_kind:     hidden_group_size_y
      - .offset:         96
        .size:           2
        .value_kind:     hidden_group_size_z
      - .offset:         98
        .size:           2
        .value_kind:     hidden_remainder_x
      - .offset:         100
        .size:           2
        .value_kind:     hidden_remainder_y
      - .offset:         102
        .size:           2
        .value_kind:     hidden_remainder_z
      - .offset:         120
        .size:           8
        .value_kind:     hidden_global_offset_x
      - .offset:         128
        .size:           8
        .value_kind:     hidden_global_offset_y
      - .offset:         136
        .size:           8
        .value_kind:     hidden_global_offset_z
      - .offset:         144
        .size:           2
        .value_kind:     hidden_grid_dims
    .group_segment_fixed_size: 0
    .kernarg_segment_align: 8
    .kernarg_segment_size: 336
    .language:       OpenCL C
    .language_version:
      - 2
      - 0
    .max_flat_workgroup_size: 256
    .name:           _ZL33flash_attn_stream_k_fixup_generalILi256ELi4ELi1EEvPfPK15HIP_vector_typeIfLj2EEiiiiS1_IjLj3EES5_S5_S5_
    .private_segment_fixed_size: 0
    .sgpr_count:     42
    .sgpr_spill_count: 0
    .symbol:         _ZL33flash_attn_stream_k_fixup_generalILi256ELi4ELi1EEvPfPK15HIP_vector_typeIfLj2EEiiiiS1_IjLj3EES5_S5_S5_.kd
    .uniform_work_group_size: 1
    .uses_dynamic_stack: false
    .vgpr_count:     18
    .vgpr_spill_count: 0
    .wavefront_size: 64
  - .agpr_count:     0
    .args:
      - .address_space:  global
        .offset:         0
        .size:           8
        .value_kind:     global_buffer
      - .address_space:  global
        .offset:         8
        .size:           8
        .value_kind:     global_buffer
      - .address_space:  global
        .offset:         16
        .size:           8
        .value_kind:     global_buffer
      - .address_space:  global
        .offset:         24
        .size:           8
        .value_kind:     global_buffer
      - .address_space:  global
        .offset:         32
        .size:           8
        .value_kind:     global_buffer
      - .address_space:  global
        .offset:         40
        .size:           8
        .value_kind:     global_buffer
      - .address_space:  global
        .offset:         48
        .size:           8
        .value_kind:     global_buffer
      - .address_space:  global
        .offset:         56
        .size:           8
        .value_kind:     global_buffer
      - .offset:         64
        .size:           4
        .value_kind:     by_value
      - .offset:         68
        .size:           4
        .value_kind:     by_value
      - .offset:         72
        .size:           4
        .value_kind:     by_value
      - .offset:         76
        .size:           4
        .value_kind:     by_value
      - .offset:         80
        .size:           4
        .value_kind:     by_value
      - .offset:         84
        .size:           4
        .value_kind:     by_value
      - .offset:         88
        .size:           4
        .value_kind:     by_value
      - .offset:         92
        .size:           12
        .value_kind:     by_value
      - .offset:         104
        .size:           4
        .value_kind:     by_value
      - .offset:         108
        .size:           4
        .value_kind:     by_value
      - .offset:         112
        .size:           4
        .value_kind:     by_value
      - .offset:         116
        .size:           4
        .value_kind:     by_value
      - .offset:         120
        .size:           4
        .value_kind:     by_value
      - .offset:         124
        .size:           4
        .value_kind:     by_value
      - .offset:         128
        .size:           4
        .value_kind:     by_value
      - .offset:         132
        .size:           4
        .value_kind:     by_value
      - .offset:         136
        .size:           4
        .value_kind:     by_value
      - .offset:         140
        .size:           4
        .value_kind:     by_value
      - .offset:         144
        .size:           4
        .value_kind:     by_value
      - .offset:         152
        .size:           8
        .value_kind:     by_value
      - .offset:         160
        .size:           4
        .value_kind:     by_value
      - .offset:         164
        .size:           4
        .value_kind:     by_value
      - .offset:         168
        .size:           8
        .value_kind:     by_value
      - .offset:         176
        .size:           4
        .value_kind:     by_value
      - .offset:         180
        .size:           4
        .value_kind:     by_value
      - .offset:         184
        .size:           4
        .value_kind:     by_value
      - .offset:         188
        .size:           4
        .value_kind:     by_value
      - .offset:         192
        .size:           4
        .value_kind:     by_value
      - .offset:         200
        .size:           8
        .value_kind:     by_value
      - .offset:         208
        .size:           4
        .value_kind:     hidden_block_count_x
      - .offset:         212
        .size:           4
        .value_kind:     hidden_block_count_y
      - .offset:         216
        .size:           4
        .value_kind:     hidden_block_count_z
      - .offset:         220
        .size:           2
        .value_kind:     hidden_group_size_x
      - .offset:         222
        .size:           2
        .value_kind:     hidden_group_size_y
      - .offset:         224
        .size:           2
        .value_kind:     hidden_group_size_z
      - .offset:         226
        .size:           2
        .value_kind:     hidden_remainder_x
      - .offset:         228
        .size:           2
        .value_kind:     hidden_remainder_y
      - .offset:         230
        .size:           2
        .value_kind:     hidden_remainder_z
      - .offset:         248
        .size:           8
        .value_kind:     hidden_global_offset_x
      - .offset:         256
        .size:           8
        .value_kind:     hidden_global_offset_y
      - .offset:         264
        .size:           8
        .value_kind:     hidden_global_offset_z
      - .offset:         272
        .size:           2
        .value_kind:     hidden_grid_dims
    .group_segment_fixed_size: 20032
    .kernarg_segment_align: 8
    .kernarg_segment_size: 464
    .language:       OpenCL C
    .language_version:
      - 2
      - 0
    .max_flat_workgroup_size: 256
    .name:           _ZL15flash_attn_tileILi256ELi256ELi2ELi1ELb0EEvPKcS1_S1_S1_S1_PKiPfP15HIP_vector_typeIfLj2EEffffjfiS5_IjLj3EEiiiiiiiiiiiliiliiiiil
    .private_segment_fixed_size: 32
    .sgpr_count:     54
    .sgpr_spill_count: 0
    .symbol:         _ZL15flash_attn_tileILi256ELi256ELi2ELi1ELb0EEvPKcS1_S1_S1_S1_PKiPfP15HIP_vector_typeIfLj2EEffffjfiS5_IjLj3EEiiiiiiiiiiiliiliiiiil.kd
    .uniform_work_group_size: 1
    .uses_dynamic_stack: false
    .vgpr_count:     120
    .vgpr_spill_count: 0
    .wavefront_size: 64
  - .agpr_count:     0
    .args:
      - .address_space:  global
        .offset:         0
        .size:           8
        .value_kind:     global_buffer
      - .address_space:  global
        .offset:         8
        .size:           8
        .value_kind:     global_buffer
      - .offset:         16
        .size:           4
        .value_kind:     by_value
      - .offset:         20
        .size:           4
        .value_kind:     by_value
      - .offset:         24
        .size:           4
        .value_kind:     by_value
      - .offset:         28
        .size:           4
        .value_kind:     by_value
      - .offset:         32
        .size:           4
        .value_kind:     by_value
      - .offset:         36
        .size:           4
        .value_kind:     by_value
      - .offset:         40
        .size:           12
        .value_kind:     by_value
      - .offset:         52
        .size:           12
        .value_kind:     by_value
      - .offset:         64
        .size:           12
        .value_kind:     by_value
    .group_segment_fixed_size: 0
    .kernarg_segment_align: 8
    .kernarg_segment_size: 76
    .language:       OpenCL C
    .language_version:
      - 2
      - 0
    .max_flat_workgroup_size: 256
    .name:           _ZL33flash_attn_stream_k_fixup_uniformILi256ELi2ELi1EEvPfPK15HIP_vector_typeIfLj2EEiiiiiiS1_IjLj3EES5_S5_
    .private_segment_fixed_size: 0
    .sgpr_count:     30
    .sgpr_spill_count: 0
    .symbol:         _ZL33flash_attn_stream_k_fixup_uniformILi256ELi2ELi1EEvPfPK15HIP_vector_typeIfLj2EEiiiiiiS1_IjLj3EES5_S5_.kd
    .uniform_work_group_size: 1
    .uses_dynamic_stack: false
    .vgpr_count:     17
    .vgpr_spill_count: 0
    .wavefront_size: 64
  - .agpr_count:     0
    .args:
      - .address_space:  global
        .offset:         0
        .size:           8
        .value_kind:     global_buffer
      - .address_space:  global
        .offset:         8
        .size:           8
        .value_kind:     global_buffer
      - .offset:         16
        .size:           4
        .value_kind:     by_value
      - .offset:         20
        .size:           4
        .value_kind:     by_value
      - .offset:         24
        .size:           4
        .value_kind:     by_value
      - .offset:         28
        .size:           4
        .value_kind:     by_value
      - .offset:         32
        .size:           12
        .value_kind:     by_value
      - .offset:         44
        .size:           12
        .value_kind:     by_value
      - .offset:         56
        .size:           12
        .value_kind:     by_value
      - .offset:         68
        .size:           12
        .value_kind:     by_value
      - .offset:         80
        .size:           4
        .value_kind:     hidden_block_count_x
      - .offset:         84
        .size:           4
        .value_kind:     hidden_block_count_y
      - .offset:         88
        .size:           4
        .value_kind:     hidden_block_count_z
      - .offset:         92
        .size:           2
        .value_kind:     hidden_group_size_x
      - .offset:         94
        .size:           2
        .value_kind:     hidden_group_size_y
      - .offset:         96
        .size:           2
        .value_kind:     hidden_group_size_z
      - .offset:         98
        .size:           2
        .value_kind:     hidden_remainder_x
      - .offset:         100
        .size:           2
        .value_kind:     hidden_remainder_y
      - .offset:         102
        .size:           2
        .value_kind:     hidden_remainder_z
      - .offset:         120
        .size:           8
        .value_kind:     hidden_global_offset_x
      - .offset:         128
        .size:           8
        .value_kind:     hidden_global_offset_y
      - .offset:         136
        .size:           8
        .value_kind:     hidden_global_offset_z
      - .offset:         144
        .size:           2
        .value_kind:     hidden_grid_dims
    .group_segment_fixed_size: 0
    .kernarg_segment_align: 8
    .kernarg_segment_size: 336
    .language:       OpenCL C
    .language_version:
      - 2
      - 0
    .max_flat_workgroup_size: 256
    .name:           _ZL33flash_attn_stream_k_fixup_generalILi256ELi2ELi1EEvPfPK15HIP_vector_typeIfLj2EEiiiiS1_IjLj3EES5_S5_S5_
    .private_segment_fixed_size: 0
    .sgpr_count:     42
    .sgpr_spill_count: 0
    .symbol:         _ZL33flash_attn_stream_k_fixup_generalILi256ELi2ELi1EEvPfPK15HIP_vector_typeIfLj2EEiiiiS1_IjLj3EES5_S5_S5_.kd
    .uniform_work_group_size: 1
    .uses_dynamic_stack: false
    .vgpr_count:     18
    .vgpr_spill_count: 0
    .wavefront_size: 64
  - .agpr_count:     0
    .args:
      - .address_space:  global
        .offset:         0
        .size:           8
        .value_kind:     global_buffer
      - .address_space:  global
        .offset:         8
        .size:           8
        .value_kind:     global_buffer
      - .address_space:  global
        .offset:         16
        .size:           8
        .value_kind:     global_buffer
      - .address_space:  global
        .offset:         24
        .size:           8
        .value_kind:     global_buffer
      - .address_space:  global
        .offset:         32
        .size:           8
        .value_kind:     global_buffer
      - .address_space:  global
        .offset:         40
        .size:           8
        .value_kind:     global_buffer
      - .address_space:  global
        .offset:         48
        .size:           8
        .value_kind:     global_buffer
      - .address_space:  global
        .offset:         56
        .size:           8
        .value_kind:     global_buffer
      - .offset:         64
        .size:           4
        .value_kind:     by_value
      - .offset:         68
        .size:           4
        .value_kind:     by_value
      - .offset:         72
        .size:           4
        .value_kind:     by_value
      - .offset:         76
        .size:           4
        .value_kind:     by_value
      - .offset:         80
        .size:           4
        .value_kind:     by_value
      - .offset:         84
        .size:           4
        .value_kind:     by_value
      - .offset:         88
        .size:           4
        .value_kind:     by_value
      - .offset:         92
        .size:           12
        .value_kind:     by_value
      - .offset:         104
        .size:           4
        .value_kind:     by_value
      - .offset:         108
        .size:           4
        .value_kind:     by_value
      - .offset:         112
        .size:           4
        .value_kind:     by_value
      - .offset:         116
        .size:           4
        .value_kind:     by_value
      - .offset:         120
        .size:           4
        .value_kind:     by_value
      - .offset:         124
        .size:           4
        .value_kind:     by_value
      - .offset:         128
        .size:           4
        .value_kind:     by_value
      - .offset:         132
        .size:           4
        .value_kind:     by_value
      - .offset:         136
        .size:           4
        .value_kind:     by_value
      - .offset:         140
        .size:           4
        .value_kind:     by_value
      - .offset:         144
        .size:           4
        .value_kind:     by_value
      - .offset:         152
        .size:           8
        .value_kind:     by_value
      - .offset:         160
        .size:           4
        .value_kind:     by_value
      - .offset:         164
        .size:           4
        .value_kind:     by_value
      - .offset:         168
        .size:           8
        .value_kind:     by_value
      - .offset:         176
        .size:           4
        .value_kind:     by_value
      - .offset:         180
        .size:           4
        .value_kind:     by_value
      - .offset:         184
        .size:           4
        .value_kind:     by_value
      - .offset:         188
        .size:           4
        .value_kind:     by_value
      - .offset:         192
        .size:           4
        .value_kind:     by_value
      - .offset:         200
        .size:           8
        .value_kind:     by_value
      - .offset:         208
        .size:           4
        .value_kind:     hidden_block_count_x
      - .offset:         212
        .size:           4
        .value_kind:     hidden_block_count_y
      - .offset:         216
        .size:           4
        .value_kind:     hidden_block_count_z
      - .offset:         220
        .size:           2
        .value_kind:     hidden_group_size_x
      - .offset:         222
        .size:           2
        .value_kind:     hidden_group_size_y
      - .offset:         224
        .size:           2
        .value_kind:     hidden_group_size_z
      - .offset:         226
        .size:           2
        .value_kind:     hidden_remainder_x
      - .offset:         228
        .size:           2
        .value_kind:     hidden_remainder_y
      - .offset:         230
        .size:           2
        .value_kind:     hidden_remainder_z
      - .offset:         248
        .size:           8
        .value_kind:     hidden_global_offset_x
      - .offset:         256
        .size:           8
        .value_kind:     hidden_global_offset_y
      - .offset:         264
        .size:           8
        .value_kind:     hidden_global_offset_z
      - .offset:         272
        .size:           2
        .value_kind:     hidden_grid_dims
    .group_segment_fixed_size: 27136
    .kernarg_segment_align: 8
    .kernarg_segment_size: 464
    .language:       OpenCL C
    .language_version:
      - 2
      - 0
    .max_flat_workgroup_size: 256
    .name:           _ZL15flash_attn_tileILi256ELi256ELi4ELi8ELb1EEvPKcS1_S1_S1_S1_PKiPfP15HIP_vector_typeIfLj2EEffffjfiS5_IjLj3EEiiiiiiiiiiiliiliiiiil
    .private_segment_fixed_size: 0
    .sgpr_count:     46
    .sgpr_spill_count: 0
    .symbol:         _ZL15flash_attn_tileILi256ELi256ELi4ELi8ELb1EEvPKcS1_S1_S1_S1_PKiPfP15HIP_vector_typeIfLj2EEffffjfiS5_IjLj3EEiiiiiiiiiiiliiliiiiil.kd
    .uniform_work_group_size: 1
    .uses_dynamic_stack: false
    .vgpr_count:     99
    .vgpr_spill_count: 0
    .wavefront_size: 64
  - .agpr_count:     0
    .args:
      - .address_space:  global
        .offset:         0
        .size:           8
        .value_kind:     global_buffer
      - .address_space:  global
        .offset:         8
        .size:           8
        .value_kind:     global_buffer
      - .address_space:  global
        .offset:         16
        .size:           8
        .value_kind:     global_buffer
      - .address_space:  global
        .offset:         24
        .size:           8
        .value_kind:     global_buffer
      - .address_space:  global
        .offset:         32
        .size:           8
        .value_kind:     global_buffer
      - .address_space:  global
        .offset:         40
        .size:           8
        .value_kind:     global_buffer
      - .address_space:  global
        .offset:         48
        .size:           8
        .value_kind:     global_buffer
      - .address_space:  global
        .offset:         56
        .size:           8
        .value_kind:     global_buffer
      - .offset:         64
        .size:           4
        .value_kind:     by_value
      - .offset:         68
        .size:           4
        .value_kind:     by_value
      - .offset:         72
        .size:           4
        .value_kind:     by_value
      - .offset:         76
        .size:           4
        .value_kind:     by_value
      - .offset:         80
        .size:           4
        .value_kind:     by_value
      - .offset:         84
        .size:           4
        .value_kind:     by_value
      - .offset:         88
        .size:           4
        .value_kind:     by_value
      - .offset:         92
        .size:           12
        .value_kind:     by_value
      - .offset:         104
        .size:           4
        .value_kind:     by_value
      - .offset:         108
        .size:           4
        .value_kind:     by_value
      - .offset:         112
        .size:           4
        .value_kind:     by_value
      - .offset:         116
        .size:           4
        .value_kind:     by_value
      - .offset:         120
        .size:           4
        .value_kind:     by_value
      - .offset:         124
        .size:           4
        .value_kind:     by_value
      - .offset:         128
        .size:           4
        .value_kind:     by_value
      - .offset:         132
        .size:           4
        .value_kind:     by_value
      - .offset:         136
        .size:           4
        .value_kind:     by_value
      - .offset:         140
        .size:           4
        .value_kind:     by_value
      - .offset:         144
        .size:           4
        .value_kind:     by_value
      - .offset:         152
        .size:           8
        .value_kind:     by_value
      - .offset:         160
        .size:           4
        .value_kind:     by_value
      - .offset:         164
        .size:           4
        .value_kind:     by_value
      - .offset:         168
        .size:           8
        .value_kind:     by_value
      - .offset:         176
        .size:           4
        .value_kind:     by_value
      - .offset:         180
        .size:           4
        .value_kind:     by_value
      - .offset:         184
        .size:           4
        .value_kind:     by_value
      - .offset:         188
        .size:           4
        .value_kind:     by_value
      - .offset:         192
        .size:           4
        .value_kind:     by_value
      - .offset:         200
        .size:           8
        .value_kind:     by_value
      - .offset:         208
        .size:           4
        .value_kind:     hidden_block_count_x
      - .offset:         212
        .size:           4
        .value_kind:     hidden_block_count_y
      - .offset:         216
        .size:           4
        .value_kind:     hidden_block_count_z
      - .offset:         220
        .size:           2
        .value_kind:     hidden_group_size_x
      - .offset:         222
        .size:           2
        .value_kind:     hidden_group_size_y
      - .offset:         224
        .size:           2
        .value_kind:     hidden_group_size_z
      - .offset:         226
        .size:           2
        .value_kind:     hidden_remainder_x
      - .offset:         228
        .size:           2
        .value_kind:     hidden_remainder_y
      - .offset:         230
        .size:           2
        .value_kind:     hidden_remainder_z
      - .offset:         248
        .size:           8
        .value_kind:     hidden_global_offset_x
      - .offset:         256
        .size:           8
        .value_kind:     hidden_global_offset_y
      - .offset:         264
        .size:           8
        .value_kind:     hidden_global_offset_z
      - .offset:         272
        .size:           2
        .value_kind:     hidden_grid_dims
    .group_segment_fixed_size: 17920
    .kernarg_segment_align: 8
    .kernarg_segment_size: 464
    .language:       OpenCL C
    .language_version:
      - 2
      - 0
    .max_flat_workgroup_size: 256
    .name:           _ZL15flash_attn_tileILi256ELi256ELi2ELi8ELb1EEvPKcS1_S1_S1_S1_PKiPfP15HIP_vector_typeIfLj2EEffffjfiS5_IjLj3EEiiiiiiiiiiiliiliiiiil
    .private_segment_fixed_size: 0
    .sgpr_count:     46
    .sgpr_spill_count: 0
    .symbol:         _ZL15flash_attn_tileILi256ELi256ELi2ELi8ELb1EEvPKcS1_S1_S1_S1_PKiPfP15HIP_vector_typeIfLj2EEffffjfiS5_IjLj3EEiiiiiiiiiiiliiliiiiil.kd
    .uniform_work_group_size: 1
    .uses_dynamic_stack: false
    .vgpr_count:     102
    .vgpr_spill_count: 0
    .wavefront_size: 64
  - .agpr_count:     0
    .args:
      - .address_space:  global
        .offset:         0
        .size:           8
        .value_kind:     global_buffer
      - .address_space:  global
        .offset:         8
        .size:           8
        .value_kind:     global_buffer
      - .address_space:  global
        .offset:         16
        .size:           8
        .value_kind:     global_buffer
      - .address_space:  global
        .offset:         24
        .size:           8
        .value_kind:     global_buffer
      - .address_space:  global
        .offset:         32
        .size:           8
        .value_kind:     global_buffer
      - .address_space:  global
        .offset:         40
        .size:           8
        .value_kind:     global_buffer
      - .address_space:  global
        .offset:         48
        .size:           8
        .value_kind:     global_buffer
      - .address_space:  global
        .offset:         56
        .size:           8
        .value_kind:     global_buffer
      - .offset:         64
        .size:           4
        .value_kind:     by_value
      - .offset:         68
        .size:           4
        .value_kind:     by_value
      - .offset:         72
        .size:           4
        .value_kind:     by_value
      - .offset:         76
        .size:           4
        .value_kind:     by_value
      - .offset:         80
        .size:           4
        .value_kind:     by_value
      - .offset:         84
        .size:           4
        .value_kind:     by_value
      - .offset:         88
        .size:           4
        .value_kind:     by_value
      - .offset:         92
        .size:           12
        .value_kind:     by_value
      - .offset:         104
        .size:           4
        .value_kind:     by_value
      - .offset:         108
        .size:           4
        .value_kind:     by_value
      - .offset:         112
        .size:           4
        .value_kind:     by_value
      - .offset:         116
        .size:           4
        .value_kind:     by_value
      - .offset:         120
        .size:           4
        .value_kind:     by_value
      - .offset:         124
        .size:           4
        .value_kind:     by_value
      - .offset:         128
        .size:           4
        .value_kind:     by_value
      - .offset:         132
        .size:           4
        .value_kind:     by_value
      - .offset:         136
        .size:           4
        .value_kind:     by_value
      - .offset:         140
        .size:           4
        .value_kind:     by_value
      - .offset:         144
        .size:           4
        .value_kind:     by_value
      - .offset:         152
        .size:           8
        .value_kind:     by_value
      - .offset:         160
        .size:           4
        .value_kind:     by_value
      - .offset:         164
        .size:           4
        .value_kind:     by_value
      - .offset:         168
        .size:           8
        .value_kind:     by_value
      - .offset:         176
        .size:           4
        .value_kind:     by_value
      - .offset:         180
        .size:           4
        .value_kind:     by_value
      - .offset:         184
        .size:           4
        .value_kind:     by_value
      - .offset:         188
        .size:           4
        .value_kind:     by_value
      - .offset:         192
        .size:           4
        .value_kind:     by_value
      - .offset:         200
        .size:           8
        .value_kind:     by_value
      - .offset:         208
        .size:           4
        .value_kind:     hidden_block_count_x
      - .offset:         212
        .size:           4
        .value_kind:     hidden_block_count_y
      - .offset:         216
        .size:           4
        .value_kind:     hidden_block_count_z
      - .offset:         220
        .size:           2
        .value_kind:     hidden_group_size_x
      - .offset:         222
        .size:           2
        .value_kind:     hidden_group_size_y
      - .offset:         224
        .size:           2
        .value_kind:     hidden_group_size_z
      - .offset:         226
        .size:           2
        .value_kind:     hidden_remainder_x
      - .offset:         228
        .size:           2
        .value_kind:     hidden_remainder_y
      - .offset:         230
        .size:           2
        .value_kind:     hidden_remainder_z
      - .offset:         248
        .size:           8
        .value_kind:     hidden_global_offset_x
      - .offset:         256
        .size:           8
        .value_kind:     hidden_global_offset_y
      - .offset:         264
        .size:           8
        .value_kind:     hidden_global_offset_z
      - .offset:         272
        .size:           2
        .value_kind:     hidden_grid_dims
    .group_segment_fixed_size: 22528
    .kernarg_segment_align: 8
    .kernarg_segment_size: 464
    .language:       OpenCL C
    .language_version:
      - 2
      - 0
    .max_flat_workgroup_size: 256
    .name:           _ZL15flash_attn_tileILi256ELi256ELi1ELi8ELb1EEvPKcS1_S1_S1_S1_PKiPfP15HIP_vector_typeIfLj2EEffffjfiS5_IjLj3EEiiiiiiiiiiiliiliiiiil
    .private_segment_fixed_size: 0
    .sgpr_count:     46
    .sgpr_spill_count: 0
    .symbol:         _ZL15flash_attn_tileILi256ELi256ELi1ELi8ELb1EEvPKcS1_S1_S1_S1_PKiPfP15HIP_vector_typeIfLj2EEffffjfiS5_IjLj3EEiiiiiiiiiiiliiliiiiil.kd
    .uniform_work_group_size: 1
    .uses_dynamic_stack: false
    .vgpr_count:     115
    .vgpr_spill_count: 0
    .wavefront_size: 64
  - .agpr_count:     0
    .args:
      - .address_space:  global
        .offset:         0
        .size:           8
        .value_kind:     global_buffer
      - .address_space:  global
        .offset:         8
        .size:           8
        .value_kind:     global_buffer
      - .address_space:  global
        .offset:         16
        .size:           8
        .value_kind:     global_buffer
      - .address_space:  global
        .offset:         24
        .size:           8
        .value_kind:     global_buffer
      - .address_space:  global
        .offset:         32
        .size:           8
        .value_kind:     global_buffer
      - .address_space:  global
        .offset:         40
        .size:           8
        .value_kind:     global_buffer
      - .address_space:  global
        .offset:         48
        .size:           8
        .value_kind:     global_buffer
      - .address_space:  global
        .offset:         56
        .size:           8
        .value_kind:     global_buffer
      - .offset:         64
        .size:           4
        .value_kind:     by_value
      - .offset:         68
        .size:           4
        .value_kind:     by_value
      - .offset:         72
        .size:           4
        .value_kind:     by_value
      - .offset:         76
        .size:           4
        .value_kind:     by_value
      - .offset:         80
        .size:           4
        .value_kind:     by_value
      - .offset:         84
        .size:           4
        .value_kind:     by_value
      - .offset:         88
        .size:           4
        .value_kind:     by_value
      - .offset:         92
        .size:           12
        .value_kind:     by_value
      - .offset:         104
        .size:           4
        .value_kind:     by_value
      - .offset:         108
        .size:           4
        .value_kind:     by_value
      - .offset:         112
        .size:           4
        .value_kind:     by_value
      - .offset:         116
        .size:           4
        .value_kind:     by_value
      - .offset:         120
        .size:           4
        .value_kind:     by_value
      - .offset:         124
        .size:           4
        .value_kind:     by_value
      - .offset:         128
        .size:           4
        .value_kind:     by_value
      - .offset:         132
        .size:           4
        .value_kind:     by_value
      - .offset:         136
        .size:           4
        .value_kind:     by_value
      - .offset:         140
        .size:           4
        .value_kind:     by_value
      - .offset:         144
        .size:           4
        .value_kind:     by_value
      - .offset:         152
        .size:           8
        .value_kind:     by_value
      - .offset:         160
        .size:           4
        .value_kind:     by_value
      - .offset:         164
        .size:           4
        .value_kind:     by_value
      - .offset:         168
        .size:           8
        .value_kind:     by_value
      - .offset:         176
        .size:           4
        .value_kind:     by_value
      - .offset:         180
        .size:           4
        .value_kind:     by_value
      - .offset:         184
        .size:           4
        .value_kind:     by_value
      - .offset:         188
        .size:           4
        .value_kind:     by_value
      - .offset:         192
        .size:           4
        .value_kind:     by_value
      - .offset:         200
        .size:           8
        .value_kind:     by_value
      - .offset:         208
        .size:           4
        .value_kind:     hidden_block_count_x
      - .offset:         212
        .size:           4
        .value_kind:     hidden_block_count_y
      - .offset:         216
        .size:           4
        .value_kind:     hidden_block_count_z
      - .offset:         220
        .size:           2
        .value_kind:     hidden_group_size_x
      - .offset:         222
        .size:           2
        .value_kind:     hidden_group_size_y
      - .offset:         224
        .size:           2
        .value_kind:     hidden_group_size_z
      - .offset:         226
        .size:           2
        .value_kind:     hidden_remainder_x
      - .offset:         228
        .size:           2
        .value_kind:     hidden_remainder_y
      - .offset:         230
        .size:           2
        .value_kind:     hidden_remainder_z
      - .offset:         248
        .size:           8
        .value_kind:     hidden_global_offset_x
      - .offset:         256
        .size:           8
        .value_kind:     hidden_global_offset_y
      - .offset:         264
        .size:           8
        .value_kind:     hidden_global_offset_z
      - .offset:         272
        .size:           2
        .value_kind:     hidden_grid_dims
    .group_segment_fixed_size: 27136
    .kernarg_segment_align: 8
    .kernarg_segment_size: 464
    .language:       OpenCL C
    .language_version:
      - 2
      - 0
    .max_flat_workgroup_size: 256
    .name:           _ZL15flash_attn_tileILi256ELi256ELi8ELi4ELb1EEvPKcS1_S1_S1_S1_PKiPfP15HIP_vector_typeIfLj2EEffffjfiS5_IjLj3EEiiiiiiiiiiiliiliiiiil
    .private_segment_fixed_size: 0
    .sgpr_count:     46
    .sgpr_spill_count: 0
    .symbol:         _ZL15flash_attn_tileILi256ELi256ELi8ELi4ELb1EEvPKcS1_S1_S1_S1_PKiPfP15HIP_vector_typeIfLj2EEffffjfiS5_IjLj3EEiiiiiiiiiiiliiliiiiil.kd
    .uniform_work_group_size: 1
    .uses_dynamic_stack: false
    .vgpr_count:     98
    .vgpr_spill_count: 0
    .wavefront_size: 64
  - .agpr_count:     0
    .args:
      - .address_space:  global
        .offset:         0
        .size:           8
        .value_kind:     global_buffer
      - .address_space:  global
        .offset:         8
        .size:           8
        .value_kind:     global_buffer
      - .address_space:  global
        .offset:         16
        .size:           8
        .value_kind:     global_buffer
      - .address_space:  global
        .offset:         24
        .size:           8
        .value_kind:     global_buffer
      - .address_space:  global
        .offset:         32
        .size:           8
        .value_kind:     global_buffer
      - .address_space:  global
        .offset:         40
        .size:           8
        .value_kind:     global_buffer
      - .address_space:  global
        .offset:         48
        .size:           8
        .value_kind:     global_buffer
      - .address_space:  global
        .offset:         56
        .size:           8
        .value_kind:     global_buffer
      - .offset:         64
        .size:           4
        .value_kind:     by_value
      - .offset:         68
        .size:           4
        .value_kind:     by_value
      - .offset:         72
        .size:           4
        .value_kind:     by_value
      - .offset:         76
        .size:           4
        .value_kind:     by_value
      - .offset:         80
        .size:           4
        .value_kind:     by_value
      - .offset:         84
        .size:           4
        .value_kind:     by_value
      - .offset:         88
        .size:           4
        .value_kind:     by_value
      - .offset:         92
        .size:           12
        .value_kind:     by_value
      - .offset:         104
        .size:           4
        .value_kind:     by_value
      - .offset:         108
        .size:           4
        .value_kind:     by_value
      - .offset:         112
        .size:           4
        .value_kind:     by_value
      - .offset:         116
        .size:           4
        .value_kind:     by_value
      - .offset:         120
        .size:           4
        .value_kind:     by_value
      - .offset:         124
        .size:           4
        .value_kind:     by_value
      - .offset:         128
        .size:           4
        .value_kind:     by_value
      - .offset:         132
        .size:           4
        .value_kind:     by_value
      - .offset:         136
        .size:           4
        .value_kind:     by_value
      - .offset:         140
        .size:           4
        .value_kind:     by_value
      - .offset:         144
        .size:           4
        .value_kind:     by_value
      - .offset:         152
        .size:           8
        .value_kind:     by_value
      - .offset:         160
        .size:           4
        .value_kind:     by_value
      - .offset:         164
        .size:           4
        .value_kind:     by_value
      - .offset:         168
        .size:           8
        .value_kind:     by_value
      - .offset:         176
        .size:           4
        .value_kind:     by_value
      - .offset:         180
        .size:           4
        .value_kind:     by_value
      - .offset:         184
        .size:           4
        .value_kind:     by_value
      - .offset:         188
        .size:           4
        .value_kind:     by_value
      - .offset:         192
        .size:           4
        .value_kind:     by_value
      - .offset:         200
        .size:           8
        .value_kind:     by_value
      - .offset:         208
        .size:           4
        .value_kind:     hidden_block_count_x
      - .offset:         212
        .size:           4
        .value_kind:     hidden_block_count_y
      - .offset:         216
        .size:           4
        .value_kind:     hidden_block_count_z
      - .offset:         220
        .size:           2
        .value_kind:     hidden_group_size_x
      - .offset:         222
        .size:           2
        .value_kind:     hidden_group_size_y
      - .offset:         224
        .size:           2
        .value_kind:     hidden_group_size_z
      - .offset:         226
        .size:           2
        .value_kind:     hidden_remainder_x
      - .offset:         228
        .size:           2
        .value_kind:     hidden_remainder_y
      - .offset:         230
        .size:           2
        .value_kind:     hidden_remainder_z
      - .offset:         248
        .size:           8
        .value_kind:     hidden_global_offset_x
      - .offset:         256
        .size:           8
        .value_kind:     hidden_global_offset_y
      - .offset:         264
        .size:           8
        .value_kind:     hidden_global_offset_z
      - .offset:         272
        .size:           2
        .value_kind:     hidden_grid_dims
    .group_segment_fixed_size: 17920
    .kernarg_segment_align: 8
    .kernarg_segment_size: 464
    .language:       OpenCL C
    .language_version:
      - 2
      - 0
    .max_flat_workgroup_size: 256
    .name:           _ZL15flash_attn_tileILi256ELi256ELi4ELi4ELb1EEvPKcS1_S1_S1_S1_PKiPfP15HIP_vector_typeIfLj2EEffffjfiS5_IjLj3EEiiiiiiiiiiiliiliiiiil
    .private_segment_fixed_size: 0
    .sgpr_count:     46
    .sgpr_spill_count: 0
    .symbol:         _ZL15flash_attn_tileILi256ELi256ELi4ELi4ELb1EEvPKcS1_S1_S1_S1_PKiPfP15HIP_vector_typeIfLj2EEffffjfiS5_IjLj3EEiiiiiiiiiiiliiliiiiil.kd
    .uniform_work_group_size: 1
    .uses_dynamic_stack: false
    .vgpr_count:     102
    .vgpr_spill_count: 0
    .wavefront_size: 64
  - .agpr_count:     0
    .args:
      - .address_space:  global
        .offset:         0
        .size:           8
        .value_kind:     global_buffer
      - .address_space:  global
        .offset:         8
        .size:           8
        .value_kind:     global_buffer
      - .address_space:  global
        .offset:         16
        .size:           8
        .value_kind:     global_buffer
      - .address_space:  global
        .offset:         24
        .size:           8
        .value_kind:     global_buffer
      - .address_space:  global
        .offset:         32
        .size:           8
        .value_kind:     global_buffer
      - .address_space:  global
        .offset:         40
        .size:           8
        .value_kind:     global_buffer
      - .address_space:  global
        .offset:         48
        .size:           8
        .value_kind:     global_buffer
      - .address_space:  global
        .offset:         56
        .size:           8
        .value_kind:     global_buffer
      - .offset:         64
        .size:           4
        .value_kind:     by_value
      - .offset:         68
        .size:           4
        .value_kind:     by_value
      - .offset:         72
        .size:           4
        .value_kind:     by_value
      - .offset:         76
        .size:           4
        .value_kind:     by_value
      - .offset:         80
        .size:           4
        .value_kind:     by_value
      - .offset:         84
        .size:           4
        .value_kind:     by_value
      - .offset:         88
        .size:           4
        .value_kind:     by_value
      - .offset:         92
        .size:           12
        .value_kind:     by_value
      - .offset:         104
        .size:           4
        .value_kind:     by_value
      - .offset:         108
        .size:           4
        .value_kind:     by_value
      - .offset:         112
        .size:           4
        .value_kind:     by_value
      - .offset:         116
        .size:           4
        .value_kind:     by_value
      - .offset:         120
        .size:           4
        .value_kind:     by_value
      - .offset:         124
        .size:           4
        .value_kind:     by_value
      - .offset:         128
        .size:           4
        .value_kind:     by_value
      - .offset:         132
        .size:           4
        .value_kind:     by_value
      - .offset:         136
        .size:           4
        .value_kind:     by_value
      - .offset:         140
        .size:           4
        .value_kind:     by_value
      - .offset:         144
        .size:           4
        .value_kind:     by_value
      - .offset:         152
        .size:           8
        .value_kind:     by_value
      - .offset:         160
        .size:           4
        .value_kind:     by_value
      - .offset:         164
        .size:           4
        .value_kind:     by_value
      - .offset:         168
        .size:           8
        .value_kind:     by_value
      - .offset:         176
        .size:           4
        .value_kind:     by_value
      - .offset:         180
        .size:           4
        .value_kind:     by_value
      - .offset:         184
        .size:           4
        .value_kind:     by_value
      - .offset:         188
        .size:           4
        .value_kind:     by_value
      - .offset:         192
        .size:           4
        .value_kind:     by_value
      - .offset:         200
        .size:           8
        .value_kind:     by_value
      - .offset:         208
        .size:           4
        .value_kind:     hidden_block_count_x
      - .offset:         212
        .size:           4
        .value_kind:     hidden_block_count_y
      - .offset:         216
        .size:           4
        .value_kind:     hidden_block_count_z
      - .offset:         220
        .size:           2
        .value_kind:     hidden_group_size_x
      - .offset:         222
        .size:           2
        .value_kind:     hidden_group_size_y
      - .offset:         224
        .size:           2
        .value_kind:     hidden_group_size_z
      - .offset:         226
        .size:           2
        .value_kind:     hidden_remainder_x
      - .offset:         228
        .size:           2
        .value_kind:     hidden_remainder_y
      - .offset:         230
        .size:           2
        .value_kind:     hidden_remainder_z
      - .offset:         248
        .size:           8
        .value_kind:     hidden_global_offset_x
      - .offset:         256
        .size:           8
        .value_kind:     hidden_global_offset_y
      - .offset:         264
        .size:           8
        .value_kind:     hidden_global_offset_z
      - .offset:         272
        .size:           2
        .value_kind:     hidden_grid_dims
    .group_segment_fixed_size: 22528
    .kernarg_segment_align: 8
    .kernarg_segment_size: 464
    .language:       OpenCL C
    .language_version:
      - 2
      - 0
    .max_flat_workgroup_size: 256
    .name:           _ZL15flash_attn_tileILi256ELi256ELi2ELi4ELb1EEvPKcS1_S1_S1_S1_PKiPfP15HIP_vector_typeIfLj2EEffffjfiS5_IjLj3EEiiiiiiiiiiiliiliiiiil
    .private_segment_fixed_size: 0
    .sgpr_count:     46
    .sgpr_spill_count: 0
    .symbol:         _ZL15flash_attn_tileILi256ELi256ELi2ELi4ELb1EEvPKcS1_S1_S1_S1_PKiPfP15HIP_vector_typeIfLj2EEffffjfiS5_IjLj3EEiiiiiiiiiiiliiliiiiil.kd
    .uniform_work_group_size: 1
    .uses_dynamic_stack: false
    .vgpr_count:     115
    .vgpr_spill_count: 0
    .wavefront_size: 64
  - .agpr_count:     0
    .args:
      - .address_space:  global
        .offset:         0
        .size:           8
        .value_kind:     global_buffer
      - .address_space:  global
        .offset:         8
        .size:           8
        .value_kind:     global_buffer
      - .address_space:  global
        .offset:         16
        .size:           8
        .value_kind:     global_buffer
      - .address_space:  global
        .offset:         24
        .size:           8
        .value_kind:     global_buffer
      - .address_space:  global
        .offset:         32
        .size:           8
        .value_kind:     global_buffer
      - .address_space:  global
        .offset:         40
        .size:           8
        .value_kind:     global_buffer
      - .address_space:  global
        .offset:         48
        .size:           8
        .value_kind:     global_buffer
      - .address_space:  global
        .offset:         56
        .size:           8
        .value_kind:     global_buffer
      - .offset:         64
        .size:           4
        .value_kind:     by_value
      - .offset:         68
        .size:           4
        .value_kind:     by_value
      - .offset:         72
        .size:           4
        .value_kind:     by_value
      - .offset:         76
        .size:           4
        .value_kind:     by_value
      - .offset:         80
        .size:           4
        .value_kind:     by_value
      - .offset:         84
        .size:           4
        .value_kind:     by_value
      - .offset:         88
        .size:           4
        .value_kind:     by_value
      - .offset:         92
        .size:           12
        .value_kind:     by_value
      - .offset:         104
        .size:           4
        .value_kind:     by_value
      - .offset:         108
        .size:           4
        .value_kind:     by_value
      - .offset:         112
        .size:           4
        .value_kind:     by_value
      - .offset:         116
        .size:           4
        .value_kind:     by_value
      - .offset:         120
        .size:           4
        .value_kind:     by_value
      - .offset:         124
        .size:           4
        .value_kind:     by_value
      - .offset:         128
        .size:           4
        .value_kind:     by_value
      - .offset:         132
        .size:           4
        .value_kind:     by_value
      - .offset:         136
        .size:           4
        .value_kind:     by_value
      - .offset:         140
        .size:           4
        .value_kind:     by_value
      - .offset:         144
        .size:           4
        .value_kind:     by_value
      - .offset:         152
        .size:           8
        .value_kind:     by_value
      - .offset:         160
        .size:           4
        .value_kind:     by_value
      - .offset:         164
        .size:           4
        .value_kind:     by_value
      - .offset:         168
        .size:           8
        .value_kind:     by_value
      - .offset:         176
        .size:           4
        .value_kind:     by_value
      - .offset:         180
        .size:           4
        .value_kind:     by_value
      - .offset:         184
        .size:           4
        .value_kind:     by_value
      - .offset:         188
        .size:           4
        .value_kind:     by_value
      - .offset:         192
        .size:           4
        .value_kind:     by_value
      - .offset:         200
        .size:           8
        .value_kind:     by_value
      - .offset:         208
        .size:           4
        .value_kind:     hidden_block_count_x
      - .offset:         212
        .size:           4
        .value_kind:     hidden_block_count_y
      - .offset:         216
        .size:           4
        .value_kind:     hidden_block_count_z
      - .offset:         220
        .size:           2
        .value_kind:     hidden_group_size_x
      - .offset:         222
        .size:           2
        .value_kind:     hidden_group_size_y
      - .offset:         224
        .size:           2
        .value_kind:     hidden_group_size_z
      - .offset:         226
        .size:           2
        .value_kind:     hidden_remainder_x
      - .offset:         228
        .size:           2
        .value_kind:     hidden_remainder_y
      - .offset:         230
        .size:           2
        .value_kind:     hidden_remainder_z
      - .offset:         248
        .size:           8
        .value_kind:     hidden_global_offset_x
      - .offset:         256
        .size:           8
        .value_kind:     hidden_global_offset_y
      - .offset:         264
        .size:           8
        .value_kind:     hidden_global_offset_z
      - .offset:         272
        .size:           2
        .value_kind:     hidden_grid_dims
    .group_segment_fixed_size: 20000
    .kernarg_segment_align: 8
    .kernarg_segment_size: 464
    .language:       OpenCL C
    .language_version:
      - 2
      - 0
    .max_flat_workgroup_size: 256
    .name:           _ZL15flash_attn_tileILi256ELi256ELi1ELi4ELb1EEvPKcS1_S1_S1_S1_PKiPfP15HIP_vector_typeIfLj2EEffffjfiS5_IjLj3EEiiiiiiiiiiiliiliiiiil
    .private_segment_fixed_size: 0
    .sgpr_count:     50
    .sgpr_spill_count: 0
    .symbol:         _ZL15flash_attn_tileILi256ELi256ELi1ELi4ELb1EEvPKcS1_S1_S1_S1_PKiPfP15HIP_vector_typeIfLj2EEffffjfiS5_IjLj3EEiiiiiiiiiiiliiliiiiil.kd
    .uniform_work_group_size: 1
    .uses_dynamic_stack: false
    .vgpr_count:     117
    .vgpr_spill_count: 0
    .wavefront_size: 64
  - .agpr_count:     0
    .args:
      - .address_space:  global
        .offset:         0
        .size:           8
        .value_kind:     global_buffer
      - .address_space:  global
        .offset:         8
        .size:           8
        .value_kind:     global_buffer
      - .address_space:  global
        .offset:         16
        .size:           8
        .value_kind:     global_buffer
      - .address_space:  global
        .offset:         24
        .size:           8
        .value_kind:     global_buffer
      - .address_space:  global
        .offset:         32
        .size:           8
        .value_kind:     global_buffer
      - .address_space:  global
        .offset:         40
        .size:           8
        .value_kind:     global_buffer
      - .address_space:  global
        .offset:         48
        .size:           8
        .value_kind:     global_buffer
      - .address_space:  global
        .offset:         56
        .size:           8
        .value_kind:     global_buffer
      - .offset:         64
        .size:           4
        .value_kind:     by_value
      - .offset:         68
        .size:           4
        .value_kind:     by_value
      - .offset:         72
        .size:           4
        .value_kind:     by_value
      - .offset:         76
        .size:           4
        .value_kind:     by_value
      - .offset:         80
        .size:           4
        .value_kind:     by_value
      - .offset:         84
        .size:           4
        .value_kind:     by_value
      - .offset:         88
        .size:           4
        .value_kind:     by_value
      - .offset:         92
        .size:           12
        .value_kind:     by_value
      - .offset:         104
        .size:           4
        .value_kind:     by_value
      - .offset:         108
        .size:           4
        .value_kind:     by_value
      - .offset:         112
        .size:           4
        .value_kind:     by_value
      - .offset:         116
        .size:           4
        .value_kind:     by_value
      - .offset:         120
        .size:           4
        .value_kind:     by_value
      - .offset:         124
        .size:           4
        .value_kind:     by_value
      - .offset:         128
        .size:           4
        .value_kind:     by_value
      - .offset:         132
        .size:           4
        .value_kind:     by_value
      - .offset:         136
        .size:           4
        .value_kind:     by_value
      - .offset:         140
        .size:           4
        .value_kind:     by_value
      - .offset:         144
        .size:           4
        .value_kind:     by_value
      - .offset:         152
        .size:           8
        .value_kind:     by_value
      - .offset:         160
        .size:           4
        .value_kind:     by_value
      - .offset:         164
        .size:           4
        .value_kind:     by_value
      - .offset:         168
        .size:           8
        .value_kind:     by_value
      - .offset:         176
        .size:           4
        .value_kind:     by_value
      - .offset:         180
        .size:           4
        .value_kind:     by_value
      - .offset:         184
        .size:           4
        .value_kind:     by_value
      - .offset:         188
        .size:           4
        .value_kind:     by_value
      - .offset:         192
        .size:           4
        .value_kind:     by_value
      - .offset:         200
        .size:           8
        .value_kind:     by_value
      - .offset:         208
        .size:           4
        .value_kind:     hidden_block_count_x
      - .offset:         212
        .size:           4
        .value_kind:     hidden_block_count_y
      - .offset:         216
        .size:           4
        .value_kind:     hidden_block_count_z
      - .offset:         220
        .size:           2
        .value_kind:     hidden_group_size_x
      - .offset:         222
        .size:           2
        .value_kind:     hidden_group_size_y
      - .offset:         224
        .size:           2
        .value_kind:     hidden_group_size_z
      - .offset:         226
        .size:           2
        .value_kind:     hidden_remainder_x
      - .offset:         228
        .size:           2
        .value_kind:     hidden_remainder_y
      - .offset:         230
        .size:           2
        .value_kind:     hidden_remainder_z
      - .offset:         248
        .size:           8
        .value_kind:     hidden_global_offset_x
      - .offset:         256
        .size:           8
        .value_kind:     hidden_global_offset_y
      - .offset:         264
        .size:           8
        .value_kind:     hidden_global_offset_z
      - .offset:         272
        .size:           2
        .value_kind:     hidden_grid_dims
    .group_segment_fixed_size: 27136
    .kernarg_segment_align: 8
    .kernarg_segment_size: 464
    .language:       OpenCL C
    .language_version:
      - 2
      - 0
    .max_flat_workgroup_size: 256
    .name:           _ZL15flash_attn_tileILi256ELi256ELi16ELi2ELb1EEvPKcS1_S1_S1_S1_PKiPfP15HIP_vector_typeIfLj2EEffffjfiS5_IjLj3EEiiiiiiiiiiiliiliiiiil
    .private_segment_fixed_size: 0
    .sgpr_count:     50
    .sgpr_spill_count: 0
    .symbol:         _ZL15flash_attn_tileILi256ELi256ELi16ELi2ELb1EEvPKcS1_S1_S1_S1_PKiPfP15HIP_vector_typeIfLj2EEffffjfiS5_IjLj3EEiiiiiiiiiiiliiliiiiil.kd
    .uniform_work_group_size: 1
    .uses_dynamic_stack: false
    .vgpr_count:     104
    .vgpr_spill_count: 0
    .wavefront_size: 64
  - .agpr_count:     0
    .args:
      - .address_space:  global
        .offset:         0
        .size:           8
        .value_kind:     global_buffer
      - .address_space:  global
        .offset:         8
        .size:           8
        .value_kind:     global_buffer
      - .address_space:  global
        .offset:         16
        .size:           8
        .value_kind:     global_buffer
      - .address_space:  global
        .offset:         24
        .size:           8
        .value_kind:     global_buffer
      - .address_space:  global
        .offset:         32
        .size:           8
        .value_kind:     global_buffer
      - .address_space:  global
        .offset:         40
        .size:           8
        .value_kind:     global_buffer
      - .address_space:  global
        .offset:         48
        .size:           8
        .value_kind:     global_buffer
      - .address_space:  global
        .offset:         56
        .size:           8
        .value_kind:     global_buffer
      - .offset:         64
        .size:           4
        .value_kind:     by_value
      - .offset:         68
        .size:           4
        .value_kind:     by_value
      - .offset:         72
        .size:           4
        .value_kind:     by_value
      - .offset:         76
        .size:           4
        .value_kind:     by_value
      - .offset:         80
        .size:           4
        .value_kind:     by_value
      - .offset:         84
        .size:           4
        .value_kind:     by_value
      - .offset:         88
        .size:           4
        .value_kind:     by_value
      - .offset:         92
        .size:           12
        .value_kind:     by_value
      - .offset:         104
        .size:           4
        .value_kind:     by_value
      - .offset:         108
        .size:           4
        .value_kind:     by_value
      - .offset:         112
        .size:           4
        .value_kind:     by_value
      - .offset:         116
        .size:           4
        .value_kind:     by_value
      - .offset:         120
        .size:           4
        .value_kind:     by_value
      - .offset:         124
        .size:           4
        .value_kind:     by_value
      - .offset:         128
        .size:           4
        .value_kind:     by_value
      - .offset:         132
        .size:           4
        .value_kind:     by_value
      - .offset:         136
        .size:           4
        .value_kind:     by_value
      - .offset:         140
        .size:           4
        .value_kind:     by_value
      - .offset:         144
        .size:           4
        .value_kind:     by_value
      - .offset:         152
        .size:           8
        .value_kind:     by_value
      - .offset:         160
        .size:           4
        .value_kind:     by_value
      - .offset:         164
        .size:           4
        .value_kind:     by_value
      - .offset:         168
        .size:           8
        .value_kind:     by_value
      - .offset:         176
        .size:           4
        .value_kind:     by_value
      - .offset:         180
        .size:           4
        .value_kind:     by_value
      - .offset:         184
        .size:           4
        .value_kind:     by_value
      - .offset:         188
        .size:           4
        .value_kind:     by_value
      - .offset:         192
        .size:           4
        .value_kind:     by_value
      - .offset:         200
        .size:           8
        .value_kind:     by_value
      - .offset:         208
        .size:           4
        .value_kind:     hidden_block_count_x
      - .offset:         212
        .size:           4
        .value_kind:     hidden_block_count_y
      - .offset:         216
        .size:           4
        .value_kind:     hidden_block_count_z
      - .offset:         220
        .size:           2
        .value_kind:     hidden_group_size_x
      - .offset:         222
        .size:           2
        .value_kind:     hidden_group_size_y
      - .offset:         224
        .size:           2
        .value_kind:     hidden_group_size_z
      - .offset:         226
        .size:           2
        .value_kind:     hidden_remainder_x
      - .offset:         228
        .size:           2
        .value_kind:     hidden_remainder_y
      - .offset:         230
        .size:           2
        .value_kind:     hidden_remainder_z
      - .offset:         248
        .size:           8
        .value_kind:     hidden_global_offset_x
      - .offset:         256
        .size:           8
        .value_kind:     hidden_global_offset_y
      - .offset:         264
        .size:           8
        .value_kind:     hidden_global_offset_z
      - .offset:         272
        .size:           2
        .value_kind:     hidden_grid_dims
    .group_segment_fixed_size: 17920
    .kernarg_segment_align: 8
    .kernarg_segment_size: 464
    .language:       OpenCL C
    .language_version:
      - 2
      - 0
    .max_flat_workgroup_size: 256
    .name:           _ZL15flash_attn_tileILi256ELi256ELi8ELi2ELb1EEvPKcS1_S1_S1_S1_PKiPfP15HIP_vector_typeIfLj2EEffffjfiS5_IjLj3EEiiiiiiiiiiiliiliiiiil
    .private_segment_fixed_size: 0
    .sgpr_count:     46
    .sgpr_spill_count: 0
    .symbol:         _ZL15flash_attn_tileILi256ELi256ELi8ELi2ELb1EEvPKcS1_S1_S1_S1_PKiPfP15HIP_vector_typeIfLj2EEffffjfiS5_IjLj3EEiiiiiiiiiiiliiliiiiil.kd
    .uniform_work_group_size: 1
    .uses_dynamic_stack: false
    .vgpr_count:     101
    .vgpr_spill_count: 0
    .wavefront_size: 64
  - .agpr_count:     0
    .args:
      - .address_space:  global
        .offset:         0
        .size:           8
        .value_kind:     global_buffer
      - .address_space:  global
        .offset:         8
        .size:           8
        .value_kind:     global_buffer
      - .address_space:  global
        .offset:         16
        .size:           8
        .value_kind:     global_buffer
      - .address_space:  global
        .offset:         24
        .size:           8
        .value_kind:     global_buffer
      - .address_space:  global
        .offset:         32
        .size:           8
        .value_kind:     global_buffer
      - .address_space:  global
        .offset:         40
        .size:           8
        .value_kind:     global_buffer
      - .address_space:  global
        .offset:         48
        .size:           8
        .value_kind:     global_buffer
      - .address_space:  global
        .offset:         56
        .size:           8
        .value_kind:     global_buffer
      - .offset:         64
        .size:           4
        .value_kind:     by_value
      - .offset:         68
        .size:           4
        .value_kind:     by_value
      - .offset:         72
        .size:           4
        .value_kind:     by_value
      - .offset:         76
        .size:           4
        .value_kind:     by_value
      - .offset:         80
        .size:           4
        .value_kind:     by_value
      - .offset:         84
        .size:           4
        .value_kind:     by_value
      - .offset:         88
        .size:           4
        .value_kind:     by_value
      - .offset:         92
        .size:           12
        .value_kind:     by_value
      - .offset:         104
        .size:           4
        .value_kind:     by_value
      - .offset:         108
        .size:           4
        .value_kind:     by_value
      - .offset:         112
        .size:           4
        .value_kind:     by_value
      - .offset:         116
        .size:           4
        .value_kind:     by_value
      - .offset:         120
        .size:           4
        .value_kind:     by_value
      - .offset:         124
        .size:           4
        .value_kind:     by_value
      - .offset:         128
        .size:           4
        .value_kind:     by_value
      - .offset:         132
        .size:           4
        .value_kind:     by_value
      - .offset:         136
        .size:           4
        .value_kind:     by_value
      - .offset:         140
        .size:           4
        .value_kind:     by_value
      - .offset:         144
        .size:           4
        .value_kind:     by_value
      - .offset:         152
        .size:           8
        .value_kind:     by_value
      - .offset:         160
        .size:           4
        .value_kind:     by_value
      - .offset:         164
        .size:           4
        .value_kind:     by_value
      - .offset:         168
        .size:           8
        .value_kind:     by_value
      - .offset:         176
        .size:           4
        .value_kind:     by_value
      - .offset:         180
        .size:           4
        .value_kind:     by_value
      - .offset:         184
        .size:           4
        .value_kind:     by_value
      - .offset:         188
        .size:           4
        .value_kind:     by_value
      - .offset:         192
        .size:           4
        .value_kind:     by_value
      - .offset:         200
        .size:           8
        .value_kind:     by_value
      - .offset:         208
        .size:           4
        .value_kind:     hidden_block_count_x
      - .offset:         212
        .size:           4
        .value_kind:     hidden_block_count_y
      - .offset:         216
        .size:           4
        .value_kind:     hidden_block_count_z
      - .offset:         220
        .size:           2
        .value_kind:     hidden_group_size_x
      - .offset:         222
        .size:           2
        .value_kind:     hidden_group_size_y
      - .offset:         224
        .size:           2
        .value_kind:     hidden_group_size_z
      - .offset:         226
        .size:           2
        .value_kind:     hidden_remainder_x
      - .offset:         228
        .size:           2
        .value_kind:     hidden_remainder_y
      - .offset:         230
        .size:           2
        .value_kind:     hidden_remainder_z
      - .offset:         248
        .size:           8
        .value_kind:     hidden_global_offset_x
      - .offset:         256
        .size:           8
        .value_kind:     hidden_global_offset_y
      - .offset:         264
        .size:           8
        .value_kind:     hidden_global_offset_z
      - .offset:         272
        .size:           2
        .value_kind:     hidden_grid_dims
    .group_segment_fixed_size: 22528
    .kernarg_segment_align: 8
    .kernarg_segment_size: 464
    .language:       OpenCL C
    .language_version:
      - 2
      - 0
    .max_flat_workgroup_size: 256
    .name:           _ZL15flash_attn_tileILi256ELi256ELi4ELi2ELb1EEvPKcS1_S1_S1_S1_PKiPfP15HIP_vector_typeIfLj2EEffffjfiS5_IjLj3EEiiiiiiiiiiiliiliiiiil
    .private_segment_fixed_size: 0
    .sgpr_count:     46
    .sgpr_spill_count: 0
    .symbol:         _ZL15flash_attn_tileILi256ELi256ELi4ELi2ELb1EEvPKcS1_S1_S1_S1_PKiPfP15HIP_vector_typeIfLj2EEffffjfiS5_IjLj3EEiiiiiiiiiiiliiliiiiil.kd
    .uniform_work_group_size: 1
    .uses_dynamic_stack: false
    .vgpr_count:     115
    .vgpr_spill_count: 0
    .wavefront_size: 64
  - .agpr_count:     0
    .args:
      - .address_space:  global
        .offset:         0
        .size:           8
        .value_kind:     global_buffer
      - .address_space:  global
        .offset:         8
        .size:           8
        .value_kind:     global_buffer
      - .address_space:  global
        .offset:         16
        .size:           8
        .value_kind:     global_buffer
      - .address_space:  global
        .offset:         24
        .size:           8
        .value_kind:     global_buffer
      - .address_space:  global
        .offset:         32
        .size:           8
        .value_kind:     global_buffer
      - .address_space:  global
        .offset:         40
        .size:           8
        .value_kind:     global_buffer
      - .address_space:  global
        .offset:         48
        .size:           8
        .value_kind:     global_buffer
      - .address_space:  global
        .offset:         56
        .size:           8
        .value_kind:     global_buffer
      - .offset:         64
        .size:           4
        .value_kind:     by_value
      - .offset:         68
        .size:           4
        .value_kind:     by_value
      - .offset:         72
        .size:           4
        .value_kind:     by_value
      - .offset:         76
        .size:           4
        .value_kind:     by_value
      - .offset:         80
        .size:           4
        .value_kind:     by_value
      - .offset:         84
        .size:           4
        .value_kind:     by_value
      - .offset:         88
        .size:           4
        .value_kind:     by_value
      - .offset:         92
        .size:           12
        .value_kind:     by_value
      - .offset:         104
        .size:           4
        .value_kind:     by_value
      - .offset:         108
        .size:           4
        .value_kind:     by_value
      - .offset:         112
        .size:           4
        .value_kind:     by_value
      - .offset:         116
        .size:           4
        .value_kind:     by_value
      - .offset:         120
        .size:           4
        .value_kind:     by_value
      - .offset:         124
        .size:           4
        .value_kind:     by_value
      - .offset:         128
        .size:           4
        .value_kind:     by_value
      - .offset:         132
        .size:           4
        .value_kind:     by_value
      - .offset:         136
        .size:           4
        .value_kind:     by_value
      - .offset:         140
        .size:           4
        .value_kind:     by_value
      - .offset:         144
        .size:           4
        .value_kind:     by_value
      - .offset:         152
        .size:           8
        .value_kind:     by_value
      - .offset:         160
        .size:           4
        .value_kind:     by_value
      - .offset:         164
        .size:           4
        .value_kind:     by_value
      - .offset:         168
        .size:           8
        .value_kind:     by_value
      - .offset:         176
        .size:           4
        .value_kind:     by_value
      - .offset:         180
        .size:           4
        .value_kind:     by_value
      - .offset:         184
        .size:           4
        .value_kind:     by_value
      - .offset:         188
        .size:           4
        .value_kind:     by_value
      - .offset:         192
        .size:           4
        .value_kind:     by_value
      - .offset:         200
        .size:           8
        .value_kind:     by_value
      - .offset:         208
        .size:           4
        .value_kind:     hidden_block_count_x
      - .offset:         212
        .size:           4
        .value_kind:     hidden_block_count_y
      - .offset:         216
        .size:           4
        .value_kind:     hidden_block_count_z
      - .offset:         220
        .size:           2
        .value_kind:     hidden_group_size_x
      - .offset:         222
        .size:           2
        .value_kind:     hidden_group_size_y
      - .offset:         224
        .size:           2
        .value_kind:     hidden_group_size_z
      - .offset:         226
        .size:           2
        .value_kind:     hidden_remainder_x
      - .offset:         228
        .size:           2
        .value_kind:     hidden_remainder_y
      - .offset:         230
        .size:           2
        .value_kind:     hidden_remainder_z
      - .offset:         248
        .size:           8
        .value_kind:     hidden_global_offset_x
      - .offset:         256
        .size:           8
        .value_kind:     hidden_global_offset_y
      - .offset:         264
        .size:           8
        .value_kind:     hidden_global_offset_z
      - .offset:         272
        .size:           2
        .value_kind:     hidden_grid_dims
    .group_segment_fixed_size: 20000
    .kernarg_segment_align: 8
    .kernarg_segment_size: 464
    .language:       OpenCL C
    .language_version:
      - 2
      - 0
    .max_flat_workgroup_size: 256
    .name:           _ZL15flash_attn_tileILi256ELi256ELi2ELi2ELb1EEvPKcS1_S1_S1_S1_PKiPfP15HIP_vector_typeIfLj2EEffffjfiS5_IjLj3EEiiiiiiiiiiiliiliiiiil
    .private_segment_fixed_size: 0
    .sgpr_count:     46
    .sgpr_spill_count: 0
    .symbol:         _ZL15flash_attn_tileILi256ELi256ELi2ELi2ELb1EEvPKcS1_S1_S1_S1_PKiPfP15HIP_vector_typeIfLj2EEffffjfiS5_IjLj3EEiiiiiiiiiiiliiliiiiil.kd
    .uniform_work_group_size: 1
    .uses_dynamic_stack: false
    .vgpr_count:     117
    .vgpr_spill_count: 0
    .wavefront_size: 64
  - .agpr_count:     0
    .args:
      - .address_space:  global
        .offset:         0
        .size:           8
        .value_kind:     global_buffer
      - .address_space:  global
        .offset:         8
        .size:           8
        .value_kind:     global_buffer
      - .address_space:  global
        .offset:         16
        .size:           8
        .value_kind:     global_buffer
      - .address_space:  global
        .offset:         24
        .size:           8
        .value_kind:     global_buffer
      - .address_space:  global
        .offset:         32
        .size:           8
        .value_kind:     global_buffer
      - .address_space:  global
        .offset:         40
        .size:           8
        .value_kind:     global_buffer
      - .address_space:  global
        .offset:         48
        .size:           8
        .value_kind:     global_buffer
      - .address_space:  global
        .offset:         56
        .size:           8
        .value_kind:     global_buffer
      - .offset:         64
        .size:           4
        .value_kind:     by_value
      - .offset:         68
        .size:           4
        .value_kind:     by_value
      - .offset:         72
        .size:           4
        .value_kind:     by_value
      - .offset:         76
        .size:           4
        .value_kind:     by_value
      - .offset:         80
        .size:           4
        .value_kind:     by_value
      - .offset:         84
        .size:           4
        .value_kind:     by_value
      - .offset:         88
        .size:           4
        .value_kind:     by_value
      - .offset:         92
        .size:           12
        .value_kind:     by_value
      - .offset:         104
        .size:           4
        .value_kind:     by_value
      - .offset:         108
        .size:           4
        .value_kind:     by_value
      - .offset:         112
        .size:           4
        .value_kind:     by_value
      - .offset:         116
        .size:           4
        .value_kind:     by_value
      - .offset:         120
        .size:           4
        .value_kind:     by_value
      - .offset:         124
        .size:           4
        .value_kind:     by_value
      - .offset:         128
        .size:           4
        .value_kind:     by_value
      - .offset:         132
        .size:           4
        .value_kind:     by_value
      - .offset:         136
        .size:           4
        .value_kind:     by_value
      - .offset:         140
        .size:           4
        .value_kind:     by_value
      - .offset:         144
        .size:           4
        .value_kind:     by_value
      - .offset:         152
        .size:           8
        .value_kind:     by_value
      - .offset:         160
        .size:           4
        .value_kind:     by_value
      - .offset:         164
        .size:           4
        .value_kind:     by_value
      - .offset:         168
        .size:           8
        .value_kind:     by_value
      - .offset:         176
        .size:           4
        .value_kind:     by_value
      - .offset:         180
        .size:           4
        .value_kind:     by_value
      - .offset:         184
        .size:           4
        .value_kind:     by_value
      - .offset:         188
        .size:           4
        .value_kind:     by_value
      - .offset:         192
        .size:           4
        .value_kind:     by_value
      - .offset:         200
        .size:           8
        .value_kind:     by_value
      - .offset:         208
        .size:           4
        .value_kind:     hidden_block_count_x
      - .offset:         212
        .size:           4
        .value_kind:     hidden_block_count_y
      - .offset:         216
        .size:           4
        .value_kind:     hidden_block_count_z
      - .offset:         220
        .size:           2
        .value_kind:     hidden_group_size_x
      - .offset:         222
        .size:           2
        .value_kind:     hidden_group_size_y
      - .offset:         224
        .size:           2
        .value_kind:     hidden_group_size_z
      - .offset:         226
        .size:           2
        .value_kind:     hidden_remainder_x
      - .offset:         228
        .size:           2
        .value_kind:     hidden_remainder_y
      - .offset:         230
        .size:           2
        .value_kind:     hidden_remainder_z
      - .offset:         248
        .size:           8
        .value_kind:     hidden_global_offset_x
      - .offset:         256
        .size:           8
        .value_kind:     hidden_global_offset_y
      - .offset:         264
        .size:           8
        .value_kind:     hidden_global_offset_z
      - .offset:         272
        .size:           2
        .value_kind:     hidden_grid_dims
    .group_segment_fixed_size: 20000
    .kernarg_segment_align: 8
    .kernarg_segment_size: 464
    .language:       OpenCL C
    .language_version:
      - 2
      - 0
    .max_flat_workgroup_size: 256
    .name:           _ZL15flash_attn_tileILi256ELi256ELi1ELi2ELb1EEvPKcS1_S1_S1_S1_PKiPfP15HIP_vector_typeIfLj2EEffffjfiS5_IjLj3EEiiiiiiiiiiiliiliiiiil
    .private_segment_fixed_size: 0
    .sgpr_count:     51
    .sgpr_spill_count: 0
    .symbol:         _ZL15flash_attn_tileILi256ELi256ELi1ELi2ELb1EEvPKcS1_S1_S1_S1_PKiPfP15HIP_vector_typeIfLj2EEffffjfiS5_IjLj3EEiiiiiiiiiiiliiliiiiil.kd
    .uniform_work_group_size: 1
    .uses_dynamic_stack: false
    .vgpr_count:     117
    .vgpr_spill_count: 0
    .wavefront_size: 64
  - .agpr_count:     0
    .args:
      - .address_space:  global
        .offset:         0
        .size:           8
        .value_kind:     global_buffer
      - .address_space:  global
        .offset:         8
        .size:           8
        .value_kind:     global_buffer
      - .address_space:  global
        .offset:         16
        .size:           8
        .value_kind:     global_buffer
      - .address_space:  global
        .offset:         24
        .size:           8
        .value_kind:     global_buffer
      - .address_space:  global
        .offset:         32
        .size:           8
        .value_kind:     global_buffer
      - .address_space:  global
        .offset:         40
        .size:           8
        .value_kind:     global_buffer
      - .address_space:  global
        .offset:         48
        .size:           8
        .value_kind:     global_buffer
      - .address_space:  global
        .offset:         56
        .size:           8
        .value_kind:     global_buffer
      - .offset:         64
        .size:           4
        .value_kind:     by_value
      - .offset:         68
        .size:           4
        .value_kind:     by_value
      - .offset:         72
        .size:           4
        .value_kind:     by_value
      - .offset:         76
        .size:           4
        .value_kind:     by_value
      - .offset:         80
        .size:           4
        .value_kind:     by_value
      - .offset:         84
        .size:           4
        .value_kind:     by_value
      - .offset:         88
        .size:           4
        .value_kind:     by_value
      - .offset:         92
        .size:           12
        .value_kind:     by_value
      - .offset:         104
        .size:           4
        .value_kind:     by_value
      - .offset:         108
        .size:           4
        .value_kind:     by_value
      - .offset:         112
        .size:           4
        .value_kind:     by_value
      - .offset:         116
        .size:           4
        .value_kind:     by_value
      - .offset:         120
        .size:           4
        .value_kind:     by_value
      - .offset:         124
        .size:           4
        .value_kind:     by_value
      - .offset:         128
        .size:           4
        .value_kind:     by_value
      - .offset:         132
        .size:           4
        .value_kind:     by_value
      - .offset:         136
        .size:           4
        .value_kind:     by_value
      - .offset:         140
        .size:           4
        .value_kind:     by_value
      - .offset:         144
        .size:           4
        .value_kind:     by_value
      - .offset:         152
        .size:           8
        .value_kind:     by_value
      - .offset:         160
        .size:           4
        .value_kind:     by_value
      - .offset:         164
        .size:           4
        .value_kind:     by_value
      - .offset:         168
        .size:           8
        .value_kind:     by_value
      - .offset:         176
        .size:           4
        .value_kind:     by_value
      - .offset:         180
        .size:           4
        .value_kind:     by_value
      - .offset:         184
        .size:           4
        .value_kind:     by_value
      - .offset:         188
        .size:           4
        .value_kind:     by_value
      - .offset:         192
        .size:           4
        .value_kind:     by_value
      - .offset:         200
        .size:           8
        .value_kind:     by_value
      - .offset:         208
        .size:           4
        .value_kind:     hidden_block_count_x
      - .offset:         212
        .size:           4
        .value_kind:     hidden_block_count_y
      - .offset:         216
        .size:           4
        .value_kind:     hidden_block_count_z
      - .offset:         220
        .size:           2
        .value_kind:     hidden_group_size_x
      - .offset:         222
        .size:           2
        .value_kind:     hidden_group_size_y
      - .offset:         224
        .size:           2
        .value_kind:     hidden_group_size_z
      - .offset:         226
        .size:           2
        .value_kind:     hidden_remainder_x
      - .offset:         228
        .size:           2
        .value_kind:     hidden_remainder_y
      - .offset:         230
        .size:           2
        .value_kind:     hidden_remainder_z
      - .offset:         248
        .size:           8
        .value_kind:     hidden_global_offset_x
      - .offset:         256
        .size:           8
        .value_kind:     hidden_global_offset_y
      - .offset:         264
        .size:           8
        .value_kind:     hidden_global_offset_z
      - .offset:         272
        .size:           2
        .value_kind:     hidden_grid_dims
    .group_segment_fixed_size: 27136
    .kernarg_segment_align: 8
    .kernarg_segment_size: 464
    .language:       OpenCL C
    .language_version:
      - 2
      - 0
    .max_flat_workgroup_size: 256
    .name:           _ZL15flash_attn_tileILi256ELi256ELi32ELi1ELb1EEvPKcS1_S1_S1_S1_PKiPfP15HIP_vector_typeIfLj2EEffffjfiS5_IjLj3EEiiiiiiiiiiiliiliiiiil
    .private_segment_fixed_size: 32
    .sgpr_count:     54
    .sgpr_spill_count: 0
    .symbol:         _ZL15flash_attn_tileILi256ELi256ELi32ELi1ELb1EEvPKcS1_S1_S1_S1_PKiPfP15HIP_vector_typeIfLj2EEffffjfiS5_IjLj3EEiiiiiiiiiiiliiliiiiil.kd
    .uniform_work_group_size: 1
    .uses_dynamic_stack: false
    .vgpr_count:     115
    .vgpr_spill_count: 0
    .wavefront_size: 64
  - .agpr_count:     0
    .args:
      - .address_space:  global
        .offset:         0
        .size:           8
        .value_kind:     global_buffer
      - .address_space:  global
        .offset:         8
        .size:           8
        .value_kind:     global_buffer
      - .address_space:  global
        .offset:         16
        .size:           8
        .value_kind:     global_buffer
      - .address_space:  global
        .offset:         24
        .size:           8
        .value_kind:     global_buffer
      - .address_space:  global
        .offset:         32
        .size:           8
        .value_kind:     global_buffer
      - .address_space:  global
        .offset:         40
        .size:           8
        .value_kind:     global_buffer
      - .address_space:  global
        .offset:         48
        .size:           8
        .value_kind:     global_buffer
      - .address_space:  global
        .offset:         56
        .size:           8
        .value_kind:     global_buffer
      - .offset:         64
        .size:           4
        .value_kind:     by_value
      - .offset:         68
        .size:           4
        .value_kind:     by_value
      - .offset:         72
        .size:           4
        .value_kind:     by_value
      - .offset:         76
        .size:           4
        .value_kind:     by_value
      - .offset:         80
        .size:           4
        .value_kind:     by_value
      - .offset:         84
        .size:           4
        .value_kind:     by_value
      - .offset:         88
        .size:           4
        .value_kind:     by_value
      - .offset:         92
        .size:           12
        .value_kind:     by_value
      - .offset:         104
        .size:           4
        .value_kind:     by_value
      - .offset:         108
        .size:           4
        .value_kind:     by_value
      - .offset:         112
        .size:           4
        .value_kind:     by_value
      - .offset:         116
        .size:           4
        .value_kind:     by_value
      - .offset:         120
        .size:           4
        .value_kind:     by_value
      - .offset:         124
        .size:           4
        .value_kind:     by_value
      - .offset:         128
        .size:           4
        .value_kind:     by_value
      - .offset:         132
        .size:           4
        .value_kind:     by_value
      - .offset:         136
        .size:           4
        .value_kind:     by_value
      - .offset:         140
        .size:           4
        .value_kind:     by_value
      - .offset:         144
        .size:           4
        .value_kind:     by_value
      - .offset:         152
        .size:           8
        .value_kind:     by_value
      - .offset:         160
        .size:           4
        .value_kind:     by_value
      - .offset:         164
        .size:           4
        .value_kind:     by_value
      - .offset:         168
        .size:           8
        .value_kind:     by_value
      - .offset:         176
        .size:           4
        .value_kind:     by_value
      - .offset:         180
        .size:           4
        .value_kind:     by_value
      - .offset:         184
        .size:           4
        .value_kind:     by_value
      - .offset:         188
        .size:           4
        .value_kind:     by_value
      - .offset:         192
        .size:           4
        .value_kind:     by_value
      - .offset:         200
        .size:           8
        .value_kind:     by_value
      - .offset:         208
        .size:           4
        .value_kind:     hidden_block_count_x
      - .offset:         212
        .size:           4
        .value_kind:     hidden_block_count_y
      - .offset:         216
        .size:           4
        .value_kind:     hidden_block_count_z
      - .offset:         220
        .size:           2
        .value_kind:     hidden_group_size_x
      - .offset:         222
        .size:           2
        .value_kind:     hidden_group_size_y
      - .offset:         224
        .size:           2
        .value_kind:     hidden_group_size_z
      - .offset:         226
        .size:           2
        .value_kind:     hidden_remainder_x
      - .offset:         228
        .size:           2
        .value_kind:     hidden_remainder_y
      - .offset:         230
        .size:           2
        .value_kind:     hidden_remainder_z
      - .offset:         248
        .size:           8
        .value_kind:     hidden_global_offset_x
      - .offset:         256
        .size:           8
        .value_kind:     hidden_global_offset_y
      - .offset:         264
        .size:           8
        .value_kind:     hidden_global_offset_z
      - .offset:         272
        .size:           2
        .value_kind:     hidden_grid_dims
    .group_segment_fixed_size: 17920
    .kernarg_segment_align: 8
    .kernarg_segment_size: 464
    .language:       OpenCL C
    .language_version:
      - 2
      - 0
    .max_flat_workgroup_size: 256
    .name:           _ZL15flash_attn_tileILi256ELi256ELi16ELi1ELb1EEvPKcS1_S1_S1_S1_PKiPfP15HIP_vector_typeIfLj2EEffffjfiS5_IjLj3EEiiiiiiiiiiiliiliiiiil
    .private_segment_fixed_size: 32
    .sgpr_count:     54
    .sgpr_spill_count: 0
    .symbol:         _ZL15flash_attn_tileILi256ELi256ELi16ELi1ELb1EEvPKcS1_S1_S1_S1_PKiPfP15HIP_vector_typeIfLj2EEffffjfiS5_IjLj3EEiiiiiiiiiiiliiliiiiil.kd
    .uniform_work_group_size: 1
    .uses_dynamic_stack: false
    .vgpr_count:     107
    .vgpr_spill_count: 0
    .wavefront_size: 64
  - .agpr_count:     0
    .args:
      - .address_space:  global
        .offset:         0
        .size:           8
        .value_kind:     global_buffer
      - .address_space:  global
        .offset:         8
        .size:           8
        .value_kind:     global_buffer
      - .address_space:  global
        .offset:         16
        .size:           8
        .value_kind:     global_buffer
      - .address_space:  global
        .offset:         24
        .size:           8
        .value_kind:     global_buffer
      - .address_space:  global
        .offset:         32
        .size:           8
        .value_kind:     global_buffer
      - .address_space:  global
        .offset:         40
        .size:           8
        .value_kind:     global_buffer
      - .address_space:  global
        .offset:         48
        .size:           8
        .value_kind:     global_buffer
      - .address_space:  global
        .offset:         56
        .size:           8
        .value_kind:     global_buffer
      - .offset:         64
        .size:           4
        .value_kind:     by_value
      - .offset:         68
        .size:           4
        .value_kind:     by_value
      - .offset:         72
        .size:           4
        .value_kind:     by_value
      - .offset:         76
        .size:           4
        .value_kind:     by_value
      - .offset:         80
        .size:           4
        .value_kind:     by_value
      - .offset:         84
        .size:           4
        .value_kind:     by_value
      - .offset:         88
        .size:           4
        .value_kind:     by_value
      - .offset:         92
        .size:           12
        .value_kind:     by_value
      - .offset:         104
        .size:           4
        .value_kind:     by_value
      - .offset:         108
        .size:           4
        .value_kind:     by_value
      - .offset:         112
        .size:           4
        .value_kind:     by_value
      - .offset:         116
        .size:           4
        .value_kind:     by_value
      - .offset:         120
        .size:           4
        .value_kind:     by_value
      - .offset:         124
        .size:           4
        .value_kind:     by_value
      - .offset:         128
        .size:           4
        .value_kind:     by_value
      - .offset:         132
        .size:           4
        .value_kind:     by_value
      - .offset:         136
        .size:           4
        .value_kind:     by_value
      - .offset:         140
        .size:           4
        .value_kind:     by_value
      - .offset:         144
        .size:           4
        .value_kind:     by_value
      - .offset:         152
        .size:           8
        .value_kind:     by_value
      - .offset:         160
        .size:           4
        .value_kind:     by_value
      - .offset:         164
        .size:           4
        .value_kind:     by_value
      - .offset:         168
        .size:           8
        .value_kind:     by_value
      - .offset:         176
        .size:           4
        .value_kind:     by_value
      - .offset:         180
        .size:           4
        .value_kind:     by_value
      - .offset:         184
        .size:           4
        .value_kind:     by_value
      - .offset:         188
        .size:           4
        .value_kind:     by_value
      - .offset:         192
        .size:           4
        .value_kind:     by_value
      - .offset:         200
        .size:           8
        .value_kind:     by_value
      - .offset:         208
        .size:           4
        .value_kind:     hidden_block_count_x
      - .offset:         212
        .size:           4
        .value_kind:     hidden_block_count_y
      - .offset:         216
        .size:           4
        .value_kind:     hidden_block_count_z
      - .offset:         220
        .size:           2
        .value_kind:     hidden_group_size_x
      - .offset:         222
        .size:           2
        .value_kind:     hidden_group_size_y
      - .offset:         224
        .size:           2
        .value_kind:     hidden_group_size_z
      - .offset:         226
        .size:           2
        .value_kind:     hidden_remainder_x
      - .offset:         228
        .size:           2
        .value_kind:     hidden_remainder_y
      - .offset:         230
        .size:           2
        .value_kind:     hidden_remainder_z
      - .offset:         248
        .size:           8
        .value_kind:     hidden_global_offset_x
      - .offset:         256
        .size:           8
        .value_kind:     hidden_global_offset_y
      - .offset:         264
        .size:           8
        .value_kind:     hidden_global_offset_z
      - .offset:         272
        .size:           2
        .value_kind:     hidden_grid_dims
    .group_segment_fixed_size: 22528
    .kernarg_segment_align: 8
    .kernarg_segment_size: 464
    .language:       OpenCL C
    .language_version:
      - 2
      - 0
    .max_flat_workgroup_size: 256
    .name:           _ZL15flash_attn_tileILi256ELi256ELi8ELi1ELb1EEvPKcS1_S1_S1_S1_PKiPfP15HIP_vector_typeIfLj2EEffffjfiS5_IjLj3EEiiiiiiiiiiiliiliiiiil
    .private_segment_fixed_size: 32
    .sgpr_count:     54
    .sgpr_spill_count: 0
    .symbol:         _ZL15flash_attn_tileILi256ELi256ELi8ELi1ELb1EEvPKcS1_S1_S1_S1_PKiPfP15HIP_vector_typeIfLj2EEffffjfiS5_IjLj3EEiiiiiiiiiiiliiliiiiil.kd
    .uniform_work_group_size: 1
    .uses_dynamic_stack: false
    .vgpr_count:     116
    .vgpr_spill_count: 0
    .wavefront_size: 64
  - .agpr_count:     0
    .args:
      - .address_space:  global
        .offset:         0
        .size:           8
        .value_kind:     global_buffer
      - .address_space:  global
        .offset:         8
        .size:           8
        .value_kind:     global_buffer
      - .address_space:  global
        .offset:         16
        .size:           8
        .value_kind:     global_buffer
      - .address_space:  global
        .offset:         24
        .size:           8
        .value_kind:     global_buffer
      - .address_space:  global
        .offset:         32
        .size:           8
        .value_kind:     global_buffer
      - .address_space:  global
        .offset:         40
        .size:           8
        .value_kind:     global_buffer
      - .address_space:  global
        .offset:         48
        .size:           8
        .value_kind:     global_buffer
      - .address_space:  global
        .offset:         56
        .size:           8
        .value_kind:     global_buffer
      - .offset:         64
        .size:           4
        .value_kind:     by_value
      - .offset:         68
        .size:           4
        .value_kind:     by_value
      - .offset:         72
        .size:           4
        .value_kind:     by_value
      - .offset:         76
        .size:           4
        .value_kind:     by_value
      - .offset:         80
        .size:           4
        .value_kind:     by_value
      - .offset:         84
        .size:           4
        .value_kind:     by_value
      - .offset:         88
        .size:           4
        .value_kind:     by_value
      - .offset:         92
        .size:           12
        .value_kind:     by_value
      - .offset:         104
        .size:           4
        .value_kind:     by_value
      - .offset:         108
        .size:           4
        .value_kind:     by_value
      - .offset:         112
        .size:           4
        .value_kind:     by_value
      - .offset:         116
        .size:           4
        .value_kind:     by_value
      - .offset:         120
        .size:           4
        .value_kind:     by_value
      - .offset:         124
        .size:           4
        .value_kind:     by_value
      - .offset:         128
        .size:           4
        .value_kind:     by_value
      - .offset:         132
        .size:           4
        .value_kind:     by_value
      - .offset:         136
        .size:           4
        .value_kind:     by_value
      - .offset:         140
        .size:           4
        .value_kind:     by_value
      - .offset:         144
        .size:           4
        .value_kind:     by_value
      - .offset:         152
        .size:           8
        .value_kind:     by_value
      - .offset:         160
        .size:           4
        .value_kind:     by_value
      - .offset:         164
        .size:           4
        .value_kind:     by_value
      - .offset:         168
        .size:           8
        .value_kind:     by_value
      - .offset:         176
        .size:           4
        .value_kind:     by_value
      - .offset:         180
        .size:           4
        .value_kind:     by_value
      - .offset:         184
        .size:           4
        .value_kind:     by_value
      - .offset:         188
        .size:           4
        .value_kind:     by_value
      - .offset:         192
        .size:           4
        .value_kind:     by_value
      - .offset:         200
        .size:           8
        .value_kind:     by_value
      - .offset:         208
        .size:           4
        .value_kind:     hidden_block_count_x
      - .offset:         212
        .size:           4
        .value_kind:     hidden_block_count_y
      - .offset:         216
        .size:           4
        .value_kind:     hidden_block_count_z
      - .offset:         220
        .size:           2
        .value_kind:     hidden_group_size_x
      - .offset:         222
        .size:           2
        .value_kind:     hidden_group_size_y
      - .offset:         224
        .size:           2
        .value_kind:     hidden_group_size_z
      - .offset:         226
        .size:           2
        .value_kind:     hidden_remainder_x
      - .offset:         228
        .size:           2
        .value_kind:     hidden_remainder_y
      - .offset:         230
        .size:           2
        .value_kind:     hidden_remainder_z
      - .offset:         248
        .size:           8
        .value_kind:     hidden_global_offset_x
      - .offset:         256
        .size:           8
        .value_kind:     hidden_global_offset_y
      - .offset:         264
        .size:           8
        .value_kind:     hidden_global_offset_z
      - .offset:         272
        .size:           2
        .value_kind:     hidden_grid_dims
    .group_segment_fixed_size: 20032
    .kernarg_segment_align: 8
    .kernarg_segment_size: 464
    .language:       OpenCL C
    .language_version:
      - 2
      - 0
    .max_flat_workgroup_size: 256
    .name:           _ZL15flash_attn_tileILi256ELi256ELi4ELi1ELb1EEvPKcS1_S1_S1_S1_PKiPfP15HIP_vector_typeIfLj2EEffffjfiS5_IjLj3EEiiiiiiiiiiiliiliiiiil
    .private_segment_fixed_size: 32
    .sgpr_count:     54
    .sgpr_spill_count: 0
    .symbol:         _ZL15flash_attn_tileILi256ELi256ELi4ELi1ELb1EEvPKcS1_S1_S1_S1_PKiPfP15HIP_vector_typeIfLj2EEffffjfiS5_IjLj3EEiiiiiiiiiiiliiliiiiil.kd
    .uniform_work_group_size: 1
    .uses_dynamic_stack: false
    .vgpr_count:     122
    .vgpr_spill_count: 0
    .wavefront_size: 64
  - .agpr_count:     0
    .args:
      - .address_space:  global
        .offset:         0
        .size:           8
        .value_kind:     global_buffer
      - .address_space:  global
        .offset:         8
        .size:           8
        .value_kind:     global_buffer
      - .address_space:  global
        .offset:         16
        .size:           8
        .value_kind:     global_buffer
      - .address_space:  global
        .offset:         24
        .size:           8
        .value_kind:     global_buffer
      - .address_space:  global
        .offset:         32
        .size:           8
        .value_kind:     global_buffer
      - .address_space:  global
        .offset:         40
        .size:           8
        .value_kind:     global_buffer
      - .address_space:  global
        .offset:         48
        .size:           8
        .value_kind:     global_buffer
      - .address_space:  global
        .offset:         56
        .size:           8
        .value_kind:     global_buffer
      - .offset:         64
        .size:           4
        .value_kind:     by_value
      - .offset:         68
        .size:           4
        .value_kind:     by_value
      - .offset:         72
        .size:           4
        .value_kind:     by_value
      - .offset:         76
        .size:           4
        .value_kind:     by_value
      - .offset:         80
        .size:           4
        .value_kind:     by_value
      - .offset:         84
        .size:           4
        .value_kind:     by_value
      - .offset:         88
        .size:           4
        .value_kind:     by_value
      - .offset:         92
        .size:           12
        .value_kind:     by_value
      - .offset:         104
        .size:           4
        .value_kind:     by_value
      - .offset:         108
        .size:           4
        .value_kind:     by_value
      - .offset:         112
        .size:           4
        .value_kind:     by_value
      - .offset:         116
        .size:           4
        .value_kind:     by_value
      - .offset:         120
        .size:           4
        .value_kind:     by_value
      - .offset:         124
        .size:           4
        .value_kind:     by_value
      - .offset:         128
        .size:           4
        .value_kind:     by_value
      - .offset:         132
        .size:           4
        .value_kind:     by_value
      - .offset:         136
        .size:           4
        .value_kind:     by_value
      - .offset:         140
        .size:           4
        .value_kind:     by_value
      - .offset:         144
        .size:           4
        .value_kind:     by_value
      - .offset:         152
        .size:           8
        .value_kind:     by_value
      - .offset:         160
        .size:           4
        .value_kind:     by_value
      - .offset:         164
        .size:           4
        .value_kind:     by_value
      - .offset:         168
        .size:           8
        .value_kind:     by_value
      - .offset:         176
        .size:           4
        .value_kind:     by_value
      - .offset:         180
        .size:           4
        .value_kind:     by_value
      - .offset:         184
        .size:           4
        .value_kind:     by_value
      - .offset:         188
        .size:           4
        .value_kind:     by_value
      - .offset:         192
        .size:           4
        .value_kind:     by_value
      - .offset:         200
        .size:           8
        .value_kind:     by_value
      - .offset:         208
        .size:           4
        .value_kind:     hidden_block_count_x
      - .offset:         212
        .size:           4
        .value_kind:     hidden_block_count_y
      - .offset:         216
        .size:           4
        .value_kind:     hidden_block_count_z
      - .offset:         220
        .size:           2
        .value_kind:     hidden_group_size_x
      - .offset:         222
        .size:           2
        .value_kind:     hidden_group_size_y
      - .offset:         224
        .size:           2
        .value_kind:     hidden_group_size_z
      - .offset:         226
        .size:           2
        .value_kind:     hidden_remainder_x
      - .offset:         228
        .size:           2
        .value_kind:     hidden_remainder_y
      - .offset:         230
        .size:           2
        .value_kind:     hidden_remainder_z
      - .offset:         248
        .size:           8
        .value_kind:     hidden_global_offset_x
      - .offset:         256
        .size:           8
        .value_kind:     hidden_global_offset_y
      - .offset:         264
        .size:           8
        .value_kind:     hidden_global_offset_z
      - .offset:         272
        .size:           2
        .value_kind:     hidden_grid_dims
    .group_segment_fixed_size: 20032
    .kernarg_segment_align: 8
    .kernarg_segment_size: 464
    .language:       OpenCL C
    .language_version:
      - 2
      - 0
    .max_flat_workgroup_size: 256
    .name:           _ZL15flash_attn_tileILi256ELi256ELi2ELi1ELb1EEvPKcS1_S1_S1_S1_PKiPfP15HIP_vector_typeIfLj2EEffffjfiS5_IjLj3EEiiiiiiiiiiiliiliiiiil
    .private_segment_fixed_size: 32
    .sgpr_count:     54
    .sgpr_spill_count: 0
    .symbol:         _ZL15flash_attn_tileILi256ELi256ELi2ELi1ELb1EEvPKcS1_S1_S1_S1_PKiPfP15HIP_vector_typeIfLj2EEffffjfiS5_IjLj3EEiiiiiiiiiiiliiliiiiil.kd
    .uniform_work_group_size: 1
    .uses_dynamic_stack: false
    .vgpr_count:     121
    .vgpr_spill_count: 0
    .wavefront_size: 64
amdhsa.target:   amdgcn-amd-amdhsa--gfx950
amdhsa.version:
  - 1
  - 2
...

	.end_amdgpu_metadata
